;; amdgpu-corpus repo=ROCm/rocSPARSE kind=compiled arch=gfx1100 opt=O3
	.text
	.amdgcn_target "amdgcn-amd-amdhsa--gfx1100"
	.amdhsa_code_object_version 6
	.section	.text._ZN9rocsparseL25csrgemm_max_row_nnz_part1ILj256EiiEEvT1_PKT0_PS1_,"axG",@progbits,_ZN9rocsparseL25csrgemm_max_row_nnz_part1ILj256EiiEEvT1_PKT0_PS1_,comdat
	.globl	_ZN9rocsparseL25csrgemm_max_row_nnz_part1ILj256EiiEEvT1_PKT0_PS1_ ; -- Begin function _ZN9rocsparseL25csrgemm_max_row_nnz_part1ILj256EiiEEvT1_PKT0_PS1_
	.p2align	8
	.type	_ZN9rocsparseL25csrgemm_max_row_nnz_part1ILj256EiiEEvT1_PKT0_PS1_,@function
_ZN9rocsparseL25csrgemm_max_row_nnz_part1ILj256EiiEEvT1_PKT0_PS1_: ; @_ZN9rocsparseL25csrgemm_max_row_nnz_part1ILj256EiiEEvT1_PKT0_PS1_
; %bb.0:
	s_clause 0x1
	s_load_b32 s3, s[0:1], 0x0
	s_load_b64 s[4:5], s[0:1], 0x10
	s_mov_b32 s2, s15
	v_mov_b32_e32 v3, 0
	v_lshl_or_b32 v1, s2, 8, v0
	s_mov_b32 s6, exec_lo
	s_waitcnt lgkmcnt(0)
	s_delay_alu instid0(VALU_DEP_1)
	v_cmpx_gt_i32_e64 s3, v1
	s_cbranch_execz .LBB0_4
; %bb.1:
	s_clause 0x1
	s_load_b32 s7, s[0:1], 0x18
	s_load_b64 s[0:1], s[0:1], 0x8
	v_mov_b32_e32 v3, 0
	s_waitcnt lgkmcnt(0)
	s_lshl_b32 s8, s7, 8
	s_mov_b32 s7, 0
.LBB0_2:                                ; =>This Inner Loop Header: Depth=1
	v_ashrrev_i32_e32 v2, 31, v1
	s_delay_alu instid0(VALU_DEP_1) | instskip(SKIP_1) | instid1(VALU_DEP_2)
	v_lshlrev_b64 v[4:5], 2, v[1:2]
	v_add_nc_u32_e32 v1, s8, v1
	v_add_co_u32 v4, vcc_lo, s0, v4
	s_delay_alu instid0(VALU_DEP_3) | instskip(NEXT) | instid1(VALU_DEP_3)
	v_add_co_ci_u32_e32 v5, vcc_lo, s1, v5, vcc_lo
	v_cmp_le_i32_e32 vcc_lo, s3, v1
	global_load_b64 v[4:5], v[4:5], off
	s_or_b32 s7, vcc_lo, s7
	s_waitcnt vmcnt(0)
	v_sub_nc_u32_e32 v2, v5, v4
	s_delay_alu instid0(VALU_DEP_1)
	v_max_i32_e32 v3, v3, v2
	s_and_not1_b32 exec_lo, exec_lo, s7
	s_cbranch_execnz .LBB0_2
; %bb.3:
	s_or_b32 exec_lo, exec_lo, s7
.LBB0_4:
	s_delay_alu instid0(SALU_CYCLE_1)
	s_or_b32 exec_lo, exec_lo, s6
	v_lshlrev_b32_e32 v1, 2, v0
	s_mov_b32 s0, exec_lo
	ds_store_b32 v1, v3
	s_waitcnt lgkmcnt(0)
	s_barrier
	buffer_gl0_inv
	v_cmpx_gt_u32_e32 0x80, v0
	s_cbranch_execz .LBB0_6
; %bb.5:
	ds_load_2addr_stride64_b32 v[2:3], v1 offset1:2
	s_waitcnt lgkmcnt(0)
	v_max_i32_e32 v2, v2, v3
	ds_store_b32 v1, v2
.LBB0_6:
	s_or_b32 exec_lo, exec_lo, s0
	s_delay_alu instid0(SALU_CYCLE_1)
	s_mov_b32 s0, exec_lo
	s_waitcnt lgkmcnt(0)
	s_barrier
	buffer_gl0_inv
	v_cmpx_gt_u32_e32 64, v0
	s_cbranch_execz .LBB0_8
; %bb.7:
	ds_load_2addr_stride64_b32 v[2:3], v1 offset1:1
	s_waitcnt lgkmcnt(0)
	v_max_i32_e32 v2, v2, v3
	ds_store_b32 v1, v2
.LBB0_8:
	s_or_b32 exec_lo, exec_lo, s0
	s_delay_alu instid0(SALU_CYCLE_1)
	s_mov_b32 s0, exec_lo
	s_waitcnt lgkmcnt(0)
	s_barrier
	buffer_gl0_inv
	v_cmpx_gt_u32_e32 32, v0
	s_cbranch_execz .LBB0_10
; %bb.9:
	ds_load_2addr_b32 v[2:3], v1 offset1:32
	s_waitcnt lgkmcnt(0)
	v_max_i32_e32 v2, v2, v3
	ds_store_b32 v1, v2
.LBB0_10:
	s_or_b32 exec_lo, exec_lo, s0
	s_delay_alu instid0(SALU_CYCLE_1)
	s_mov_b32 s0, exec_lo
	s_waitcnt lgkmcnt(0)
	s_barrier
	buffer_gl0_inv
	v_cmpx_gt_u32_e32 16, v0
	s_cbranch_execz .LBB0_12
; %bb.11:
	ds_load_2addr_b32 v[2:3], v1 offset1:16
	s_waitcnt lgkmcnt(0)
	v_max_i32_e32 v2, v2, v3
	ds_store_b32 v1, v2
.LBB0_12:
	s_or_b32 exec_lo, exec_lo, s0
	s_delay_alu instid0(SALU_CYCLE_1)
	s_mov_b32 s0, exec_lo
	s_waitcnt lgkmcnt(0)
	s_barrier
	buffer_gl0_inv
	v_cmpx_gt_u32_e32 8, v0
	s_cbranch_execz .LBB0_14
; %bb.13:
	ds_load_2addr_b32 v[2:3], v1 offset1:8
	s_waitcnt lgkmcnt(0)
	v_max_i32_e32 v2, v2, v3
	ds_store_b32 v1, v2
.LBB0_14:
	s_or_b32 exec_lo, exec_lo, s0
	s_delay_alu instid0(SALU_CYCLE_1)
	s_mov_b32 s0, exec_lo
	s_waitcnt lgkmcnt(0)
	s_barrier
	buffer_gl0_inv
	v_cmpx_gt_u32_e32 4, v0
	s_cbranch_execz .LBB0_16
; %bb.15:
	ds_load_2addr_b32 v[2:3], v1 offset1:4
	s_waitcnt lgkmcnt(0)
	v_max_i32_e32 v2, v2, v3
	ds_store_b32 v1, v2
.LBB0_16:
	s_or_b32 exec_lo, exec_lo, s0
	s_delay_alu instid0(SALU_CYCLE_1)
	s_mov_b32 s0, exec_lo
	s_waitcnt lgkmcnt(0)
	s_barrier
	buffer_gl0_inv
	v_cmpx_gt_u32_e32 2, v0
	s_cbranch_execz .LBB0_18
; %bb.17:
	ds_load_2addr_b32 v[2:3], v1 offset1:2
	s_waitcnt lgkmcnt(0)
	v_max_i32_e32 v2, v2, v3
	ds_store_b32 v1, v2
.LBB0_18:
	s_or_b32 exec_lo, exec_lo, s0
	v_cmp_eq_u32_e32 vcc_lo, 0, v0
	s_waitcnt lgkmcnt(0)
	s_barrier
	buffer_gl0_inv
	s_and_saveexec_b32 s0, vcc_lo
	s_cbranch_execz .LBB0_20
; %bb.19:
	v_mov_b32_e32 v2, 0
	ds_load_b64 v[0:1], v2
	s_waitcnt lgkmcnt(0)
	v_max_i32_e32 v0, v0, v1
	ds_store_b32 v2, v0
.LBB0_20:
	s_or_b32 exec_lo, exec_lo, s0
	s_waitcnt lgkmcnt(0)
	s_barrier
	buffer_gl0_inv
	s_and_saveexec_b32 s0, vcc_lo
	s_cbranch_execz .LBB0_22
; %bb.21:
	v_mov_b32_e32 v0, 0
	s_mov_b32 s3, 0
	s_delay_alu instid0(SALU_CYCLE_1) | instskip(NEXT) | instid1(SALU_CYCLE_1)
	s_lshl_b64 s[0:1], s[2:3], 2
	s_add_u32 s0, s4, s0
	ds_load_b32 v1, v0
	s_addc_u32 s1, s5, s1
	s_waitcnt lgkmcnt(0)
	global_store_b32 v0, v1, s[0:1]
.LBB0_22:
	s_nop 0
	s_sendmsg sendmsg(MSG_DEALLOC_VGPRS)
	s_endpgm
	.section	.rodata,"a",@progbits
	.p2align	6, 0x0
	.amdhsa_kernel _ZN9rocsparseL25csrgemm_max_row_nnz_part1ILj256EiiEEvT1_PKT0_PS1_
		.amdhsa_group_segment_fixed_size 1024
		.amdhsa_private_segment_fixed_size 0
		.amdhsa_kernarg_size 280
		.amdhsa_user_sgpr_count 15
		.amdhsa_user_sgpr_dispatch_ptr 0
		.amdhsa_user_sgpr_queue_ptr 0
		.amdhsa_user_sgpr_kernarg_segment_ptr 1
		.amdhsa_user_sgpr_dispatch_id 0
		.amdhsa_user_sgpr_private_segment_size 0
		.amdhsa_wavefront_size32 1
		.amdhsa_uses_dynamic_stack 0
		.amdhsa_enable_private_segment 0
		.amdhsa_system_sgpr_workgroup_id_x 1
		.amdhsa_system_sgpr_workgroup_id_y 0
		.amdhsa_system_sgpr_workgroup_id_z 0
		.amdhsa_system_sgpr_workgroup_info 0
		.amdhsa_system_vgpr_workitem_id 0
		.amdhsa_next_free_vgpr 6
		.amdhsa_next_free_sgpr 16
		.amdhsa_reserve_vcc 1
		.amdhsa_float_round_mode_32 0
		.amdhsa_float_round_mode_16_64 0
		.amdhsa_float_denorm_mode_32 3
		.amdhsa_float_denorm_mode_16_64 3
		.amdhsa_dx10_clamp 1
		.amdhsa_ieee_mode 1
		.amdhsa_fp16_overflow 0
		.amdhsa_workgroup_processor_mode 1
		.amdhsa_memory_ordered 1
		.amdhsa_forward_progress 0
		.amdhsa_shared_vgpr_count 0
		.amdhsa_exception_fp_ieee_invalid_op 0
		.amdhsa_exception_fp_denorm_src 0
		.amdhsa_exception_fp_ieee_div_zero 0
		.amdhsa_exception_fp_ieee_overflow 0
		.amdhsa_exception_fp_ieee_underflow 0
		.amdhsa_exception_fp_ieee_inexact 0
		.amdhsa_exception_int_div_zero 0
	.end_amdhsa_kernel
	.section	.text._ZN9rocsparseL25csrgemm_max_row_nnz_part1ILj256EiiEEvT1_PKT0_PS1_,"axG",@progbits,_ZN9rocsparseL25csrgemm_max_row_nnz_part1ILj256EiiEEvT1_PKT0_PS1_,comdat
.Lfunc_end0:
	.size	_ZN9rocsparseL25csrgemm_max_row_nnz_part1ILj256EiiEEvT1_PKT0_PS1_, .Lfunc_end0-_ZN9rocsparseL25csrgemm_max_row_nnz_part1ILj256EiiEEvT1_PKT0_PS1_
                                        ; -- End function
	.section	.AMDGPU.csdata,"",@progbits
; Kernel info:
; codeLenInByte = 756
; NumSgprs: 18
; NumVgprs: 6
; ScratchSize: 0
; MemoryBound: 0
; FloatMode: 240
; IeeeMode: 1
; LDSByteSize: 1024 bytes/workgroup (compile time only)
; SGPRBlocks: 2
; VGPRBlocks: 0
; NumSGPRsForWavesPerEU: 18
; NumVGPRsForWavesPerEU: 6
; Occupancy: 16
; WaveLimiterHint : 0
; COMPUTE_PGM_RSRC2:SCRATCH_EN: 0
; COMPUTE_PGM_RSRC2:USER_SGPR: 15
; COMPUTE_PGM_RSRC2:TRAP_HANDLER: 0
; COMPUTE_PGM_RSRC2:TGID_X_EN: 1
; COMPUTE_PGM_RSRC2:TGID_Y_EN: 0
; COMPUTE_PGM_RSRC2:TGID_Z_EN: 0
; COMPUTE_PGM_RSRC2:TIDIG_COMP_CNT: 0
	.section	.text._ZN9rocsparseL25csrgemm_max_row_nnz_part2ILj256EiEEvPT0_,"axG",@progbits,_ZN9rocsparseL25csrgemm_max_row_nnz_part2ILj256EiEEvPT0_,comdat
	.globl	_ZN9rocsparseL25csrgemm_max_row_nnz_part2ILj256EiEEvPT0_ ; -- Begin function _ZN9rocsparseL25csrgemm_max_row_nnz_part2ILj256EiEEvPT0_
	.p2align	8
	.type	_ZN9rocsparseL25csrgemm_max_row_nnz_part2ILj256EiEEvPT0_,@function
_ZN9rocsparseL25csrgemm_max_row_nnz_part2ILj256EiEEvPT0_: ; @_ZN9rocsparseL25csrgemm_max_row_nnz_part2ILj256EiEEvPT0_
; %bb.0:
	s_load_b64 s[0:1], s[0:1], 0x0
	v_lshlrev_b32_e32 v1, 2, v0
	s_mov_b32 s2, exec_lo
	s_waitcnt lgkmcnt(0)
	global_load_b32 v2, v1, s[0:1]
	s_waitcnt vmcnt(0)
	ds_store_b32 v1, v2
	s_waitcnt lgkmcnt(0)
	s_barrier
	buffer_gl0_inv
	v_cmpx_gt_u32_e32 0x80, v0
	s_cbranch_execz .LBB1_2
; %bb.1:
	ds_load_2addr_stride64_b32 v[2:3], v1 offset1:2
	s_waitcnt lgkmcnt(0)
	v_max_i32_e32 v2, v2, v3
	ds_store_b32 v1, v2
.LBB1_2:
	s_or_b32 exec_lo, exec_lo, s2
	s_delay_alu instid0(SALU_CYCLE_1)
	s_mov_b32 s2, exec_lo
	s_waitcnt lgkmcnt(0)
	s_barrier
	buffer_gl0_inv
	v_cmpx_gt_u32_e32 64, v0
	s_cbranch_execz .LBB1_4
; %bb.3:
	ds_load_2addr_stride64_b32 v[2:3], v1 offset1:1
	s_waitcnt lgkmcnt(0)
	v_max_i32_e32 v2, v2, v3
	ds_store_b32 v1, v2
.LBB1_4:
	s_or_b32 exec_lo, exec_lo, s2
	s_delay_alu instid0(SALU_CYCLE_1)
	s_mov_b32 s2, exec_lo
	s_waitcnt lgkmcnt(0)
	s_barrier
	buffer_gl0_inv
	v_cmpx_gt_u32_e32 32, v0
	s_cbranch_execz .LBB1_6
; %bb.5:
	ds_load_2addr_b32 v[2:3], v1 offset1:32
	s_waitcnt lgkmcnt(0)
	v_max_i32_e32 v2, v2, v3
	ds_store_b32 v1, v2
.LBB1_6:
	s_or_b32 exec_lo, exec_lo, s2
	s_delay_alu instid0(SALU_CYCLE_1)
	s_mov_b32 s2, exec_lo
	s_waitcnt lgkmcnt(0)
	s_barrier
	buffer_gl0_inv
	v_cmpx_gt_u32_e32 16, v0
	s_cbranch_execz .LBB1_8
; %bb.7:
	ds_load_2addr_b32 v[2:3], v1 offset1:16
	s_waitcnt lgkmcnt(0)
	v_max_i32_e32 v2, v2, v3
	ds_store_b32 v1, v2
.LBB1_8:
	;; [unrolled: 14-line block ×5, first 2 shown]
	s_or_b32 exec_lo, exec_lo, s2
	v_cmp_eq_u32_e32 vcc_lo, 0, v0
	s_waitcnt lgkmcnt(0)
	s_barrier
	buffer_gl0_inv
	s_and_saveexec_b32 s2, vcc_lo
	s_cbranch_execz .LBB1_16
; %bb.15:
	v_mov_b32_e32 v2, 0
	ds_load_b64 v[0:1], v2
	s_waitcnt lgkmcnt(0)
	v_max_i32_e32 v0, v0, v1
	ds_store_b32 v2, v0
.LBB1_16:
	s_or_b32 exec_lo, exec_lo, s2
	s_waitcnt lgkmcnt(0)
	s_barrier
	buffer_gl0_inv
	s_and_saveexec_b32 s2, vcc_lo
	s_cbranch_execz .LBB1_18
; %bb.17:
	v_mov_b32_e32 v0, 0
	ds_load_b32 v1, v0
	s_waitcnt lgkmcnt(0)
	global_store_b32 v0, v1, s[0:1]
.LBB1_18:
	s_nop 0
	s_sendmsg sendmsg(MSG_DEALLOC_VGPRS)
	s_endpgm
	.section	.rodata,"a",@progbits
	.p2align	6, 0x0
	.amdhsa_kernel _ZN9rocsparseL25csrgemm_max_row_nnz_part2ILj256EiEEvPT0_
		.amdhsa_group_segment_fixed_size 1024
		.amdhsa_private_segment_fixed_size 0
		.amdhsa_kernarg_size 8
		.amdhsa_user_sgpr_count 15
		.amdhsa_user_sgpr_dispatch_ptr 0
		.amdhsa_user_sgpr_queue_ptr 0
		.amdhsa_user_sgpr_kernarg_segment_ptr 1
		.amdhsa_user_sgpr_dispatch_id 0
		.amdhsa_user_sgpr_private_segment_size 0
		.amdhsa_wavefront_size32 1
		.amdhsa_uses_dynamic_stack 0
		.amdhsa_enable_private_segment 0
		.amdhsa_system_sgpr_workgroup_id_x 1
		.amdhsa_system_sgpr_workgroup_id_y 0
		.amdhsa_system_sgpr_workgroup_id_z 0
		.amdhsa_system_sgpr_workgroup_info 0
		.amdhsa_system_vgpr_workitem_id 0
		.amdhsa_next_free_vgpr 4
		.amdhsa_next_free_sgpr 3
		.amdhsa_reserve_vcc 1
		.amdhsa_float_round_mode_32 0
		.amdhsa_float_round_mode_16_64 0
		.amdhsa_float_denorm_mode_32 3
		.amdhsa_float_denorm_mode_16_64 3
		.amdhsa_dx10_clamp 1
		.amdhsa_ieee_mode 1
		.amdhsa_fp16_overflow 0
		.amdhsa_workgroup_processor_mode 1
		.amdhsa_memory_ordered 1
		.amdhsa_forward_progress 0
		.amdhsa_shared_vgpr_count 0
		.amdhsa_exception_fp_ieee_invalid_op 0
		.amdhsa_exception_fp_denorm_src 0
		.amdhsa_exception_fp_ieee_div_zero 0
		.amdhsa_exception_fp_ieee_overflow 0
		.amdhsa_exception_fp_ieee_underflow 0
		.amdhsa_exception_fp_ieee_inexact 0
		.amdhsa_exception_int_div_zero 0
	.end_amdhsa_kernel
	.section	.text._ZN9rocsparseL25csrgemm_max_row_nnz_part2ILj256EiEEvPT0_,"axG",@progbits,_ZN9rocsparseL25csrgemm_max_row_nnz_part2ILj256EiEEvPT0_,comdat
.Lfunc_end1:
	.size	_ZN9rocsparseL25csrgemm_max_row_nnz_part2ILj256EiEEvPT0_, .Lfunc_end1-_ZN9rocsparseL25csrgemm_max_row_nnz_part2ILj256EiEEvPT0_
                                        ; -- End function
	.section	.AMDGPU.csdata,"",@progbits
; Kernel info:
; codeLenInByte = 576
; NumSgprs: 5
; NumVgprs: 4
; ScratchSize: 0
; MemoryBound: 0
; FloatMode: 240
; IeeeMode: 1
; LDSByteSize: 1024 bytes/workgroup (compile time only)
; SGPRBlocks: 0
; VGPRBlocks: 0
; NumSGPRsForWavesPerEU: 5
; NumVGPRsForWavesPerEU: 4
; Occupancy: 16
; WaveLimiterHint : 0
; COMPUTE_PGM_RSRC2:SCRATCH_EN: 0
; COMPUTE_PGM_RSRC2:USER_SGPR: 15
; COMPUTE_PGM_RSRC2:TRAP_HANDLER: 0
; COMPUTE_PGM_RSRC2:TGID_X_EN: 1
; COMPUTE_PGM_RSRC2:TGID_Y_EN: 0
; COMPUTE_PGM_RSRC2:TGID_Z_EN: 0
; COMPUTE_PGM_RSRC2:TIDIG_COMP_CNT: 0
	.section	.text._ZN9rocsparseL26csrgemm_group_reduce_part2ILj256ELj11EfiiEEvT3_PKT2_PS1_Pij,"axG",@progbits,_ZN9rocsparseL26csrgemm_group_reduce_part2ILj256ELj11EfiiEEvT3_PKT2_PS1_Pij,comdat
	.globl	_ZN9rocsparseL26csrgemm_group_reduce_part2ILj256ELj11EfiiEEvT3_PKT2_PS1_Pij ; -- Begin function _ZN9rocsparseL26csrgemm_group_reduce_part2ILj256ELj11EfiiEEvT3_PKT2_PS1_Pij
	.p2align	8
	.type	_ZN9rocsparseL26csrgemm_group_reduce_part2ILj256ELj11EfiiEEvT3_PKT2_PS1_Pij,@function
_ZN9rocsparseL26csrgemm_group_reduce_part2ILj256ELj11EfiiEEvT3_PKT2_PS1_Pij: ; @_ZN9rocsparseL26csrgemm_group_reduce_part2ILj256ELj11EfiiEEvT3_PKT2_PS1_Pij
; %bb.0:
	s_clause 0x1
	s_load_b32 s8, s[0:1], 0x0
	s_load_b64 s[2:3], s[0:1], 0x10
	v_mul_u32_u24_e32 v2, 11, v0
	v_mov_b32_e32 v5, 0
	v_lshl_or_b32 v1, s15, 8, v0
	s_mov_b32 s9, 0
	s_mov_b32 s10, exec_lo
	v_lshlrev_b32_e32 v4, 2, v2
	ds_store_2addr_b32 v4, v5, v5 offset1:1
	ds_store_2addr_b32 v4, v5, v5 offset0:2 offset1:3
	ds_store_2addr_b32 v4, v5, v5 offset0:4 offset1:5
	;; [unrolled: 1-line block ×4, first 2 shown]
	ds_store_b32 v4, v5 offset:40
	s_waitcnt lgkmcnt(0)
	buffer_gl0_inv
	v_cmpx_gt_i32_e64 s8, v1
	s_cbranch_execz .LBB2_43
; %bb.1:
	s_clause 0x3
	s_load_b32 s11, s[0:1], 0x20
	s_load_b32 s12, s[0:1], 0x28
	s_load_b64 s[4:5], s[0:1], 0x8
	s_load_b64 s[6:7], s[0:1], 0x18
	v_dual_mov_b32 v6, 6 :: v_dual_mov_b32 v7, 7
	v_dual_mov_b32 v8, 8 :: v_dual_mov_b32 v9, 9
	;; [unrolled: 1-line block ×5, first 2 shown]
	s_waitcnt lgkmcnt(0)
	s_cmpk_lt_u32 s11, 0x8084
	s_cselect_b32 s0, -1, 0
	s_cmp_lt_u32 s11, 0x10084
	s_cselect_b32 s13, -1, 0
	s_cmp_lt_u32 s11, 0x20084
	;; [unrolled: 2-line block ×3, first 2 shown]
	s_cselect_b32 s16, -1, 0
	s_lshl_b32 s1, s12, 8
	s_xor_b32 s11, s0, -1
	s_xor_b32 s12, s13, -1
	;; [unrolled: 1-line block ×4, first 2 shown]
	s_branch .LBB2_3
.LBB2_2:                                ;   in Loop: Header=BB2_3 Depth=1
	s_or_b32 exec_lo, exec_lo, s0
	v_add_nc_u32_e32 v1, s1, v1
	s_delay_alu instid0(VALU_DEP_1) | instskip(SKIP_1) | instid1(SALU_CYCLE_1)
	v_cmp_le_i32_e32 vcc_lo, s8, v1
	s_or_b32 s9, vcc_lo, s9
	s_and_not1_b32 exec_lo, exec_lo, s9
	s_cbranch_execz .LBB2_43
.LBB2_3:                                ; =>This Inner Loop Header: Depth=1
	v_ashrrev_i32_e32 v2, 31, v1
	s_mov_b32 s0, exec_lo
	s_delay_alu instid0(VALU_DEP_1) | instskip(NEXT) | instid1(VALU_DEP_1)
	v_lshlrev_b64 v[2:3], 2, v[1:2]
	v_add_co_u32 v16, vcc_lo, s4, v2
	s_delay_alu instid0(VALU_DEP_2) | instskip(SKIP_3) | instid1(VALU_DEP_1)
	v_add_co_ci_u32_e32 v17, vcc_lo, s5, v3, vcc_lo
	global_load_b64 v[16:17], v[16:17], off
	s_waitcnt vmcnt(0)
	v_sub_nc_u32_e32 v16, v17, v16
	v_cmpx_lt_i32_e32 16, v16
	s_xor_b32 s16, exec_lo, s0
	s_cbranch_execz .LBB2_41
; %bb.4:                                ;   in Loop: Header=BB2_3 Depth=1
	s_mov_b32 s0, exec_lo
	v_cmpx_lt_u32_e32 32, v16
	s_xor_b32 s17, exec_lo, s0
	s_cbranch_execz .LBB2_38
; %bb.5:                                ;   in Loop: Header=BB2_3 Depth=1
	s_mov_b32 s0, exec_lo
	v_cmpx_lt_u32_e32 0x100, v16
	;; [unrolled: 5-line block ×5, first 2 shown]
	s_xor_b32 s21, exec_lo, s0
	s_cbranch_execz .LBB2_26
; %bb.9:                                ;   in Loop: Header=BB2_3 Depth=1
	v_cmp_gt_u32_e32 vcc_lo, 0x1001, v16
	s_and_b32 s0, s11, vcc_lo
	s_delay_alu instid0(SALU_CYCLE_1) | instskip(NEXT) | instid1(SALU_CYCLE_1)
	s_and_saveexec_b32 s22, s0
	s_xor_b32 s0, exec_lo, s22
	s_cbranch_execz .LBB2_11
; %bb.10:                               ;   in Loop: Header=BB2_3 Depth=1
	ds_load_b32 v16, v4 offset:24
	v_add_co_u32 v2, vcc_lo, s6, v2
	v_add_co_ci_u32_e32 v3, vcc_lo, s7, v3, vcc_lo
	global_store_b32 v[2:3], v6, off
                                        ; implicit-def: $vgpr2_vgpr3
	s_waitcnt lgkmcnt(0)
	v_add_nc_u32_e32 v16, 1, v16
	ds_store_b32 v4, v16 offset:24
                                        ; implicit-def: $vgpr16
.LBB2_11:                               ;   in Loop: Header=BB2_3 Depth=1
	s_and_not1_saveexec_b32 s22, s0
	s_cbranch_execz .LBB2_25
; %bb.12:                               ;   in Loop: Header=BB2_3 Depth=1
	v_cmp_gt_u32_e32 vcc_lo, 0x2001, v16
	s_and_b32 s0, s12, vcc_lo
	s_delay_alu instid0(SALU_CYCLE_1) | instskip(NEXT) | instid1(SALU_CYCLE_1)
	s_and_saveexec_b32 s23, s0
	s_xor_b32 s0, exec_lo, s23
	s_cbranch_execz .LBB2_14
; %bb.13:                               ;   in Loop: Header=BB2_3 Depth=1
	ds_load_b32 v16, v4 offset:28
	v_add_co_u32 v2, vcc_lo, s6, v2
	v_add_co_ci_u32_e32 v3, vcc_lo, s7, v3, vcc_lo
	global_store_b32 v[2:3], v7, off
                                        ; implicit-def: $vgpr2_vgpr3
	s_waitcnt lgkmcnt(0)
	v_add_nc_u32_e32 v16, 1, v16
	ds_store_b32 v4, v16 offset:28
                                        ; implicit-def: $vgpr16
.LBB2_14:                               ;   in Loop: Header=BB2_3 Depth=1
	s_and_not1_saveexec_b32 s23, s0
	s_cbranch_execz .LBB2_24
; %bb.15:                               ;   in Loop: Header=BB2_3 Depth=1
	;; [unrolled: 20-line block ×3, first 2 shown]
	v_cmp_gt_u32_e32 vcc_lo, 0x8001, v16
	v_add_co_u32 v2, s0, s6, v2
	s_delay_alu instid0(VALU_DEP_1) | instskip(SKIP_1) | instid1(SALU_CYCLE_1)
	v_add_co_ci_u32_e64 v3, s0, s7, v3, s0
	s_and_b32 s0, s14, vcc_lo
	s_and_saveexec_b32 s25, s0
	s_delay_alu instid0(SALU_CYCLE_1)
	s_xor_b32 s0, exec_lo, s25
	s_cbranch_execz .LBB2_20
; %bb.19:                               ;   in Loop: Header=BB2_3 Depth=1
	ds_load_b32 v16, v4 offset:36
	global_store_b32 v[2:3], v9, off
                                        ; implicit-def: $vgpr2_vgpr3
	s_waitcnt lgkmcnt(0)
	v_add_nc_u32_e32 v16, 1, v16
	ds_store_b32 v4, v16 offset:36
.LBB2_20:                               ;   in Loop: Header=BB2_3 Depth=1
	s_and_not1_saveexec_b32 s0, s0
	s_cbranch_execz .LBB2_22
; %bb.21:                               ;   in Loop: Header=BB2_3 Depth=1
	ds_load_b32 v16, v4 offset:40
	global_store_b32 v[2:3], v10, off
	s_waitcnt lgkmcnt(0)
	v_add_nc_u32_e32 v16, 1, v16
	ds_store_b32 v4, v16 offset:40
.LBB2_22:                               ;   in Loop: Header=BB2_3 Depth=1
	s_or_b32 exec_lo, exec_lo, s0
.LBB2_23:                               ;   in Loop: Header=BB2_3 Depth=1
	s_delay_alu instid0(SALU_CYCLE_1)
	s_or_b32 exec_lo, exec_lo, s24
.LBB2_24:                               ;   in Loop: Header=BB2_3 Depth=1
	s_delay_alu instid0(SALU_CYCLE_1)
	s_or_b32 exec_lo, exec_lo, s23
.LBB2_25:                               ;   in Loop: Header=BB2_3 Depth=1
	s_delay_alu instid0(SALU_CYCLE_1)
	s_or_b32 exec_lo, exec_lo, s22
                                        ; implicit-def: $vgpr2_vgpr3
.LBB2_26:                               ;   in Loop: Header=BB2_3 Depth=1
	s_and_not1_saveexec_b32 s0, s21
	s_cbranch_execz .LBB2_28
; %bb.27:                               ;   in Loop: Header=BB2_3 Depth=1
	ds_load_b32 v16, v4 offset:20
	v_add_co_u32 v2, vcc_lo, s6, v2
	v_add_co_ci_u32_e32 v3, vcc_lo, s7, v3, vcc_lo
	global_store_b32 v[2:3], v11, off
	s_waitcnt lgkmcnt(0)
	v_add_nc_u32_e32 v16, 1, v16
	ds_store_b32 v4, v16 offset:20
.LBB2_28:                               ;   in Loop: Header=BB2_3 Depth=1
	s_or_b32 exec_lo, exec_lo, s0
                                        ; implicit-def: $vgpr2_vgpr3
.LBB2_29:                               ;   in Loop: Header=BB2_3 Depth=1
	s_and_not1_saveexec_b32 s0, s20
	s_cbranch_execz .LBB2_31
; %bb.30:                               ;   in Loop: Header=BB2_3 Depth=1
	ds_load_b32 v16, v4 offset:16
	v_add_co_u32 v2, vcc_lo, s6, v2
	v_add_co_ci_u32_e32 v3, vcc_lo, s7, v3, vcc_lo
	global_store_b32 v[2:3], v12, off
	s_waitcnt lgkmcnt(0)
	v_add_nc_u32_e32 v16, 1, v16
	ds_store_b32 v4, v16 offset:16
.LBB2_31:                               ;   in Loop: Header=BB2_3 Depth=1
	s_or_b32 exec_lo, exec_lo, s0
                                        ; implicit-def: $vgpr2_vgpr3
.LBB2_32:                               ;   in Loop: Header=BB2_3 Depth=1
	s_and_not1_saveexec_b32 s0, s19
	s_cbranch_execz .LBB2_34
; %bb.33:                               ;   in Loop: Header=BB2_3 Depth=1
	ds_load_b32 v16, v4 offset:12
	v_add_co_u32 v2, vcc_lo, s6, v2
	v_add_co_ci_u32_e32 v3, vcc_lo, s7, v3, vcc_lo
	global_store_b32 v[2:3], v13, off
	s_waitcnt lgkmcnt(0)
	v_add_nc_u32_e32 v16, 1, v16
	ds_store_b32 v4, v16 offset:12
.LBB2_34:                               ;   in Loop: Header=BB2_3 Depth=1
	s_or_b32 exec_lo, exec_lo, s0
                                        ; implicit-def: $vgpr2_vgpr3
.LBB2_35:                               ;   in Loop: Header=BB2_3 Depth=1
	s_and_not1_saveexec_b32 s0, s18
	s_cbranch_execz .LBB2_37
; %bb.36:                               ;   in Loop: Header=BB2_3 Depth=1
	ds_load_b32 v16, v4 offset:8
	v_add_co_u32 v2, vcc_lo, s6, v2
	v_add_co_ci_u32_e32 v3, vcc_lo, s7, v3, vcc_lo
	global_store_b32 v[2:3], v14, off
	s_waitcnt lgkmcnt(0)
	v_add_nc_u32_e32 v16, 1, v16
	ds_store_b32 v4, v16 offset:8
.LBB2_37:                               ;   in Loop: Header=BB2_3 Depth=1
	s_or_b32 exec_lo, exec_lo, s0
                                        ; implicit-def: $vgpr2_vgpr3
.LBB2_38:                               ;   in Loop: Header=BB2_3 Depth=1
	s_and_not1_saveexec_b32 s0, s17
	s_cbranch_execz .LBB2_40
; %bb.39:                               ;   in Loop: Header=BB2_3 Depth=1
	ds_load_b32 v16, v4 offset:4
	v_add_co_u32 v2, vcc_lo, s6, v2
	v_add_co_ci_u32_e32 v3, vcc_lo, s7, v3, vcc_lo
	global_store_b32 v[2:3], v15, off
	s_waitcnt lgkmcnt(0)
	v_add_nc_u32_e32 v16, 1, v16
	ds_store_b32 v4, v16 offset:4
.LBB2_40:                               ;   in Loop: Header=BB2_3 Depth=1
	s_or_b32 exec_lo, exec_lo, s0
                                        ; implicit-def: $vgpr2_vgpr3
.LBB2_41:                               ;   in Loop: Header=BB2_3 Depth=1
	s_and_not1_saveexec_b32 s0, s16
	s_cbranch_execz .LBB2_2
; %bb.42:                               ;   in Loop: Header=BB2_3 Depth=1
	ds_load_b32 v16, v4
	v_add_co_u32 v2, vcc_lo, s6, v2
	v_add_co_ci_u32_e32 v3, vcc_lo, s7, v3, vcc_lo
	global_store_b32 v[2:3], v5, off
	s_waitcnt lgkmcnt(0)
	v_add_nc_u32_e32 v16, 1, v16
	ds_store_b32 v4, v16
	s_branch .LBB2_2
.LBB2_43:
	s_or_b32 exec_lo, exec_lo, s10
	s_delay_alu instid0(SALU_CYCLE_1)
	s_mov_b32 s0, exec_lo
	s_waitcnt lgkmcnt(0)
	s_waitcnt_vscnt null, 0x0
	s_barrier
	buffer_gl0_inv
	s_barrier
	buffer_gl0_inv
	;; [unrolled: 2-line block ×3, first 2 shown]
	v_cmpx_gt_u32_e32 0x80, v0
	s_cbranch_execz .LBB2_45
; %bb.44:
	v_add_nc_u32_e32 v1, 0x1600, v4
	v_add_nc_u32_e32 v3, 0x1608, v4
	;; [unrolled: 1-line block ×5, first 2 shown]
	ds_load_2addr_b32 v[1:2], v1 offset1:1
	ds_load_2addr_b32 v[5:6], v3 offset1:1
	;; [unrolled: 1-line block ×3, first 2 shown]
	v_add_nc_u32_e32 v3, 0x1618, v4
	ds_load_2addr_b32 v[9:10], v4 offset1:1
	ds_load_2addr_b32 v[11:12], v4 offset0:2 offset1:3
	ds_load_2addr_b32 v[13:14], v4 offset0:4 offset1:5
	;; [unrolled: 1-line block ×3, first 2 shown]
	ds_load_2addr_b32 v[17:18], v3 offset1:1
	ds_load_2addr_b32 v[19:20], v19 offset1:1
	ds_load_2addr_b32 v[21:22], v4 offset0:8 offset1:9
	ds_load_2addr_stride64_b32 v[23:24], v23 offset1:22
	s_waitcnt lgkmcnt(6)
	v_add_nc_u32_e32 v3, v11, v5
	v_add_nc_u32_e32 v1, v9, v1
	;; [unrolled: 1-line block ×4, first 2 shown]
	s_waitcnt lgkmcnt(5)
	v_add_nc_u32_e32 v6, v13, v7
	v_add_nc_u32_e32 v7, v14, v8
	s_waitcnt lgkmcnt(3)
	v_add_nc_u32_e32 v8, v15, v17
	v_add_nc_u32_e32 v9, v16, v18
	;; [unrolled: 3-line block ×3, first 2 shown]
	s_waitcnt lgkmcnt(0)
	v_add_nc_u32_e32 v12, v23, v24
	ds_store_2addr_b32 v4, v1, v2 offset1:1
	ds_store_2addr_b32 v4, v3, v5 offset0:2 offset1:3
	ds_store_2addr_b32 v4, v6, v7 offset0:4 offset1:5
	;; [unrolled: 1-line block ×4, first 2 shown]
	ds_store_b32 v4, v12 offset:40
.LBB2_45:
	s_or_b32 exec_lo, exec_lo, s0
	s_delay_alu instid0(SALU_CYCLE_1)
	s_mov_b32 s0, exec_lo
	s_waitcnt lgkmcnt(0)
	s_barrier
	buffer_gl0_inv
	v_cmpx_gt_u32_e32 64, v0
	s_cbranch_execz .LBB2_47
; %bb.46:
	v_add_nc_u32_e32 v1, 0xb00, v4
	v_add_nc_u32_e32 v3, 0xb08, v4
	;; [unrolled: 1-line block ×5, first 2 shown]
	ds_load_2addr_b32 v[1:2], v1 offset1:1
	ds_load_2addr_b32 v[5:6], v3 offset1:1
	;; [unrolled: 1-line block ×3, first 2 shown]
	v_add_nc_u32_e32 v3, 0xb18, v4
	ds_load_2addr_b32 v[9:10], v4 offset1:1
	ds_load_2addr_b32 v[11:12], v4 offset0:2 offset1:3
	ds_load_2addr_b32 v[13:14], v4 offset0:4 offset1:5
	;; [unrolled: 1-line block ×3, first 2 shown]
	ds_load_2addr_b32 v[17:18], v3 offset1:1
	ds_load_2addr_b32 v[19:20], v19 offset1:1
	ds_load_2addr_b32 v[21:22], v4 offset0:8 offset1:9
	ds_load_2addr_stride64_b32 v[23:24], v23 offset1:11
	s_waitcnt lgkmcnt(6)
	v_add_nc_u32_e32 v3, v11, v5
	v_add_nc_u32_e32 v1, v9, v1
	;; [unrolled: 1-line block ×4, first 2 shown]
	s_waitcnt lgkmcnt(5)
	v_add_nc_u32_e32 v6, v13, v7
	v_add_nc_u32_e32 v7, v14, v8
	s_waitcnt lgkmcnt(3)
	v_add_nc_u32_e32 v8, v15, v17
	v_add_nc_u32_e32 v9, v16, v18
	;; [unrolled: 3-line block ×3, first 2 shown]
	s_waitcnt lgkmcnt(0)
	v_add_nc_u32_e32 v12, v23, v24
	ds_store_2addr_b32 v4, v1, v2 offset1:1
	ds_store_2addr_b32 v4, v3, v5 offset0:2 offset1:3
	ds_store_2addr_b32 v4, v6, v7 offset0:4 offset1:5
	;; [unrolled: 1-line block ×4, first 2 shown]
	ds_store_b32 v4, v12 offset:40
.LBB2_47:
	s_or_b32 exec_lo, exec_lo, s0
	s_delay_alu instid0(SALU_CYCLE_1)
	s_mov_b32 s0, exec_lo
	s_waitcnt lgkmcnt(0)
	s_barrier
	buffer_gl0_inv
	v_cmpx_gt_u32_e32 32, v0
	s_cbranch_execz .LBB2_49
; %bb.48:
	v_add_nc_u32_e32 v3, 0x580, v4
	v_add_nc_u32_e32 v9, 0x588, v4
	ds_load_2addr_b32 v[1:2], v4 offset1:1
	ds_load_2addr_b32 v[5:6], v4 offset0:2 offset1:3
	v_add_nc_u32_e32 v11, 0x590, v4
	v_add_nc_u32_e32 v19, 0x5a0, v4
	ds_load_2addr_b32 v[7:8], v3 offset1:1
	v_add_nc_u32_e32 v3, 0x598, v4
	ds_load_2addr_b32 v[9:10], v9 offset1:1
	ds_load_2addr_b32 v[11:12], v11 offset1:1
	ds_load_2addr_b32 v[13:14], v4 offset0:4 offset1:5
	ds_load_2addr_b32 v[15:16], v4 offset0:6 offset1:7
	ds_load_2addr_b32 v[17:18], v3 offset1:1
	ds_load_2addr_b32 v[19:20], v19 offset1:1
	ds_load_2addr_b32 v[21:22], v4 offset0:8 offset1:9
	ds_load_b32 v3, v4 offset:1448
	ds_load_b32 v23, v4 offset:40
	s_waitcnt lgkmcnt(8)
	v_add_nc_u32_e32 v5, v5, v9
	v_add_nc_u32_e32 v6, v6, v10
	s_waitcnt lgkmcnt(4)
	v_add_nc_u32_e32 v9, v15, v17
	v_add_nc_u32_e32 v1, v1, v7
	;; [unrolled: 1-line block ×6, first 2 shown]
	s_waitcnt lgkmcnt(2)
	v_add_nc_u32_e32 v11, v21, v19
	v_add_nc_u32_e32 v12, v22, v20
	s_waitcnt lgkmcnt(0)
	v_add_nc_u32_e32 v3, v23, v3
	ds_store_2addr_b32 v4, v1, v2 offset1:1
	ds_store_2addr_b32 v4, v5, v6 offset0:2 offset1:3
	ds_store_2addr_b32 v4, v7, v8 offset0:4 offset1:5
	;; [unrolled: 1-line block ×4, first 2 shown]
	ds_store_b32 v4, v3 offset:40
.LBB2_49:
	s_or_b32 exec_lo, exec_lo, s0
	s_delay_alu instid0(SALU_CYCLE_1)
	s_mov_b32 s0, exec_lo
	s_waitcnt lgkmcnt(0)
	s_barrier
	buffer_gl0_inv
	v_cmpx_gt_u32_e32 16, v0
	s_cbranch_execz .LBB2_51
; %bb.50:
	ds_load_2addr_b32 v[1:2], v4 offset0:176 offset1:177
	ds_load_2addr_b32 v[5:6], v4 offset1:1
	ds_load_2addr_b32 v[7:8], v4 offset0:2 offset1:3
	ds_load_2addr_b32 v[9:10], v4 offset0:178 offset1:179
	ds_load_2addr_b32 v[11:12], v4 offset0:180 offset1:181
	ds_load_2addr_b32 v[13:14], v4 offset0:4 offset1:5
	ds_load_2addr_b32 v[15:16], v4 offset0:6 offset1:7
	ds_load_2addr_b32 v[17:18], v4 offset0:182 offset1:183
	ds_load_2addr_b32 v[19:20], v4 offset0:184 offset1:185
	ds_load_2addr_b32 v[21:22], v4 offset0:8 offset1:9
	ds_load_2addr_b32 v[23:24], v4 offset0:10 offset1:186
	s_waitcnt lgkmcnt(9)
	v_add_nc_u32_e32 v1, v5, v1
	v_add_nc_u32_e32 v2, v6, v2
	s_waitcnt lgkmcnt(7)
	v_add_nc_u32_e32 v3, v7, v9
	v_add_nc_u32_e32 v5, v8, v10
	s_waitcnt lgkmcnt(5)
	v_add_nc_u32_e32 v6, v13, v11
	v_add_nc_u32_e32 v7, v14, v12
	s_waitcnt lgkmcnt(3)
	v_add_nc_u32_e32 v8, v15, v17
	v_add_nc_u32_e32 v9, v16, v18
	s_waitcnt lgkmcnt(1)
	v_add_nc_u32_e32 v10, v21, v19
	v_add_nc_u32_e32 v11, v22, v20
	s_waitcnt lgkmcnt(0)
	v_add_nc_u32_e32 v12, v23, v24
	ds_store_2addr_b32 v4, v1, v2 offset1:1
	ds_store_2addr_b32 v4, v3, v5 offset0:2 offset1:3
	ds_store_2addr_b32 v4, v6, v7 offset0:4 offset1:5
	ds_store_2addr_b32 v4, v8, v9 offset0:6 offset1:7
	ds_store_2addr_b32 v4, v10, v11 offset0:8 offset1:9
	ds_store_b32 v4, v12 offset:40
.LBB2_51:
	s_or_b32 exec_lo, exec_lo, s0
	s_delay_alu instid0(SALU_CYCLE_1)
	s_mov_b32 s0, exec_lo
	s_waitcnt lgkmcnt(0)
	s_barrier
	buffer_gl0_inv
	v_cmpx_gt_u32_e32 8, v0
	s_cbranch_execz .LBB2_53
; %bb.52:
	ds_load_2addr_b32 v[1:2], v4 offset0:88 offset1:89
	ds_load_2addr_b32 v[5:6], v4 offset1:1
	ds_load_2addr_b32 v[7:8], v4 offset0:2 offset1:3
	ds_load_2addr_b32 v[9:10], v4 offset0:90 offset1:91
	ds_load_2addr_b32 v[11:12], v4 offset0:92 offset1:93
	ds_load_2addr_b32 v[13:14], v4 offset0:4 offset1:5
	ds_load_2addr_b32 v[15:16], v4 offset0:6 offset1:7
	ds_load_2addr_b32 v[17:18], v4 offset0:94 offset1:95
	ds_load_2addr_b32 v[19:20], v4 offset0:96 offset1:97
	ds_load_2addr_b32 v[21:22], v4 offset0:8 offset1:9
	ds_load_2addr_b32 v[23:24], v4 offset0:10 offset1:98
	s_waitcnt lgkmcnt(9)
	v_add_nc_u32_e32 v1, v5, v1
	v_add_nc_u32_e32 v2, v6, v2
	s_waitcnt lgkmcnt(7)
	v_add_nc_u32_e32 v3, v7, v9
	v_add_nc_u32_e32 v5, v8, v10
	s_waitcnt lgkmcnt(5)
	v_add_nc_u32_e32 v6, v13, v11
	v_add_nc_u32_e32 v7, v14, v12
	s_waitcnt lgkmcnt(3)
	v_add_nc_u32_e32 v8, v15, v17
	v_add_nc_u32_e32 v9, v16, v18
	s_waitcnt lgkmcnt(1)
	v_add_nc_u32_e32 v10, v21, v19
	v_add_nc_u32_e32 v11, v22, v20
	s_waitcnt lgkmcnt(0)
	v_add_nc_u32_e32 v12, v23, v24
	ds_store_2addr_b32 v4, v1, v2 offset1:1
	ds_store_2addr_b32 v4, v3, v5 offset0:2 offset1:3
	ds_store_2addr_b32 v4, v6, v7 offset0:4 offset1:5
	ds_store_2addr_b32 v4, v8, v9 offset0:6 offset1:7
	ds_store_2addr_b32 v4, v10, v11 offset0:8 offset1:9
	ds_store_b32 v4, v12 offset:40
.LBB2_53:
	;; [unrolled: 44-line block ×4, first 2 shown]
	s_or_b32 exec_lo, exec_lo, s0
	s_delay_alu instid0(SALU_CYCLE_1)
	s_mov_b32 s0, exec_lo
	s_waitcnt lgkmcnt(0)
	s_barrier
	buffer_gl0_inv
	v_cmpx_eq_u32_e32 0, v0
	s_cbranch_execz .LBB2_59
; %bb.58:
	v_mov_b32_e32 v23, 0
	ds_load_b128 v[1:4], v23
	ds_load_b128 v[5:8], v23 offset:32
	ds_load_b128 v[9:12], v23 offset:48
	;; [unrolled: 1-line block ×4, first 2 shown]
	ds_load_b64 v[21:22], v23 offset:80
	s_waitcnt lgkmcnt(4)
	v_add_nc_u32_e32 v1, v1, v8
	s_waitcnt lgkmcnt(3)
	v_add_nc_u32_e32 v2, v2, v9
	v_add_nc_u32_e32 v3, v3, v10
	;; [unrolled: 1-line block ×3, first 2 shown]
	s_waitcnt lgkmcnt(2)
	v_add_nc_u32_e32 v8, v13, v12
	s_waitcnt lgkmcnt(1)
	v_add_nc_u32_e32 v9, v14, v17
	v_add_nc_u32_e32 v10, v15, v18
	;; [unrolled: 1-line block ×4, first 2 shown]
	s_waitcnt lgkmcnt(0)
	v_add_nc_u32_e32 v6, v6, v21
	v_add_nc_u32_e32 v7, v7, v22
	ds_store_b128 v23, v[1:4]
	ds_store_b128 v23, v[8:11] offset:16
	ds_store_b96 v23, v[5:7] offset:32
.LBB2_59:
	s_or_b32 exec_lo, exec_lo, s0
	s_waitcnt lgkmcnt(0)
	s_barrier
	buffer_gl0_inv
	s_mov_b32 s0, exec_lo
	v_cmpx_gt_u32_e32 11, v0
	s_cbranch_execz .LBB2_61
; %bb.60:
	v_lshlrev_b32_e32 v3, 2, v0
	v_mad_u64_u32 v[1:2], null, s15, 11, v[0:1]
	v_mov_b32_e32 v2, 0
	ds_load_b32 v3, v3
	v_lshlrev_b64 v[0:1], 2, v[1:2]
	s_delay_alu instid0(VALU_DEP_1) | instskip(NEXT) | instid1(VALU_DEP_2)
	v_add_co_u32 v0, vcc_lo, s2, v0
	v_add_co_ci_u32_e32 v1, vcc_lo, s3, v1, vcc_lo
	s_waitcnt lgkmcnt(0)
	global_store_b32 v[0:1], v3, off
.LBB2_61:
	s_nop 0
	s_sendmsg sendmsg(MSG_DEALLOC_VGPRS)
	s_endpgm
	.section	.rodata,"a",@progbits
	.p2align	6, 0x0
	.amdhsa_kernel _ZN9rocsparseL26csrgemm_group_reduce_part2ILj256ELj11EfiiEEvT3_PKT2_PS1_Pij
		.amdhsa_group_segment_fixed_size 11264
		.amdhsa_private_segment_fixed_size 0
		.amdhsa_kernarg_size 296
		.amdhsa_user_sgpr_count 15
		.amdhsa_user_sgpr_dispatch_ptr 0
		.amdhsa_user_sgpr_queue_ptr 0
		.amdhsa_user_sgpr_kernarg_segment_ptr 1
		.amdhsa_user_sgpr_dispatch_id 0
		.amdhsa_user_sgpr_private_segment_size 0
		.amdhsa_wavefront_size32 1
		.amdhsa_uses_dynamic_stack 0
		.amdhsa_enable_private_segment 0
		.amdhsa_system_sgpr_workgroup_id_x 1
		.amdhsa_system_sgpr_workgroup_id_y 0
		.amdhsa_system_sgpr_workgroup_id_z 0
		.amdhsa_system_sgpr_workgroup_info 0
		.amdhsa_system_vgpr_workitem_id 0
		.amdhsa_next_free_vgpr 25
		.amdhsa_next_free_sgpr 26
		.amdhsa_reserve_vcc 1
		.amdhsa_float_round_mode_32 0
		.amdhsa_float_round_mode_16_64 0
		.amdhsa_float_denorm_mode_32 3
		.amdhsa_float_denorm_mode_16_64 3
		.amdhsa_dx10_clamp 1
		.amdhsa_ieee_mode 1
		.amdhsa_fp16_overflow 0
		.amdhsa_workgroup_processor_mode 1
		.amdhsa_memory_ordered 1
		.amdhsa_forward_progress 0
		.amdhsa_shared_vgpr_count 0
		.amdhsa_exception_fp_ieee_invalid_op 0
		.amdhsa_exception_fp_denorm_src 0
		.amdhsa_exception_fp_ieee_div_zero 0
		.amdhsa_exception_fp_ieee_overflow 0
		.amdhsa_exception_fp_ieee_underflow 0
		.amdhsa_exception_fp_ieee_inexact 0
		.amdhsa_exception_int_div_zero 0
	.end_amdhsa_kernel
	.section	.text._ZN9rocsparseL26csrgemm_group_reduce_part2ILj256ELj11EfiiEEvT3_PKT2_PS1_Pij,"axG",@progbits,_ZN9rocsparseL26csrgemm_group_reduce_part2ILj256ELj11EfiiEEvT3_PKT2_PS1_Pij,comdat
.Lfunc_end2:
	.size	_ZN9rocsparseL26csrgemm_group_reduce_part2ILj256ELj11EfiiEEvT3_PKT2_PS1_Pij, .Lfunc_end2-_ZN9rocsparseL26csrgemm_group_reduce_part2ILj256ELj11EfiiEEvT3_PKT2_PS1_Pij
                                        ; -- End function
	.section	.AMDGPU.csdata,"",@progbits
; Kernel info:
; codeLenInByte = 3292
; NumSgprs: 28
; NumVgprs: 25
; ScratchSize: 0
; MemoryBound: 0
; FloatMode: 240
; IeeeMode: 1
; LDSByteSize: 11264 bytes/workgroup (compile time only)
; SGPRBlocks: 3
; VGPRBlocks: 3
; NumSGPRsForWavesPerEU: 28
; NumVGPRsForWavesPerEU: 25
; Occupancy: 16
; WaveLimiterHint : 0
; COMPUTE_PGM_RSRC2:SCRATCH_EN: 0
; COMPUTE_PGM_RSRC2:USER_SGPR: 15
; COMPUTE_PGM_RSRC2:TRAP_HANDLER: 0
; COMPUTE_PGM_RSRC2:TGID_X_EN: 1
; COMPUTE_PGM_RSRC2:TGID_Y_EN: 0
; COMPUTE_PGM_RSRC2:TGID_Z_EN: 0
; COMPUTE_PGM_RSRC2:TIDIG_COMP_CNT: 0
	.section	.text._ZN9rocsparseL26csrgemm_group_reduce_part3ILj256ELj11EiEEvPT1_,"axG",@progbits,_ZN9rocsparseL26csrgemm_group_reduce_part3ILj256ELj11EiEEvPT1_,comdat
	.globl	_ZN9rocsparseL26csrgemm_group_reduce_part3ILj256ELj11EiEEvPT1_ ; -- Begin function _ZN9rocsparseL26csrgemm_group_reduce_part3ILj256ELj11EiEEvPT1_
	.p2align	8
	.type	_ZN9rocsparseL26csrgemm_group_reduce_part3ILj256ELj11EiEEvPT1_,@function
_ZN9rocsparseL26csrgemm_group_reduce_part3ILj256ELj11EiEEvPT1_: ; @_ZN9rocsparseL26csrgemm_group_reduce_part3ILj256ELj11EiEEvPT1_
; %bb.0:
	s_load_b64 s[2:3], s[0:1], 0x0
	v_lshlrev_b32_e32 v3, 2, v0
	v_or_b32_e32 v4, 0xffffff00, v0
	s_mov_b32 s1, 0
	s_waitcnt lgkmcnt(0)
	s_delay_alu instid0(VALU_DEP_2) | instskip(NEXT) | instid1(VALU_DEP_1)
	v_add_co_u32 v1, s0, s2, v3
	v_add_co_ci_u32_e64 v2, null, s3, 0, s0
	.p2align	6
.LBB3_1:                                ; =>This Inner Loop Header: Depth=1
	global_load_b32 v5, v[1:2], off
	v_add_nc_u32_e32 v4, 0x100, v4
	v_add_co_u32 v1, vcc_lo, 0x400, v1
	v_add_co_ci_u32_e32 v2, vcc_lo, 0, v2, vcc_lo
	s_delay_alu instid0(VALU_DEP_3) | instskip(NEXT) | instid1(VALU_DEP_1)
	v_cmp_lt_u32_e64 s0, 0x9ff, v4
	s_or_b32 s1, s0, s1
	s_waitcnt vmcnt(0)
	ds_store_b32 v3, v5
	v_add_nc_u32_e32 v3, 0x400, v3
	s_and_not1_b32 exec_lo, exec_lo, s1
	s_cbranch_execnz .LBB3_1
; %bb.2:
	s_or_b32 exec_lo, exec_lo, s1
	v_mul_u32_u24_e32 v1, 44, v0
	s_mov_b32 s0, exec_lo
	s_waitcnt lgkmcnt(0)
	s_barrier
	buffer_gl0_inv
	s_barrier
	buffer_gl0_inv
	;; [unrolled: 2-line block ×3, first 2 shown]
	v_cmpx_gt_u32_e32 0x80, v0
	s_cbranch_execz .LBB3_4
; %bb.3:
	v_mad_u32_u24 v8, v0, 44, 0x1600
	v_mad_u32_u24 v10, v0, 44, 0x1608
	;; [unrolled: 1-line block ×3, first 2 shown]
	ds_load_2addr_b32 v[2:3], v1 offset1:1
	ds_load_2addr_b32 v[4:5], v1 offset0:2 offset1:3
	ds_load_2addr_b32 v[6:7], v1 offset0:4 offset1:5
	v_mad_u32_u24 v14, v0, 44, 0x1618
	ds_load_2addr_b32 v[8:9], v8 offset1:1
	v_mad_u32_u24 v18, v0, 44, 0x1620
	ds_load_2addr_b32 v[10:11], v10 offset1:1
	ds_load_2addr_b32 v[12:13], v12 offset1:1
	;; [unrolled: 1-line block ×3, first 2 shown]
	v_add_nc_u32_e32 v22, 40, v1
	ds_load_2addr_b32 v[16:17], v1 offset0:6 offset1:7
	ds_load_2addr_b32 v[18:19], v18 offset1:1
	ds_load_2addr_b32 v[20:21], v1 offset0:8 offset1:9
	ds_load_2addr_stride64_b32 v[22:23], v22 offset1:22
	s_waitcnt lgkmcnt(6)
	v_add_nc_u32_e32 v4, v4, v10
	v_add_nc_u32_e32 v2, v2, v8
	;; [unrolled: 1-line block ×4, first 2 shown]
	s_waitcnt lgkmcnt(5)
	v_add_nc_u32_e32 v6, v6, v12
	v_add_nc_u32_e32 v7, v7, v13
	s_waitcnt lgkmcnt(3)
	v_add_nc_u32_e32 v8, v16, v14
	v_add_nc_u32_e32 v9, v17, v15
	;; [unrolled: 3-line block ×3, first 2 shown]
	s_waitcnt lgkmcnt(0)
	v_add_nc_u32_e32 v12, v22, v23
	ds_store_2addr_b32 v1, v2, v3 offset1:1
	ds_store_2addr_b32 v1, v4, v5 offset0:2 offset1:3
	ds_store_2addr_b32 v1, v6, v7 offset0:4 offset1:5
	;; [unrolled: 1-line block ×4, first 2 shown]
	ds_store_b32 v1, v12 offset:40
.LBB3_4:
	s_or_b32 exec_lo, exec_lo, s0
	s_delay_alu instid0(SALU_CYCLE_1)
	s_mov_b32 s0, exec_lo
	s_waitcnt lgkmcnt(0)
	s_barrier
	buffer_gl0_inv
	v_cmpx_gt_u32_e32 64, v0
	s_cbranch_execz .LBB3_6
; %bb.5:
	v_mad_u32_u24 v8, v0, 44, 0xb00
	v_mad_u32_u24 v10, v0, 44, 0xb08
	;; [unrolled: 1-line block ×3, first 2 shown]
	ds_load_2addr_b32 v[2:3], v1 offset1:1
	ds_load_2addr_b32 v[4:5], v1 offset0:2 offset1:3
	ds_load_2addr_b32 v[6:7], v1 offset0:4 offset1:5
	v_mad_u32_u24 v14, v0, 44, 0xb18
	ds_load_2addr_b32 v[8:9], v8 offset1:1
	v_mad_u32_u24 v18, v0, 44, 0xb20
	ds_load_2addr_b32 v[10:11], v10 offset1:1
	ds_load_2addr_b32 v[12:13], v12 offset1:1
	;; [unrolled: 1-line block ×3, first 2 shown]
	v_add_nc_u32_e32 v22, 40, v1
	ds_load_2addr_b32 v[16:17], v1 offset0:6 offset1:7
	ds_load_2addr_b32 v[18:19], v18 offset1:1
	ds_load_2addr_b32 v[20:21], v1 offset0:8 offset1:9
	ds_load_2addr_stride64_b32 v[22:23], v22 offset1:11
	s_waitcnt lgkmcnt(6)
	v_add_nc_u32_e32 v4, v4, v10
	v_add_nc_u32_e32 v2, v2, v8
	;; [unrolled: 1-line block ×4, first 2 shown]
	s_waitcnt lgkmcnt(5)
	v_add_nc_u32_e32 v6, v6, v12
	v_add_nc_u32_e32 v7, v7, v13
	s_waitcnt lgkmcnt(3)
	v_add_nc_u32_e32 v8, v16, v14
	v_add_nc_u32_e32 v9, v17, v15
	;; [unrolled: 3-line block ×3, first 2 shown]
	s_waitcnt lgkmcnt(0)
	v_add_nc_u32_e32 v12, v22, v23
	ds_store_2addr_b32 v1, v2, v3 offset1:1
	ds_store_2addr_b32 v1, v4, v5 offset0:2 offset1:3
	ds_store_2addr_b32 v1, v6, v7 offset0:4 offset1:5
	;; [unrolled: 1-line block ×4, first 2 shown]
	ds_store_b32 v1, v12 offset:40
.LBB3_6:
	s_or_b32 exec_lo, exec_lo, s0
	s_delay_alu instid0(SALU_CYCLE_1)
	s_mov_b32 s0, exec_lo
	s_waitcnt lgkmcnt(0)
	s_barrier
	buffer_gl0_inv
	v_cmpx_gt_u32_e32 32, v0
	s_cbranch_execz .LBB3_8
; %bb.7:
	v_mad_u32_u24 v2, v0, 44, 0x580
	v_mad_u32_u24 v12, v0, 44, 0x590
	;; [unrolled: 1-line block ×5, first 2 shown]
	ds_load_2addr_b32 v[2:3], v2 offset1:1
	ds_load_b32 v22, v1 offset:1448
	ds_load_b32 v23, v1 offset:40
	ds_load_2addr_b32 v[4:5], v1 offset1:1
	ds_load_2addr_b32 v[6:7], v1 offset0:2 offset1:3
	ds_load_2addr_b32 v[8:9], v1 offset0:4 offset1:5
	ds_load_2addr_b32 v[10:11], v10 offset1:1
	ds_load_2addr_b32 v[12:13], v12 offset1:1
	;; [unrolled: 1-line block ×3, first 2 shown]
	ds_load_2addr_b32 v[16:17], v1 offset0:6 offset1:7
	ds_load_2addr_b32 v[18:19], v1 offset0:8 offset1:9
	ds_load_2addr_b32 v[20:21], v20 offset1:1
	s_waitcnt lgkmcnt(9)
	v_add_nc_u32_e32 v22, v23, v22
	s_waitcnt lgkmcnt(8)
	v_add_nc_u32_e32 v2, v4, v2
	v_add_nc_u32_e32 v3, v5, v3
	s_waitcnt lgkmcnt(5)
	v_add_nc_u32_e32 v4, v6, v10
	;; [unrolled: 3-line block ×5, first 2 shown]
	v_add_nc_u32_e32 v11, v19, v21
	ds_store_2addr_b32 v1, v2, v3 offset1:1
	ds_store_2addr_b32 v1, v4, v5 offset0:2 offset1:3
	ds_store_2addr_b32 v1, v6, v7 offset0:4 offset1:5
	;; [unrolled: 1-line block ×4, first 2 shown]
	ds_store_b32 v1, v22 offset:40
.LBB3_8:
	s_or_b32 exec_lo, exec_lo, s0
	s_delay_alu instid0(SALU_CYCLE_1)
	s_mov_b32 s0, exec_lo
	s_waitcnt lgkmcnt(0)
	s_barrier
	buffer_gl0_inv
	v_cmpx_gt_u32_e32 16, v0
	s_cbranch_execz .LBB3_10
; %bb.9:
	ds_load_2addr_b32 v[2:3], v1 offset0:176 offset1:177
	ds_load_2addr_b32 v[4:5], v1 offset1:1
	ds_load_2addr_b32 v[6:7], v1 offset0:2 offset1:3
	ds_load_2addr_b32 v[8:9], v1 offset0:178 offset1:179
	ds_load_2addr_b32 v[10:11], v1 offset0:180 offset1:181
	ds_load_2addr_b32 v[12:13], v1 offset0:4 offset1:5
	ds_load_2addr_b32 v[14:15], v1 offset0:6 offset1:7
	ds_load_2addr_b32 v[16:17], v1 offset0:182 offset1:183
	ds_load_2addr_b32 v[18:19], v1 offset0:184 offset1:185
	ds_load_2addr_b32 v[20:21], v1 offset0:8 offset1:9
	ds_load_2addr_b32 v[22:23], v1 offset0:10 offset1:186
	s_waitcnt lgkmcnt(9)
	v_add_nc_u32_e32 v2, v4, v2
	v_add_nc_u32_e32 v3, v5, v3
	s_waitcnt lgkmcnt(7)
	v_add_nc_u32_e32 v4, v6, v8
	v_add_nc_u32_e32 v5, v7, v9
	s_waitcnt lgkmcnt(5)
	v_add_nc_u32_e32 v6, v12, v10
	v_add_nc_u32_e32 v7, v13, v11
	s_waitcnt lgkmcnt(3)
	v_add_nc_u32_e32 v8, v14, v16
	v_add_nc_u32_e32 v9, v15, v17
	s_waitcnt lgkmcnt(1)
	v_add_nc_u32_e32 v10, v20, v18
	v_add_nc_u32_e32 v11, v21, v19
	s_waitcnt lgkmcnt(0)
	v_add_nc_u32_e32 v12, v22, v23
	ds_store_2addr_b32 v1, v2, v3 offset1:1
	ds_store_2addr_b32 v1, v4, v5 offset0:2 offset1:3
	ds_store_2addr_b32 v1, v6, v7 offset0:4 offset1:5
	ds_store_2addr_b32 v1, v8, v9 offset0:6 offset1:7
	ds_store_2addr_b32 v1, v10, v11 offset0:8 offset1:9
	ds_store_b32 v1, v12 offset:40
.LBB3_10:
	s_or_b32 exec_lo, exec_lo, s0
	s_delay_alu instid0(SALU_CYCLE_1)
	s_mov_b32 s0, exec_lo
	s_waitcnt lgkmcnt(0)
	s_barrier
	buffer_gl0_inv
	v_cmpx_gt_u32_e32 8, v0
	s_cbranch_execz .LBB3_12
; %bb.11:
	ds_load_2addr_b32 v[2:3], v1 offset0:88 offset1:89
	ds_load_2addr_b32 v[4:5], v1 offset1:1
	ds_load_2addr_b32 v[6:7], v1 offset0:2 offset1:3
	ds_load_2addr_b32 v[8:9], v1 offset0:90 offset1:91
	ds_load_2addr_b32 v[10:11], v1 offset0:92 offset1:93
	ds_load_2addr_b32 v[12:13], v1 offset0:4 offset1:5
	ds_load_2addr_b32 v[14:15], v1 offset0:6 offset1:7
	ds_load_2addr_b32 v[16:17], v1 offset0:94 offset1:95
	ds_load_2addr_b32 v[18:19], v1 offset0:96 offset1:97
	ds_load_2addr_b32 v[20:21], v1 offset0:8 offset1:9
	ds_load_2addr_b32 v[22:23], v1 offset0:10 offset1:98
	s_waitcnt lgkmcnt(9)
	v_add_nc_u32_e32 v2, v4, v2
	v_add_nc_u32_e32 v3, v5, v3
	s_waitcnt lgkmcnt(7)
	v_add_nc_u32_e32 v4, v6, v8
	v_add_nc_u32_e32 v5, v7, v9
	s_waitcnt lgkmcnt(5)
	v_add_nc_u32_e32 v6, v12, v10
	v_add_nc_u32_e32 v7, v13, v11
	s_waitcnt lgkmcnt(3)
	v_add_nc_u32_e32 v8, v14, v16
	v_add_nc_u32_e32 v9, v15, v17
	s_waitcnt lgkmcnt(1)
	v_add_nc_u32_e32 v10, v20, v18
	v_add_nc_u32_e32 v11, v21, v19
	s_waitcnt lgkmcnt(0)
	v_add_nc_u32_e32 v12, v22, v23
	ds_store_2addr_b32 v1, v2, v3 offset1:1
	ds_store_2addr_b32 v1, v4, v5 offset0:2 offset1:3
	ds_store_2addr_b32 v1, v6, v7 offset0:4 offset1:5
	ds_store_2addr_b32 v1, v8, v9 offset0:6 offset1:7
	ds_store_2addr_b32 v1, v10, v11 offset0:8 offset1:9
	ds_store_b32 v1, v12 offset:40
.LBB3_12:
	;; [unrolled: 44-line block ×3, first 2 shown]
	s_or_b32 exec_lo, exec_lo, s0
	s_delay_alu instid0(SALU_CYCLE_1)
	s_mov_b32 s0, exec_lo
	s_waitcnt lgkmcnt(0)
	s_barrier
	buffer_gl0_inv
	v_cmpx_gt_u32_e32 2, v0
	s_cbranch_execz .LBB3_16
; %bb.15:
	v_mul_u32_u24_e32 v1, 11, v0
	s_delay_alu instid0(VALU_DEP_1)
	v_lshlrev_b32_e32 v23, 2, v1
	ds_load_2addr_b32 v[1:2], v23 offset0:22 offset1:23
	ds_load_2addr_b32 v[3:4], v23 offset1:1
	ds_load_2addr_b32 v[5:6], v23 offset0:2 offset1:3
	ds_load_2addr_b32 v[7:8], v23 offset0:24 offset1:25
	;; [unrolled: 1-line block ×9, first 2 shown]
	s_waitcnt lgkmcnt(9)
	v_add_nc_u32_e32 v1, v3, v1
	v_add_nc_u32_e32 v2, v4, v2
	s_waitcnt lgkmcnt(7)
	v_add_nc_u32_e32 v3, v5, v7
	v_add_nc_u32_e32 v4, v6, v8
	;; [unrolled: 3-line block ×5, first 2 shown]
	s_waitcnt lgkmcnt(0)
	v_add_nc_u32_e32 v11, v21, v22
	ds_store_2addr_b32 v23, v1, v2 offset1:1
	ds_store_2addr_b32 v23, v3, v4 offset0:2 offset1:3
	ds_store_2addr_b32 v23, v5, v6 offset0:4 offset1:5
	;; [unrolled: 1-line block ×4, first 2 shown]
	ds_store_b32 v23, v11 offset:40
.LBB3_16:
	s_or_b32 exec_lo, exec_lo, s0
	s_delay_alu instid0(SALU_CYCLE_1)
	s_mov_b32 s0, exec_lo
	s_waitcnt lgkmcnt(0)
	s_barrier
	buffer_gl0_inv
	v_cmpx_eq_u32_e32 0, v0
	s_cbranch_execz .LBB3_18
; %bb.17:
	v_mov_b32_e32 v23, 0
	ds_load_b128 v[1:4], v23
	ds_load_b128 v[5:8], v23 offset:32
	ds_load_b128 v[9:12], v23 offset:48
	;; [unrolled: 1-line block ×4, first 2 shown]
	ds_load_b64 v[21:22], v23 offset:80
	s_waitcnt lgkmcnt(4)
	v_add_nc_u32_e32 v1, v1, v8
	s_waitcnt lgkmcnt(3)
	v_add_nc_u32_e32 v2, v2, v9
	v_add_nc_u32_e32 v3, v3, v10
	;; [unrolled: 1-line block ×3, first 2 shown]
	s_waitcnt lgkmcnt(2)
	v_add_nc_u32_e32 v8, v13, v12
	s_waitcnt lgkmcnt(1)
	v_add_nc_u32_e32 v9, v14, v17
	v_add_nc_u32_e32 v10, v15, v18
	;; [unrolled: 1-line block ×4, first 2 shown]
	s_waitcnt lgkmcnt(0)
	v_add_nc_u32_e32 v6, v6, v21
	v_add_nc_u32_e32 v7, v7, v22
	ds_store_b128 v23, v[1:4]
	ds_store_b128 v23, v[8:11] offset:16
	ds_store_b96 v23, v[5:7] offset:32
.LBB3_18:
	s_or_b32 exec_lo, exec_lo, s0
	s_waitcnt lgkmcnt(0)
	s_barrier
	buffer_gl0_inv
	s_mov_b32 s0, exec_lo
	v_cmpx_gt_u32_e32 11, v0
	s_cbranch_execz .LBB3_20
; %bb.19:
	v_lshlrev_b32_e32 v0, 2, v0
	ds_load_b32 v1, v0
	s_waitcnt lgkmcnt(0)
	global_store_b32 v0, v1, s[2:3]
.LBB3_20:
	s_nop 0
	s_sendmsg sendmsg(MSG_DEALLOC_VGPRS)
	s_endpgm
	.section	.rodata,"a",@progbits
	.p2align	6, 0x0
	.amdhsa_kernel _ZN9rocsparseL26csrgemm_group_reduce_part3ILj256ELj11EiEEvPT1_
		.amdhsa_group_segment_fixed_size 11264
		.amdhsa_private_segment_fixed_size 0
		.amdhsa_kernarg_size 8
		.amdhsa_user_sgpr_count 15
		.amdhsa_user_sgpr_dispatch_ptr 0
		.amdhsa_user_sgpr_queue_ptr 0
		.amdhsa_user_sgpr_kernarg_segment_ptr 1
		.amdhsa_user_sgpr_dispatch_id 0
		.amdhsa_user_sgpr_private_segment_size 0
		.amdhsa_wavefront_size32 1
		.amdhsa_uses_dynamic_stack 0
		.amdhsa_enable_private_segment 0
		.amdhsa_system_sgpr_workgroup_id_x 1
		.amdhsa_system_sgpr_workgroup_id_y 0
		.amdhsa_system_sgpr_workgroup_id_z 0
		.amdhsa_system_sgpr_workgroup_info 0
		.amdhsa_system_vgpr_workitem_id 0
		.amdhsa_next_free_vgpr 24
		.amdhsa_next_free_sgpr 4
		.amdhsa_reserve_vcc 1
		.amdhsa_float_round_mode_32 0
		.amdhsa_float_round_mode_16_64 0
		.amdhsa_float_denorm_mode_32 3
		.amdhsa_float_denorm_mode_16_64 3
		.amdhsa_dx10_clamp 1
		.amdhsa_ieee_mode 1
		.amdhsa_fp16_overflow 0
		.amdhsa_workgroup_processor_mode 1
		.amdhsa_memory_ordered 1
		.amdhsa_forward_progress 0
		.amdhsa_shared_vgpr_count 0
		.amdhsa_exception_fp_ieee_invalid_op 0
		.amdhsa_exception_fp_denorm_src 0
		.amdhsa_exception_fp_ieee_div_zero 0
		.amdhsa_exception_fp_ieee_overflow 0
		.amdhsa_exception_fp_ieee_underflow 0
		.amdhsa_exception_fp_ieee_inexact 0
		.amdhsa_exception_int_div_zero 0
	.end_amdhsa_kernel
	.section	.text._ZN9rocsparseL26csrgemm_group_reduce_part3ILj256ELj11EiEEvPT1_,"axG",@progbits,_ZN9rocsparseL26csrgemm_group_reduce_part3ILj256ELj11EiEEvPT1_,comdat
.Lfunc_end3:
	.size	_ZN9rocsparseL26csrgemm_group_reduce_part3ILj256ELj11EiEEvPT1_, .Lfunc_end3-_ZN9rocsparseL26csrgemm_group_reduce_part3ILj256ELj11EiEEvPT1_
                                        ; -- End function
	.section	.AMDGPU.csdata,"",@progbits
; Kernel info:
; codeLenInByte = 2280
; NumSgprs: 6
; NumVgprs: 24
; ScratchSize: 0
; MemoryBound: 0
; FloatMode: 240
; IeeeMode: 1
; LDSByteSize: 11264 bytes/workgroup (compile time only)
; SGPRBlocks: 0
; VGPRBlocks: 2
; NumSGPRsForWavesPerEU: 6
; NumVGPRsForWavesPerEU: 24
; Occupancy: 16
; WaveLimiterHint : 0
; COMPUTE_PGM_RSRC2:SCRATCH_EN: 0
; COMPUTE_PGM_RSRC2:USER_SGPR: 15
; COMPUTE_PGM_RSRC2:TRAP_HANDLER: 0
; COMPUTE_PGM_RSRC2:TGID_X_EN: 1
; COMPUTE_PGM_RSRC2:TGID_Y_EN: 0
; COMPUTE_PGM_RSRC2:TGID_Z_EN: 0
; COMPUTE_PGM_RSRC2:TIDIG_COMP_CNT: 0
	.section	.text._ZN9rocsparseL23csrgemm_fill_wf_per_rowILj256ELj8ELj16ELj137EiifEEvT4_S1_PKS1_S3_NS_24const_host_device_scalarIT5_EEPKT3_S3_PKS5_S9_S3_SB_S6_S9_S3_SB_S9_PS1_PS5_21rocsparse_index_base_SE_SE_SE_bbb,"axG",@progbits,_ZN9rocsparseL23csrgemm_fill_wf_per_rowILj256ELj8ELj16ELj137EiifEEvT4_S1_PKS1_S3_NS_24const_host_device_scalarIT5_EEPKT3_S3_PKS5_S9_S3_SB_S6_S9_S3_SB_S9_PS1_PS5_21rocsparse_index_base_SE_SE_SE_bbb,comdat
	.globl	_ZN9rocsparseL23csrgemm_fill_wf_per_rowILj256ELj8ELj16ELj137EiifEEvT4_S1_PKS1_S3_NS_24const_host_device_scalarIT5_EEPKT3_S3_PKS5_S9_S3_SB_S6_S9_S3_SB_S9_PS1_PS5_21rocsparse_index_base_SE_SE_SE_bbb ; -- Begin function _ZN9rocsparseL23csrgemm_fill_wf_per_rowILj256ELj8ELj16ELj137EiifEEvT4_S1_PKS1_S3_NS_24const_host_device_scalarIT5_EEPKT3_S3_PKS5_S9_S3_SB_S6_S9_S3_SB_S9_PS1_PS5_21rocsparse_index_base_SE_SE_SE_bbb
	.p2align	8
	.type	_ZN9rocsparseL23csrgemm_fill_wf_per_rowILj256ELj8ELj16ELj137EiifEEvT4_S1_PKS1_S3_NS_24const_host_device_scalarIT5_EEPKT3_S3_PKS5_S9_S3_SB_S6_S9_S3_SB_S9_PS1_PS5_21rocsparse_index_base_SE_SE_SE_bbb,@function
_ZN9rocsparseL23csrgemm_fill_wf_per_rowILj256ELj8ELj16ELj137EiifEEvT4_S1_PKS1_S3_NS_24const_host_device_scalarIT5_EEPKT3_S3_PKS5_S9_S3_SB_S6_S9_S3_SB_S9_PS1_PS5_21rocsparse_index_base_SE_SE_SE_bbb: ; @_ZN9rocsparseL23csrgemm_fill_wf_per_rowILj256ELj8ELj16ELj137EiifEEvT4_S1_PKS1_S3_NS_24const_host_device_scalarIT5_EEPKT3_S3_PKS5_S9_S3_SB_S6_S9_S3_SB_S9_PS1_PS5_21rocsparse_index_base_SE_SE_SE_bbb
; %bb.0:
	s_clause 0x3
	s_load_b32 s12, s[0:1], 0x98
	s_load_b128 s[24:27], s[0:1], 0x88
	s_load_b64 s[4:5], s[0:1], 0x18
	s_load_b64 s[2:3], s[0:1], 0x50
	s_waitcnt lgkmcnt(0)
	s_bitcmp1_b32 s12, 0
	s_cselect_b32 s13, -1, 0
	s_bitcmp1_b32 s12, 16
	s_cselect_b32 s14, -1, 0
	s_xor_b32 s6, s13, -1
	s_delay_alu instid0(SALU_CYCLE_1) | instskip(NEXT) | instid1(SALU_CYCLE_1)
	s_or_b32 s6, s6, s14
	s_and_b32 vcc_lo, exec_lo, s6
	s_cbranch_vccnz .LBB4_2
; %bb.1:
	s_load_b32 s4, s[4:5], 0x0
	s_waitcnt lgkmcnt(0)
	v_mov_b32_e32 v12, s4
	s_branch .LBB4_3
.LBB4_2:
	v_cndmask_b32_e64 v12, 0, s4, s13
.LBB4_3:
	s_clause 0x4
	s_load_b128 s[28:31], s[0:1], 0x78
	s_load_b256 s[4:11], s[0:1], 0x58
	s_load_b128 s[36:39], s[0:1], 0x40
	s_load_b128 s[40:43], s[0:1], 0x8
	s_load_b256 s[16:23], s[0:1], 0x20
	s_bitcmp1_b32 s12, 8
	s_cselect_b32 s12, -1, 0
	s_delay_alu instid0(SALU_CYCLE_1) | instskip(NEXT) | instid1(SALU_CYCLE_1)
	s_xor_b32 s33, s12, -1
	s_or_b32 s14, s33, s14
	s_delay_alu instid0(SALU_CYCLE_1)
	s_and_b32 vcc_lo, exec_lo, s14
	s_cbranch_vccnz .LBB4_5
; %bb.4:
	s_load_b32 s2, s[2:3], 0x0
	s_waitcnt lgkmcnt(0)
	v_mov_b32_e32 v10, s2
	s_branch .LBB4_6
.LBB4_5:
	v_cndmask_b32_e64 v10, 0, s2, s12
.LBB4_6:
	s_load_b64 s[0:1], s[0:1], 0x0
	v_and_b32_e32 v13, 7, v0
	v_lshrrev_b32_e32 v2, 3, v0
	s_mov_b32 s2, 0
	s_delay_alu instid0(VALU_DEP_2) | instskip(NEXT) | instid1(VALU_DEP_1)
	v_lshlrev_b32_e32 v0, 2, v13
	v_lshl_or_b32 v7, v2, 6, v0
	v_mov_b32_e32 v0, 0
	v_or_b32_e32 v8, -8, v13
	s_delay_alu instid0(VALU_DEP_1)
	v_dual_mov_b32 v1, v7 :: v_dual_mov_b32 v4, v8
	s_waitcnt lgkmcnt(0)
	v_mov_b32_e32 v3, s1
.LBB4_7:                                ; =>This Inner Loop Header: Depth=1
	s_delay_alu instid0(VALU_DEP_2) | instskip(NEXT) | instid1(VALU_DEP_1)
	v_add_co_u32 v4, s3, v4, 8
	s_xor_b32 s3, s3, -1
	ds_store_2addr_stride64_b32 v1, v0, v3 offset1:8
	v_add_nc_u32_e32 v1, 32, v1
	s_and_b32 s3, exec_lo, s3
	s_delay_alu instid0(SALU_CYCLE_1) | instskip(NEXT) | instid1(SALU_CYCLE_1)
	s_or_b32 s2, s3, s2
	s_and_not1_b32 exec_lo, exec_lo, s2
	s_cbranch_execnz .LBB4_7
; %bb.8:
	s_or_b32 exec_lo, exec_lo, s2
	s_lshl_b32 s2, s15, 5
	s_waitcnt lgkmcnt(0)
	buffer_gl0_inv
	v_and_or_b32 v0, 0x1fffffe0, s2, v2
	s_delay_alu instid0(VALU_DEP_1)
	v_cmp_gt_i32_e32 vcc_lo, s0, v0
	s_and_saveexec_b32 s0, vcc_lo
	s_cbranch_execz .LBB4_52
; %bb.9:
	s_cmp_eq_u64 s[42:43], 0
	s_cbranch_scc1 .LBB4_11
; %bb.10:
	s_load_b32 s0, s[40:41], 0x0
	s_waitcnt lgkmcnt(0)
	v_add_nc_u32_e32 v0, s0, v0
	s_delay_alu instid0(VALU_DEP_1) | instskip(NEXT) | instid1(VALU_DEP_1)
	v_ashrrev_i32_e32 v1, 31, v0
	v_lshlrev_b64 v[0:1], 2, v[0:1]
	s_delay_alu instid0(VALU_DEP_1) | instskip(NEXT) | instid1(VALU_DEP_2)
	v_add_co_u32 v0, vcc_lo, s42, v0
	v_add_co_ci_u32_e32 v1, vcc_lo, s43, v1, vcc_lo
	global_load_b32 v0, v[0:1], off
.LBB4_11:
	s_waitcnt vmcnt(0)
	v_ashrrev_i32_e32 v1, 31, v0
	v_lshlrev_b32_e32 v11, 6, v2
	s_and_not1_b32 vcc_lo, exec_lo, s13
	s_delay_alu instid0(VALU_DEP_2) | instskip(NEXT) | instid1(VALU_DEP_2)
	v_lshlrev_b64 v[0:1], 2, v[0:1]
	v_or_b32_e32 v9, 0x800, v11
	s_cbranch_vccnz .LBB4_31
; %bb.12:
	s_delay_alu instid0(VALU_DEP_2) | instskip(NEXT) | instid1(VALU_DEP_3)
	v_add_co_u32 v2, vcc_lo, s16, v0
	v_add_co_ci_u32_e32 v3, vcc_lo, s17, v1, vcc_lo
	v_subrev_nc_u32_e32 v4, s24, v13
	s_mov_b32 s0, exec_lo
	global_load_b64 v[2:3], v[2:3], off
	s_waitcnt vmcnt(0)
	v_subrev_nc_u32_e32 v14, s24, v3
	v_add_nc_u32_e32 v2, v2, v4
	s_delay_alu instid0(VALU_DEP_1)
	v_cmpx_lt_i32_e64 v2, v14
	s_cbranch_execz .LBB4_30
; %bb.13:
	s_mov_b32 s2, 0
	s_branch .LBB4_15
.LBB4_14:                               ;   in Loop: Header=BB4_15 Depth=1
	s_or_b32 exec_lo, exec_lo, s3
	v_add_nc_u32_e32 v2, 8, v2
	s_delay_alu instid0(VALU_DEP_1) | instskip(SKIP_1) | instid1(SALU_CYCLE_1)
	v_cmp_ge_i32_e32 vcc_lo, v2, v14
	s_or_b32 s2, vcc_lo, s2
	s_and_not1_b32 exec_lo, exec_lo, s2
	s_cbranch_execz .LBB4_30
.LBB4_15:                               ; =>This Loop Header: Depth=1
                                        ;     Child Loop BB4_18 Depth 2
                                        ;       Child Loop BB4_20 Depth 3
	v_ashrrev_i32_e32 v3, 31, v2
	s_mov_b32 s3, exec_lo
	s_delay_alu instid0(VALU_DEP_1) | instskip(NEXT) | instid1(VALU_DEP_1)
	v_lshlrev_b64 v[3:4], 2, v[2:3]
	v_add_co_u32 v5, vcc_lo, s18, v3
	s_delay_alu instid0(VALU_DEP_2) | instskip(SKIP_3) | instid1(VALU_DEP_1)
	v_add_co_ci_u32_e32 v6, vcc_lo, s19, v4, vcc_lo
	global_load_b32 v5, v[5:6], off
	s_waitcnt vmcnt(0)
	v_subrev_nc_u32_e32 v5, s24, v5
	v_ashrrev_i32_e32 v6, 31, v5
	s_delay_alu instid0(VALU_DEP_1) | instskip(NEXT) | instid1(VALU_DEP_1)
	v_lshlrev_b64 v[5:6], 2, v[5:6]
	v_add_co_u32 v5, vcc_lo, s22, v5
	s_delay_alu instid0(VALU_DEP_2)
	v_add_co_ci_u32_e32 v6, vcc_lo, s23, v6, vcc_lo
	global_load_b64 v[5:6], v[5:6], off
	s_waitcnt vmcnt(0)
	v_cmpx_lt_i32_e64 v5, v6
	s_cbranch_execz .LBB4_14
; %bb.16:                               ;   in Loop: Header=BB4_15 Depth=1
	v_add_co_u32 v3, vcc_lo, s20, v3
	v_add_co_ci_u32_e32 v4, vcc_lo, s21, v4, vcc_lo
	v_subrev_nc_u32_e32 v6, s25, v6
	s_mov_b32 s13, 0
	global_load_b32 v3, v[3:4], off
	s_waitcnt vmcnt(0)
	v_mul_f32_e32 v15, v12, v3
	v_subrev_nc_u32_e32 v3, s25, v5
	s_branch .LBB4_18
.LBB4_17:                               ;   in Loop: Header=BB4_18 Depth=2
	s_or_b32 exec_lo, exec_lo, s14
	v_add_nc_u32_e32 v3, 1, v3
	s_delay_alu instid0(VALU_DEP_1) | instskip(SKIP_1) | instid1(SALU_CYCLE_1)
	v_cmp_ge_i32_e32 vcc_lo, v3, v6
	s_or_b32 s13, vcc_lo, s13
	s_and_not1_b32 exec_lo, exec_lo, s13
	s_cbranch_execz .LBB4_14
.LBB4_18:                               ;   Parent Loop BB4_15 Depth=1
                                        ; =>  This Loop Header: Depth=2
                                        ;       Child Loop BB4_20 Depth 3
	s_delay_alu instid0(VALU_DEP_1) | instskip(SKIP_1) | instid1(VALU_DEP_1)
	v_ashrrev_i32_e32 v4, 31, v3
	s_mov_b32 s14, 0
	v_lshlrev_b64 v[4:5], 2, v[3:4]
	s_delay_alu instid0(VALU_DEP_1) | instskip(NEXT) | instid1(VALU_DEP_2)
	v_add_co_u32 v16, vcc_lo, s36, v4
	v_add_co_ci_u32_e32 v17, vcc_lo, s37, v5, vcc_lo
	v_add_co_u32 v4, vcc_lo, s38, v4
	v_add_co_ci_u32_e32 v5, vcc_lo, s39, v5, vcc_lo
	global_load_b32 v16, v[16:17], off
	global_load_b32 v5, v[4:5], off
	s_waitcnt vmcnt(1)
	v_subrev_nc_u32_e32 v4, s25, v16
	s_delay_alu instid0(VALU_DEP_1) | instskip(SKIP_1) | instid1(VALU_DEP_1)
	v_lshl_add_u32 v16, v4, 3, v4
	s_waitcnt vmcnt(0)
	v_dual_mul_f32 v5, v15, v5 :: v_dual_and_b32 v16, 15, v16
	s_branch .LBB4_20
.LBB4_19:                               ;   in Loop: Header=BB4_20 Depth=3
	s_or_b32 exec_lo, exec_lo, s15
	s_xor_b32 s15, s16, -1
	s_delay_alu instid0(SALU_CYCLE_1) | instskip(NEXT) | instid1(SALU_CYCLE_1)
	s_and_b32 s15, exec_lo, s15
	s_or_b32 s14, s15, s14
	s_delay_alu instid0(SALU_CYCLE_1)
	s_and_not1_b32 exec_lo, exec_lo, s14
	s_cbranch_execz .LBB4_17
.LBB4_20:                               ;   Parent Loop BB4_15 Depth=1
                                        ;     Parent Loop BB4_18 Depth=2
                                        ; =>    This Inner Loop Header: Depth=3
	s_delay_alu instid0(VALU_DEP_1)
	v_lshl_add_u32 v17, v16, 2, v9
	s_mov_b32 s15, exec_lo
                                        ; implicit-def: $sgpr16
	ds_load_b32 v18, v17
	s_waitcnt lgkmcnt(0)
	v_cmpx_ne_u32_e64 v18, v4
	s_xor_b32 s15, exec_lo, s15
	s_cbranch_execz .LBB4_28
; %bb.21:                               ;   in Loop: Header=BB4_20 Depth=3
	s_mov_b32 s17, exec_lo
                                        ; implicit-def: $sgpr16
	v_cmpx_ne_u32_e64 s1, v18
	s_xor_b32 s17, exec_lo, s17
; %bb.22:                               ;   in Loop: Header=BB4_20 Depth=3
	v_add_nc_u32_e32 v16, 1, v16
	s_mov_b32 s16, -1
                                        ; implicit-def: $vgpr17
	s_delay_alu instid0(VALU_DEP_1)
	v_and_b32_e32 v16, 15, v16
; %bb.23:                               ;   in Loop: Header=BB4_20 Depth=3
	s_and_not1_saveexec_b32 s17, s17
	s_cbranch_execz .LBB4_27
; %bb.24:                               ;   in Loop: Header=BB4_20 Depth=3
	v_mov_b32_e32 v18, s1
	s_mov_b32 s33, -1
	s_mov_b32 s34, exec_lo
	ds_cmpstore_rtn_b32 v17, v17, v4, v18
	s_waitcnt lgkmcnt(0)
	v_cmpx_eq_u32_e64 s1, v17
	s_cbranch_execz .LBB4_26
; %bb.25:                               ;   in Loop: Header=BB4_20 Depth=3
	v_lshl_add_u32 v17, v16, 2, v11
	s_xor_b32 s33, exec_lo, -1
	ds_add_f32 v17, v5
.LBB4_26:                               ;   in Loop: Header=BB4_20 Depth=3
	s_or_b32 exec_lo, exec_lo, s34
	s_delay_alu instid0(SALU_CYCLE_1) | instskip(SKIP_1) | instid1(SALU_CYCLE_1)
	s_and_not1_b32 s16, s16, exec_lo
	s_and_b32 s33, s33, exec_lo
	s_or_b32 s16, s16, s33
.LBB4_27:                               ;   in Loop: Header=BB4_20 Depth=3
	s_or_b32 exec_lo, exec_lo, s17
	s_delay_alu instid0(SALU_CYCLE_1)
	s_and_b32 s16, s16, exec_lo
.LBB4_28:                               ;   in Loop: Header=BB4_20 Depth=3
	s_and_not1_saveexec_b32 s15, s15
	s_cbranch_execz .LBB4_19
; %bb.29:                               ;   in Loop: Header=BB4_20 Depth=3
	v_lshl_add_u32 v17, v16, 2, v11
	s_and_not1_b32 s16, s16, exec_lo
	ds_add_f32 v17, v5
	s_branch .LBB4_19
.LBB4_30:
	s_or_b32 exec_lo, exec_lo, s0
.LBB4_31:
	s_delay_alu instid0(SALU_CYCLE_1)
	s_and_not1_b32 vcc_lo, exec_lo, s12
	s_cbranch_vccnz .LBB4_48
; %bb.32:
	s_delay_alu instid0(VALU_DEP_2)
	v_add_co_u32 v2, vcc_lo, s4, v0
	v_add_co_ci_u32_e32 v3, vcc_lo, s5, v1, vcc_lo
	v_subrev_nc_u32_e32 v5, s27, v13
	s_mov_b32 s0, exec_lo
	global_load_b64 v[2:3], v[2:3], off
	s_waitcnt vmcnt(0)
	v_subrev_nc_u32_e32 v4, s27, v3
	v_add_nc_u32_e32 v2, v2, v5
	s_delay_alu instid0(VALU_DEP_1)
	v_cmpx_lt_i32_e64 v2, v4
	s_cbranch_execz .LBB4_47
; %bb.33:
	s_mov_b32 s2, 0
	s_branch .LBB4_35
.LBB4_34:                               ;   in Loop: Header=BB4_35 Depth=1
	s_or_b32 exec_lo, exec_lo, s3
	v_add_nc_u32_e32 v2, 8, v2
	s_delay_alu instid0(VALU_DEP_1) | instskip(SKIP_1) | instid1(SALU_CYCLE_1)
	v_cmp_ge_i32_e32 vcc_lo, v2, v4
	s_or_b32 s2, vcc_lo, s2
	s_and_not1_b32 exec_lo, exec_lo, s2
	s_cbranch_execz .LBB4_47
.LBB4_35:                               ; =>This Loop Header: Depth=1
                                        ;     Child Loop BB4_37 Depth 2
	v_ashrrev_i32_e32 v3, 31, v2
	s_mov_b32 s3, 0
	s_delay_alu instid0(VALU_DEP_1) | instskip(NEXT) | instid1(VALU_DEP_1)
	v_lshlrev_b64 v[5:6], 2, v[2:3]
	v_add_co_u32 v12, vcc_lo, s6, v5
	s_delay_alu instid0(VALU_DEP_2)
	v_add_co_ci_u32_e32 v13, vcc_lo, s7, v6, vcc_lo
	v_add_co_u32 v5, vcc_lo, s8, v5
	v_add_co_ci_u32_e32 v6, vcc_lo, s9, v6, vcc_lo
	global_load_b32 v3, v[12:13], off
	global_load_b32 v5, v[5:6], off
	s_waitcnt vmcnt(1)
	v_subrev_nc_u32_e32 v3, s27, v3
	s_delay_alu instid0(VALU_DEP_1) | instskip(SKIP_1) | instid1(VALU_DEP_1)
	v_lshl_add_u32 v6, v3, 3, v3
	s_waitcnt vmcnt(0)
	v_dual_mul_f32 v5, v10, v5 :: v_dual_and_b32 v6, 15, v6
	s_branch .LBB4_37
.LBB4_36:                               ;   in Loop: Header=BB4_37 Depth=2
	s_or_b32 exec_lo, exec_lo, s4
	s_xor_b32 s4, s5, -1
	s_delay_alu instid0(SALU_CYCLE_1) | instskip(NEXT) | instid1(SALU_CYCLE_1)
	s_and_b32 s4, exec_lo, s4
	s_or_b32 s3, s4, s3
	s_delay_alu instid0(SALU_CYCLE_1)
	s_and_not1_b32 exec_lo, exec_lo, s3
	s_cbranch_execz .LBB4_34
.LBB4_37:                               ;   Parent Loop BB4_35 Depth=1
                                        ; =>  This Inner Loop Header: Depth=2
	s_delay_alu instid0(VALU_DEP_1)
	v_lshl_add_u32 v12, v6, 2, v9
	s_mov_b32 s4, exec_lo
                                        ; implicit-def: $sgpr5
	ds_load_b32 v13, v12
	s_waitcnt lgkmcnt(0)
	v_cmpx_ne_u32_e64 v13, v3
	s_xor_b32 s4, exec_lo, s4
	s_cbranch_execz .LBB4_45
; %bb.38:                               ;   in Loop: Header=BB4_37 Depth=2
	s_mov_b32 s12, exec_lo
                                        ; implicit-def: $sgpr5
	v_cmpx_ne_u32_e64 s1, v13
	s_xor_b32 s12, exec_lo, s12
; %bb.39:                               ;   in Loop: Header=BB4_37 Depth=2
	v_add_nc_u32_e32 v6, 1, v6
	s_mov_b32 s5, -1
                                        ; implicit-def: $vgpr12
	s_delay_alu instid0(VALU_DEP_1)
	v_and_b32_e32 v6, 15, v6
; %bb.40:                               ;   in Loop: Header=BB4_37 Depth=2
	s_and_not1_saveexec_b32 s12, s12
	s_cbranch_execz .LBB4_44
; %bb.41:                               ;   in Loop: Header=BB4_37 Depth=2
	v_mov_b32_e32 v13, s1
	s_mov_b32 s13, -1
	s_mov_b32 s14, exec_lo
	ds_cmpstore_rtn_b32 v12, v12, v3, v13
	s_waitcnt lgkmcnt(0)
	v_cmpx_eq_u32_e64 s1, v12
	s_cbranch_execz .LBB4_43
; %bb.42:                               ;   in Loop: Header=BB4_37 Depth=2
	v_lshl_add_u32 v12, v6, 2, v11
	s_xor_b32 s13, exec_lo, -1
	ds_add_f32 v12, v5
.LBB4_43:                               ;   in Loop: Header=BB4_37 Depth=2
	s_or_b32 exec_lo, exec_lo, s14
	s_delay_alu instid0(SALU_CYCLE_1) | instskip(SKIP_1) | instid1(SALU_CYCLE_1)
	s_and_not1_b32 s5, s5, exec_lo
	s_and_b32 s13, s13, exec_lo
	s_or_b32 s5, s5, s13
.LBB4_44:                               ;   in Loop: Header=BB4_37 Depth=2
	s_or_b32 exec_lo, exec_lo, s12
	s_delay_alu instid0(SALU_CYCLE_1)
	s_and_b32 s5, s5, exec_lo
.LBB4_45:                               ;   in Loop: Header=BB4_37 Depth=2
	s_and_not1_saveexec_b32 s4, s4
	s_cbranch_execz .LBB4_36
; %bb.46:                               ;   in Loop: Header=BB4_37 Depth=2
	v_lshl_add_u32 v12, v6, 2, v11
	s_and_not1_b32 s5, s5, exec_lo
	ds_add_f32 v12, v5
	s_branch .LBB4_36
.LBB4_47:
	s_or_b32 exec_lo, exec_lo, s0
.LBB4_48:
	s_delay_alu instid0(VALU_DEP_2)
	v_add_co_u32 v0, vcc_lo, s10, v0
	v_add_co_ci_u32_e32 v1, vcc_lo, s11, v1, vcc_lo
	s_waitcnt lgkmcnt(0)
	buffer_gl0_inv
	s_mov_b32 s0, 0
	global_load_b32 v0, v[0:1], off
	s_waitcnt vmcnt(0)
	v_subrev_nc_u32_e32 v0, s26, v0
	s_branch .LBB4_50
.LBB4_49:                               ;   in Loop: Header=BB4_50 Depth=1
	s_or_b32 exec_lo, exec_lo, s2
	v_add_co_u32 v8, s2, v8, 8
	s_delay_alu instid0(VALU_DEP_1) | instskip(SKIP_2) | instid1(SALU_CYCLE_1)
	s_xor_b32 s2, s2, -1
	v_add_nc_u32_e32 v7, 32, v7
	s_and_b32 s2, exec_lo, s2
	s_or_b32 s0, s2, s0
	s_delay_alu instid0(SALU_CYCLE_1)
	s_and_not1_b32 exec_lo, exec_lo, s0
	s_cbranch_execz .LBB4_52
.LBB4_50:                               ; =>This Inner Loop Header: Depth=1
	ds_load_b32 v1, v7 offset:2048
	s_mov_b32 s2, exec_lo
	s_waitcnt lgkmcnt(0)
	v_cmpx_gt_i32_e64 s1, v1
	s_cbranch_execz .LBB4_49
; %bb.51:                               ;   in Loop: Header=BB4_50 Depth=1
	ds_load_b128 v[2:5], v9
	ds_load_b128 v[10:13], v9 offset:16
	ds_load_b128 v[14:17], v9 offset:32
	;; [unrolled: 1-line block ×3, first 2 shown]
	ds_load_b32 v6, v7
	s_waitcnt lgkmcnt(4)
	v_cmp_gt_i32_e32 vcc_lo, v1, v2
	v_cndmask_b32_e64 v2, 0, 1, vcc_lo
	v_cmp_gt_i32_e32 vcc_lo, v1, v4
	v_cndmask_b32_e64 v4, 0, 1, vcc_lo
	v_cmp_gt_i32_e32 vcc_lo, v1, v3
	s_delay_alu instid0(VALU_DEP_4)
	v_add_co_ci_u32_e32 v2, vcc_lo, v0, v2, vcc_lo
	s_waitcnt lgkmcnt(3)
	v_cmp_gt_i32_e32 vcc_lo, v1, v10
	v_add_nc_u32_e32 v10, s26, v1
	v_cndmask_b32_e64 v3, 0, 1, vcc_lo
	v_cmp_gt_i32_e32 vcc_lo, v1, v5
	v_add_co_ci_u32_e32 v2, vcc_lo, v2, v4, vcc_lo
	v_cmp_gt_i32_e32 vcc_lo, v1, v12
	v_cndmask_b32_e64 v4, 0, 1, vcc_lo
	v_cmp_gt_i32_e32 vcc_lo, v1, v11
	s_delay_alu instid0(VALU_DEP_4)
	v_add_co_ci_u32_e32 v2, vcc_lo, v2, v3, vcc_lo
	s_waitcnt lgkmcnt(2)
	v_cmp_gt_i32_e32 vcc_lo, v1, v14
	v_cndmask_b32_e64 v3, 0, 1, vcc_lo
	v_cmp_gt_i32_e32 vcc_lo, v1, v13
	v_add_co_ci_u32_e32 v2, vcc_lo, v2, v4, vcc_lo
	v_cmp_gt_i32_e32 vcc_lo, v1, v16
	v_cndmask_b32_e64 v4, 0, 1, vcc_lo
	v_cmp_gt_i32_e32 vcc_lo, v1, v15
	s_delay_alu instid0(VALU_DEP_4)
	v_add_co_ci_u32_e32 v2, vcc_lo, v2, v3, vcc_lo
	s_waitcnt lgkmcnt(1)
	v_cmp_gt_i32_e32 vcc_lo, v1, v18
	v_cndmask_b32_e64 v3, 0, 1, vcc_lo
	v_cmp_gt_i32_e32 vcc_lo, v1, v17
	v_add_co_ci_u32_e32 v2, vcc_lo, v2, v4, vcc_lo
	v_cmp_gt_i32_e32 vcc_lo, v1, v20
	v_cndmask_b32_e64 v4, 0, 1, vcc_lo
	v_cmp_gt_i32_e32 vcc_lo, v1, v19
	s_delay_alu instid0(VALU_DEP_4) | instskip(SKIP_1) | instid1(VALU_DEP_2)
	v_add_co_ci_u32_e32 v2, vcc_lo, v2, v3, vcc_lo
	v_cmp_gt_i32_e32 vcc_lo, v1, v21
	v_add_co_ci_u32_e32 v2, vcc_lo, v2, v4, vcc_lo
	s_delay_alu instid0(VALU_DEP_1) | instskip(NEXT) | instid1(VALU_DEP_1)
	v_ashrrev_i32_e32 v3, 31, v2
	v_lshlrev_b64 v[2:3], 2, v[2:3]
	s_delay_alu instid0(VALU_DEP_1) | instskip(NEXT) | instid1(VALU_DEP_2)
	v_add_co_u32 v4, vcc_lo, s28, v2
	v_add_co_ci_u32_e32 v5, vcc_lo, s29, v3, vcc_lo
	v_add_co_u32 v1, vcc_lo, s30, v2
	v_add_co_ci_u32_e32 v2, vcc_lo, s31, v3, vcc_lo
	global_store_b32 v[4:5], v10, off
	s_waitcnt lgkmcnt(0)
	global_store_b32 v[1:2], v6, off
	s_branch .LBB4_49
.LBB4_52:
	s_nop 0
	s_sendmsg sendmsg(MSG_DEALLOC_VGPRS)
	s_endpgm
	.section	.rodata,"a",@progbits
	.p2align	6, 0x0
	.amdhsa_kernel _ZN9rocsparseL23csrgemm_fill_wf_per_rowILj256ELj8ELj16ELj137EiifEEvT4_S1_PKS1_S3_NS_24const_host_device_scalarIT5_EEPKT3_S3_PKS5_S9_S3_SB_S6_S9_S3_SB_S9_PS1_PS5_21rocsparse_index_base_SE_SE_SE_bbb
		.amdhsa_group_segment_fixed_size 4096
		.amdhsa_private_segment_fixed_size 0
		.amdhsa_kernarg_size 156
		.amdhsa_user_sgpr_count 15
		.amdhsa_user_sgpr_dispatch_ptr 0
		.amdhsa_user_sgpr_queue_ptr 0
		.amdhsa_user_sgpr_kernarg_segment_ptr 1
		.amdhsa_user_sgpr_dispatch_id 0
		.amdhsa_user_sgpr_private_segment_size 0
		.amdhsa_wavefront_size32 1
		.amdhsa_uses_dynamic_stack 0
		.amdhsa_enable_private_segment 0
		.amdhsa_system_sgpr_workgroup_id_x 1
		.amdhsa_system_sgpr_workgroup_id_y 0
		.amdhsa_system_sgpr_workgroup_id_z 0
		.amdhsa_system_sgpr_workgroup_info 0
		.amdhsa_system_vgpr_workitem_id 0
		.amdhsa_next_free_vgpr 22
		.amdhsa_next_free_sgpr 44
		.amdhsa_reserve_vcc 1
		.amdhsa_float_round_mode_32 0
		.amdhsa_float_round_mode_16_64 0
		.amdhsa_float_denorm_mode_32 3
		.amdhsa_float_denorm_mode_16_64 3
		.amdhsa_dx10_clamp 1
		.amdhsa_ieee_mode 1
		.amdhsa_fp16_overflow 0
		.amdhsa_workgroup_processor_mode 1
		.amdhsa_memory_ordered 1
		.amdhsa_forward_progress 0
		.amdhsa_shared_vgpr_count 0
		.amdhsa_exception_fp_ieee_invalid_op 0
		.amdhsa_exception_fp_denorm_src 0
		.amdhsa_exception_fp_ieee_div_zero 0
		.amdhsa_exception_fp_ieee_overflow 0
		.amdhsa_exception_fp_ieee_underflow 0
		.amdhsa_exception_fp_ieee_inexact 0
		.amdhsa_exception_int_div_zero 0
	.end_amdhsa_kernel
	.section	.text._ZN9rocsparseL23csrgemm_fill_wf_per_rowILj256ELj8ELj16ELj137EiifEEvT4_S1_PKS1_S3_NS_24const_host_device_scalarIT5_EEPKT3_S3_PKS5_S9_S3_SB_S6_S9_S3_SB_S9_PS1_PS5_21rocsparse_index_base_SE_SE_SE_bbb,"axG",@progbits,_ZN9rocsparseL23csrgemm_fill_wf_per_rowILj256ELj8ELj16ELj137EiifEEvT4_S1_PKS1_S3_NS_24const_host_device_scalarIT5_EEPKT3_S3_PKS5_S9_S3_SB_S6_S9_S3_SB_S9_PS1_PS5_21rocsparse_index_base_SE_SE_SE_bbb,comdat
.Lfunc_end4:
	.size	_ZN9rocsparseL23csrgemm_fill_wf_per_rowILj256ELj8ELj16ELj137EiifEEvT4_S1_PKS1_S3_NS_24const_host_device_scalarIT5_EEPKT3_S3_PKS5_S9_S3_SB_S6_S9_S3_SB_S9_PS1_PS5_21rocsparse_index_base_SE_SE_SE_bbb, .Lfunc_end4-_ZN9rocsparseL23csrgemm_fill_wf_per_rowILj256ELj8ELj16ELj137EiifEEvT4_S1_PKS1_S3_NS_24const_host_device_scalarIT5_EEPKT3_S3_PKS5_S9_S3_SB_S6_S9_S3_SB_S9_PS1_PS5_21rocsparse_index_base_SE_SE_SE_bbb
                                        ; -- End function
	.section	.AMDGPU.csdata,"",@progbits
; Kernel info:
; codeLenInByte = 1976
; NumSgprs: 46
; NumVgprs: 22
; ScratchSize: 0
; MemoryBound: 0
; FloatMode: 240
; IeeeMode: 1
; LDSByteSize: 4096 bytes/workgroup (compile time only)
; SGPRBlocks: 5
; VGPRBlocks: 2
; NumSGPRsForWavesPerEU: 46
; NumVGPRsForWavesPerEU: 22
; Occupancy: 16
; WaveLimiterHint : 1
; COMPUTE_PGM_RSRC2:SCRATCH_EN: 0
; COMPUTE_PGM_RSRC2:USER_SGPR: 15
; COMPUTE_PGM_RSRC2:TRAP_HANDLER: 0
; COMPUTE_PGM_RSRC2:TGID_X_EN: 1
; COMPUTE_PGM_RSRC2:TGID_Y_EN: 0
; COMPUTE_PGM_RSRC2:TGID_Z_EN: 0
; COMPUTE_PGM_RSRC2:TIDIG_COMP_CNT: 0
	.section	.text._ZN9rocsparseL23csrgemm_fill_wf_per_rowILj256ELj16ELj32ELj137EiifEEvT4_S1_PKS1_S3_NS_24const_host_device_scalarIT5_EEPKT3_S3_PKS5_S9_S3_SB_S6_S9_S3_SB_S9_PS1_PS5_21rocsparse_index_base_SE_SE_SE_bbb,"axG",@progbits,_ZN9rocsparseL23csrgemm_fill_wf_per_rowILj256ELj16ELj32ELj137EiifEEvT4_S1_PKS1_S3_NS_24const_host_device_scalarIT5_EEPKT3_S3_PKS5_S9_S3_SB_S6_S9_S3_SB_S9_PS1_PS5_21rocsparse_index_base_SE_SE_SE_bbb,comdat
	.globl	_ZN9rocsparseL23csrgemm_fill_wf_per_rowILj256ELj16ELj32ELj137EiifEEvT4_S1_PKS1_S3_NS_24const_host_device_scalarIT5_EEPKT3_S3_PKS5_S9_S3_SB_S6_S9_S3_SB_S9_PS1_PS5_21rocsparse_index_base_SE_SE_SE_bbb ; -- Begin function _ZN9rocsparseL23csrgemm_fill_wf_per_rowILj256ELj16ELj32ELj137EiifEEvT4_S1_PKS1_S3_NS_24const_host_device_scalarIT5_EEPKT3_S3_PKS5_S9_S3_SB_S6_S9_S3_SB_S9_PS1_PS5_21rocsparse_index_base_SE_SE_SE_bbb
	.p2align	8
	.type	_ZN9rocsparseL23csrgemm_fill_wf_per_rowILj256ELj16ELj32ELj137EiifEEvT4_S1_PKS1_S3_NS_24const_host_device_scalarIT5_EEPKT3_S3_PKS5_S9_S3_SB_S6_S9_S3_SB_S9_PS1_PS5_21rocsparse_index_base_SE_SE_SE_bbb,@function
_ZN9rocsparseL23csrgemm_fill_wf_per_rowILj256ELj16ELj32ELj137EiifEEvT4_S1_PKS1_S3_NS_24const_host_device_scalarIT5_EEPKT3_S3_PKS5_S9_S3_SB_S6_S9_S3_SB_S9_PS1_PS5_21rocsparse_index_base_SE_SE_SE_bbb: ; @_ZN9rocsparseL23csrgemm_fill_wf_per_rowILj256ELj16ELj32ELj137EiifEEvT4_S1_PKS1_S3_NS_24const_host_device_scalarIT5_EEPKT3_S3_PKS5_S9_S3_SB_S6_S9_S3_SB_S9_PS1_PS5_21rocsparse_index_base_SE_SE_SE_bbb
; %bb.0:
	s_clause 0x3
	s_load_b32 s12, s[0:1], 0x98
	s_load_b128 s[24:27], s[0:1], 0x88
	s_load_b64 s[4:5], s[0:1], 0x18
	s_load_b64 s[2:3], s[0:1], 0x50
	s_waitcnt lgkmcnt(0)
	s_bitcmp1_b32 s12, 0
	s_cselect_b32 s13, -1, 0
	s_bitcmp1_b32 s12, 16
	s_cselect_b32 s14, -1, 0
	s_xor_b32 s6, s13, -1
	s_delay_alu instid0(SALU_CYCLE_1) | instskip(NEXT) | instid1(SALU_CYCLE_1)
	s_or_b32 s6, s6, s14
	s_and_b32 vcc_lo, exec_lo, s6
	s_cbranch_vccnz .LBB5_2
; %bb.1:
	s_load_b32 s4, s[4:5], 0x0
	s_waitcnt lgkmcnt(0)
	v_mov_b32_e32 v12, s4
	s_branch .LBB5_3
.LBB5_2:
	v_cndmask_b32_e64 v12, 0, s4, s13
.LBB5_3:
	s_clause 0x4
	s_load_b128 s[28:31], s[0:1], 0x78
	s_load_b256 s[4:11], s[0:1], 0x58
	s_load_b128 s[36:39], s[0:1], 0x40
	s_load_b128 s[40:43], s[0:1], 0x8
	s_load_b256 s[16:23], s[0:1], 0x20
	s_bitcmp1_b32 s12, 8
	s_cselect_b32 s12, -1, 0
	s_delay_alu instid0(SALU_CYCLE_1) | instskip(NEXT) | instid1(SALU_CYCLE_1)
	s_xor_b32 s33, s12, -1
	s_or_b32 s14, s33, s14
	s_delay_alu instid0(SALU_CYCLE_1)
	s_and_b32 vcc_lo, exec_lo, s14
	s_cbranch_vccnz .LBB5_5
; %bb.4:
	s_load_b32 s2, s[2:3], 0x0
	s_waitcnt lgkmcnt(0)
	v_mov_b32_e32 v10, s2
	s_branch .LBB5_6
.LBB5_5:
	v_cndmask_b32_e64 v10, 0, s2, s12
.LBB5_6:
	s_load_b64 s[0:1], s[0:1], 0x0
	v_and_b32_e32 v13, 15, v0
	v_lshrrev_b32_e32 v2, 4, v0
	s_mov_b32 s2, 0
	s_delay_alu instid0(VALU_DEP_2) | instskip(NEXT) | instid1(VALU_DEP_1)
	v_lshlrev_b32_e32 v0, 2, v13
	v_lshl_or_b32 v7, v2, 7, v0
	v_mov_b32_e32 v0, 0
	v_or_b32_e32 v8, -16, v13
	s_delay_alu instid0(VALU_DEP_1)
	v_dual_mov_b32 v1, v7 :: v_dual_mov_b32 v4, v8
	s_waitcnt lgkmcnt(0)
	v_mov_b32_e32 v3, s1
.LBB5_7:                                ; =>This Inner Loop Header: Depth=1
	s_delay_alu instid0(VALU_DEP_2) | instskip(NEXT) | instid1(VALU_DEP_1)
	v_add_co_u32 v4, s3, v4, 16
	s_xor_b32 s3, s3, -1
	ds_store_2addr_stride64_b32 v1, v0, v3 offset1:8
	v_add_nc_u32_e32 v1, 64, v1
	s_and_b32 s3, exec_lo, s3
	s_delay_alu instid0(SALU_CYCLE_1) | instskip(NEXT) | instid1(SALU_CYCLE_1)
	s_or_b32 s2, s3, s2
	s_and_not1_b32 exec_lo, exec_lo, s2
	s_cbranch_execnz .LBB5_7
; %bb.8:
	s_or_b32 exec_lo, exec_lo, s2
	s_lshl_b32 s2, s15, 4
	s_waitcnt lgkmcnt(0)
	buffer_gl0_inv
	v_and_or_b32 v0, 0xffffff0, s2, v2
	s_delay_alu instid0(VALU_DEP_1)
	v_cmp_gt_i32_e32 vcc_lo, s0, v0
	s_and_saveexec_b32 s0, vcc_lo
	s_cbranch_execz .LBB5_52
; %bb.9:
	s_cmp_eq_u64 s[42:43], 0
	s_cbranch_scc1 .LBB5_11
; %bb.10:
	s_load_b32 s0, s[40:41], 0x0
	s_waitcnt lgkmcnt(0)
	v_add_nc_u32_e32 v0, s0, v0
	s_delay_alu instid0(VALU_DEP_1) | instskip(NEXT) | instid1(VALU_DEP_1)
	v_ashrrev_i32_e32 v1, 31, v0
	v_lshlrev_b64 v[0:1], 2, v[0:1]
	s_delay_alu instid0(VALU_DEP_1) | instskip(NEXT) | instid1(VALU_DEP_2)
	v_add_co_u32 v0, vcc_lo, s42, v0
	v_add_co_ci_u32_e32 v1, vcc_lo, s43, v1, vcc_lo
	global_load_b32 v0, v[0:1], off
.LBB5_11:
	s_waitcnt vmcnt(0)
	v_ashrrev_i32_e32 v1, 31, v0
	v_lshlrev_b32_e32 v11, 7, v2
	s_and_not1_b32 vcc_lo, exec_lo, s13
	s_delay_alu instid0(VALU_DEP_2) | instskip(NEXT) | instid1(VALU_DEP_2)
	v_lshlrev_b64 v[0:1], 2, v[0:1]
	v_or_b32_e32 v9, 0x800, v11
	s_cbranch_vccnz .LBB5_31
; %bb.12:
	s_delay_alu instid0(VALU_DEP_2) | instskip(NEXT) | instid1(VALU_DEP_3)
	v_add_co_u32 v2, vcc_lo, s16, v0
	v_add_co_ci_u32_e32 v3, vcc_lo, s17, v1, vcc_lo
	v_subrev_nc_u32_e32 v4, s24, v13
	s_mov_b32 s0, exec_lo
	global_load_b64 v[2:3], v[2:3], off
	s_waitcnt vmcnt(0)
	v_subrev_nc_u32_e32 v14, s24, v3
	v_add_nc_u32_e32 v2, v2, v4
	s_delay_alu instid0(VALU_DEP_1)
	v_cmpx_lt_i32_e64 v2, v14
	s_cbranch_execz .LBB5_30
; %bb.13:
	s_mov_b32 s2, 0
	s_branch .LBB5_15
.LBB5_14:                               ;   in Loop: Header=BB5_15 Depth=1
	s_or_b32 exec_lo, exec_lo, s3
	v_add_nc_u32_e32 v2, 16, v2
	s_delay_alu instid0(VALU_DEP_1) | instskip(SKIP_1) | instid1(SALU_CYCLE_1)
	v_cmp_ge_i32_e32 vcc_lo, v2, v14
	s_or_b32 s2, vcc_lo, s2
	s_and_not1_b32 exec_lo, exec_lo, s2
	s_cbranch_execz .LBB5_30
.LBB5_15:                               ; =>This Loop Header: Depth=1
                                        ;     Child Loop BB5_18 Depth 2
                                        ;       Child Loop BB5_20 Depth 3
	v_ashrrev_i32_e32 v3, 31, v2
	s_mov_b32 s3, exec_lo
	s_delay_alu instid0(VALU_DEP_1) | instskip(NEXT) | instid1(VALU_DEP_1)
	v_lshlrev_b64 v[3:4], 2, v[2:3]
	v_add_co_u32 v5, vcc_lo, s18, v3
	s_delay_alu instid0(VALU_DEP_2) | instskip(SKIP_3) | instid1(VALU_DEP_1)
	v_add_co_ci_u32_e32 v6, vcc_lo, s19, v4, vcc_lo
	global_load_b32 v5, v[5:6], off
	s_waitcnt vmcnt(0)
	v_subrev_nc_u32_e32 v5, s24, v5
	v_ashrrev_i32_e32 v6, 31, v5
	s_delay_alu instid0(VALU_DEP_1) | instskip(NEXT) | instid1(VALU_DEP_1)
	v_lshlrev_b64 v[5:6], 2, v[5:6]
	v_add_co_u32 v5, vcc_lo, s22, v5
	s_delay_alu instid0(VALU_DEP_2)
	v_add_co_ci_u32_e32 v6, vcc_lo, s23, v6, vcc_lo
	global_load_b64 v[5:6], v[5:6], off
	s_waitcnt vmcnt(0)
	v_cmpx_lt_i32_e64 v5, v6
	s_cbranch_execz .LBB5_14
; %bb.16:                               ;   in Loop: Header=BB5_15 Depth=1
	v_add_co_u32 v3, vcc_lo, s20, v3
	v_add_co_ci_u32_e32 v4, vcc_lo, s21, v4, vcc_lo
	v_subrev_nc_u32_e32 v6, s25, v6
	s_mov_b32 s13, 0
	global_load_b32 v3, v[3:4], off
	s_waitcnt vmcnt(0)
	v_mul_f32_e32 v15, v12, v3
	v_subrev_nc_u32_e32 v3, s25, v5
	s_branch .LBB5_18
.LBB5_17:                               ;   in Loop: Header=BB5_18 Depth=2
	s_or_b32 exec_lo, exec_lo, s14
	v_add_nc_u32_e32 v3, 1, v3
	s_delay_alu instid0(VALU_DEP_1) | instskip(SKIP_1) | instid1(SALU_CYCLE_1)
	v_cmp_ge_i32_e32 vcc_lo, v3, v6
	s_or_b32 s13, vcc_lo, s13
	s_and_not1_b32 exec_lo, exec_lo, s13
	s_cbranch_execz .LBB5_14
.LBB5_18:                               ;   Parent Loop BB5_15 Depth=1
                                        ; =>  This Loop Header: Depth=2
                                        ;       Child Loop BB5_20 Depth 3
	s_delay_alu instid0(VALU_DEP_1) | instskip(SKIP_1) | instid1(VALU_DEP_1)
	v_ashrrev_i32_e32 v4, 31, v3
	s_mov_b32 s14, 0
	v_lshlrev_b64 v[4:5], 2, v[3:4]
	s_delay_alu instid0(VALU_DEP_1) | instskip(NEXT) | instid1(VALU_DEP_2)
	v_add_co_u32 v16, vcc_lo, s36, v4
	v_add_co_ci_u32_e32 v17, vcc_lo, s37, v5, vcc_lo
	v_add_co_u32 v4, vcc_lo, s38, v4
	v_add_co_ci_u32_e32 v5, vcc_lo, s39, v5, vcc_lo
	global_load_b32 v16, v[16:17], off
	global_load_b32 v5, v[4:5], off
	s_waitcnt vmcnt(1)
	v_subrev_nc_u32_e32 v4, s25, v16
	s_delay_alu instid0(VALU_DEP_1) | instskip(SKIP_1) | instid1(VALU_DEP_1)
	v_lshl_add_u32 v16, v4, 3, v4
	s_waitcnt vmcnt(0)
	v_dual_mul_f32 v5, v15, v5 :: v_dual_and_b32 v16, 31, v16
	s_branch .LBB5_20
.LBB5_19:                               ;   in Loop: Header=BB5_20 Depth=3
	s_or_b32 exec_lo, exec_lo, s15
	s_xor_b32 s15, s16, -1
	s_delay_alu instid0(SALU_CYCLE_1) | instskip(NEXT) | instid1(SALU_CYCLE_1)
	s_and_b32 s15, exec_lo, s15
	s_or_b32 s14, s15, s14
	s_delay_alu instid0(SALU_CYCLE_1)
	s_and_not1_b32 exec_lo, exec_lo, s14
	s_cbranch_execz .LBB5_17
.LBB5_20:                               ;   Parent Loop BB5_15 Depth=1
                                        ;     Parent Loop BB5_18 Depth=2
                                        ; =>    This Inner Loop Header: Depth=3
	s_delay_alu instid0(VALU_DEP_1)
	v_lshl_add_u32 v17, v16, 2, v9
	s_mov_b32 s15, exec_lo
                                        ; implicit-def: $sgpr16
	ds_load_b32 v18, v17
	s_waitcnt lgkmcnt(0)
	v_cmpx_ne_u32_e64 v18, v4
	s_xor_b32 s15, exec_lo, s15
	s_cbranch_execz .LBB5_28
; %bb.21:                               ;   in Loop: Header=BB5_20 Depth=3
	s_mov_b32 s17, exec_lo
                                        ; implicit-def: $sgpr16
	v_cmpx_ne_u32_e64 s1, v18
	s_xor_b32 s17, exec_lo, s17
; %bb.22:                               ;   in Loop: Header=BB5_20 Depth=3
	v_add_nc_u32_e32 v16, 1, v16
	s_mov_b32 s16, -1
                                        ; implicit-def: $vgpr17
	s_delay_alu instid0(VALU_DEP_1)
	v_and_b32_e32 v16, 31, v16
; %bb.23:                               ;   in Loop: Header=BB5_20 Depth=3
	s_and_not1_saveexec_b32 s17, s17
	s_cbranch_execz .LBB5_27
; %bb.24:                               ;   in Loop: Header=BB5_20 Depth=3
	v_mov_b32_e32 v18, s1
	s_mov_b32 s33, -1
	s_mov_b32 s34, exec_lo
	ds_cmpstore_rtn_b32 v17, v17, v4, v18
	s_waitcnt lgkmcnt(0)
	v_cmpx_eq_u32_e64 s1, v17
	s_cbranch_execz .LBB5_26
; %bb.25:                               ;   in Loop: Header=BB5_20 Depth=3
	v_lshl_add_u32 v17, v16, 2, v11
	s_xor_b32 s33, exec_lo, -1
	ds_add_f32 v17, v5
.LBB5_26:                               ;   in Loop: Header=BB5_20 Depth=3
	s_or_b32 exec_lo, exec_lo, s34
	s_delay_alu instid0(SALU_CYCLE_1) | instskip(SKIP_1) | instid1(SALU_CYCLE_1)
	s_and_not1_b32 s16, s16, exec_lo
	s_and_b32 s33, s33, exec_lo
	s_or_b32 s16, s16, s33
.LBB5_27:                               ;   in Loop: Header=BB5_20 Depth=3
	s_or_b32 exec_lo, exec_lo, s17
	s_delay_alu instid0(SALU_CYCLE_1)
	s_and_b32 s16, s16, exec_lo
.LBB5_28:                               ;   in Loop: Header=BB5_20 Depth=3
	s_and_not1_saveexec_b32 s15, s15
	s_cbranch_execz .LBB5_19
; %bb.29:                               ;   in Loop: Header=BB5_20 Depth=3
	v_lshl_add_u32 v17, v16, 2, v11
	s_and_not1_b32 s16, s16, exec_lo
	ds_add_f32 v17, v5
	s_branch .LBB5_19
.LBB5_30:
	s_or_b32 exec_lo, exec_lo, s0
.LBB5_31:
	s_delay_alu instid0(SALU_CYCLE_1)
	s_and_not1_b32 vcc_lo, exec_lo, s12
	s_cbranch_vccnz .LBB5_48
; %bb.32:
	s_delay_alu instid0(VALU_DEP_2)
	v_add_co_u32 v2, vcc_lo, s4, v0
	v_add_co_ci_u32_e32 v3, vcc_lo, s5, v1, vcc_lo
	v_subrev_nc_u32_e32 v5, s27, v13
	s_mov_b32 s0, exec_lo
	global_load_b64 v[2:3], v[2:3], off
	s_waitcnt vmcnt(0)
	v_subrev_nc_u32_e32 v4, s27, v3
	v_add_nc_u32_e32 v2, v2, v5
	s_delay_alu instid0(VALU_DEP_1)
	v_cmpx_lt_i32_e64 v2, v4
	s_cbranch_execz .LBB5_47
; %bb.33:
	s_mov_b32 s2, 0
	s_branch .LBB5_35
.LBB5_34:                               ;   in Loop: Header=BB5_35 Depth=1
	s_or_b32 exec_lo, exec_lo, s3
	v_add_nc_u32_e32 v2, 16, v2
	s_delay_alu instid0(VALU_DEP_1) | instskip(SKIP_1) | instid1(SALU_CYCLE_1)
	v_cmp_ge_i32_e32 vcc_lo, v2, v4
	s_or_b32 s2, vcc_lo, s2
	s_and_not1_b32 exec_lo, exec_lo, s2
	s_cbranch_execz .LBB5_47
.LBB5_35:                               ; =>This Loop Header: Depth=1
                                        ;     Child Loop BB5_37 Depth 2
	v_ashrrev_i32_e32 v3, 31, v2
	s_mov_b32 s3, 0
	s_delay_alu instid0(VALU_DEP_1) | instskip(NEXT) | instid1(VALU_DEP_1)
	v_lshlrev_b64 v[5:6], 2, v[2:3]
	v_add_co_u32 v12, vcc_lo, s6, v5
	s_delay_alu instid0(VALU_DEP_2)
	v_add_co_ci_u32_e32 v13, vcc_lo, s7, v6, vcc_lo
	v_add_co_u32 v5, vcc_lo, s8, v5
	v_add_co_ci_u32_e32 v6, vcc_lo, s9, v6, vcc_lo
	global_load_b32 v3, v[12:13], off
	global_load_b32 v5, v[5:6], off
	s_waitcnt vmcnt(1)
	v_subrev_nc_u32_e32 v3, s27, v3
	s_delay_alu instid0(VALU_DEP_1) | instskip(SKIP_1) | instid1(VALU_DEP_1)
	v_lshl_add_u32 v6, v3, 3, v3
	s_waitcnt vmcnt(0)
	v_dual_mul_f32 v5, v10, v5 :: v_dual_and_b32 v6, 31, v6
	s_branch .LBB5_37
.LBB5_36:                               ;   in Loop: Header=BB5_37 Depth=2
	s_or_b32 exec_lo, exec_lo, s4
	s_xor_b32 s4, s5, -1
	s_delay_alu instid0(SALU_CYCLE_1) | instskip(NEXT) | instid1(SALU_CYCLE_1)
	s_and_b32 s4, exec_lo, s4
	s_or_b32 s3, s4, s3
	s_delay_alu instid0(SALU_CYCLE_1)
	s_and_not1_b32 exec_lo, exec_lo, s3
	s_cbranch_execz .LBB5_34
.LBB5_37:                               ;   Parent Loop BB5_35 Depth=1
                                        ; =>  This Inner Loop Header: Depth=2
	s_delay_alu instid0(VALU_DEP_1)
	v_lshl_add_u32 v12, v6, 2, v9
	s_mov_b32 s4, exec_lo
                                        ; implicit-def: $sgpr5
	ds_load_b32 v13, v12
	s_waitcnt lgkmcnt(0)
	v_cmpx_ne_u32_e64 v13, v3
	s_xor_b32 s4, exec_lo, s4
	s_cbranch_execz .LBB5_45
; %bb.38:                               ;   in Loop: Header=BB5_37 Depth=2
	s_mov_b32 s12, exec_lo
                                        ; implicit-def: $sgpr5
	v_cmpx_ne_u32_e64 s1, v13
	s_xor_b32 s12, exec_lo, s12
; %bb.39:                               ;   in Loop: Header=BB5_37 Depth=2
	v_add_nc_u32_e32 v6, 1, v6
	s_mov_b32 s5, -1
                                        ; implicit-def: $vgpr12
	s_delay_alu instid0(VALU_DEP_1)
	v_and_b32_e32 v6, 31, v6
; %bb.40:                               ;   in Loop: Header=BB5_37 Depth=2
	s_and_not1_saveexec_b32 s12, s12
	s_cbranch_execz .LBB5_44
; %bb.41:                               ;   in Loop: Header=BB5_37 Depth=2
	v_mov_b32_e32 v13, s1
	s_mov_b32 s13, -1
	s_mov_b32 s14, exec_lo
	ds_cmpstore_rtn_b32 v12, v12, v3, v13
	s_waitcnt lgkmcnt(0)
	v_cmpx_eq_u32_e64 s1, v12
	s_cbranch_execz .LBB5_43
; %bb.42:                               ;   in Loop: Header=BB5_37 Depth=2
	v_lshl_add_u32 v12, v6, 2, v11
	s_xor_b32 s13, exec_lo, -1
	ds_add_f32 v12, v5
.LBB5_43:                               ;   in Loop: Header=BB5_37 Depth=2
	s_or_b32 exec_lo, exec_lo, s14
	s_delay_alu instid0(SALU_CYCLE_1) | instskip(SKIP_1) | instid1(SALU_CYCLE_1)
	s_and_not1_b32 s5, s5, exec_lo
	s_and_b32 s13, s13, exec_lo
	s_or_b32 s5, s5, s13
.LBB5_44:                               ;   in Loop: Header=BB5_37 Depth=2
	s_or_b32 exec_lo, exec_lo, s12
	s_delay_alu instid0(SALU_CYCLE_1)
	s_and_b32 s5, s5, exec_lo
.LBB5_45:                               ;   in Loop: Header=BB5_37 Depth=2
	s_and_not1_saveexec_b32 s4, s4
	s_cbranch_execz .LBB5_36
; %bb.46:                               ;   in Loop: Header=BB5_37 Depth=2
	v_lshl_add_u32 v12, v6, 2, v11
	s_and_not1_b32 s5, s5, exec_lo
	ds_add_f32 v12, v5
	s_branch .LBB5_36
.LBB5_47:
	s_or_b32 exec_lo, exec_lo, s0
.LBB5_48:
	s_delay_alu instid0(VALU_DEP_2)
	v_add_co_u32 v0, vcc_lo, s10, v0
	v_add_co_ci_u32_e32 v1, vcc_lo, s11, v1, vcc_lo
	s_waitcnt lgkmcnt(0)
	buffer_gl0_inv
	s_mov_b32 s0, 0
	global_load_b32 v0, v[0:1], off
	s_waitcnt vmcnt(0)
	v_subrev_nc_u32_e32 v0, s26, v0
	s_branch .LBB5_50
.LBB5_49:                               ;   in Loop: Header=BB5_50 Depth=1
	s_or_b32 exec_lo, exec_lo, s2
	v_add_co_u32 v8, s2, v8, 16
	s_delay_alu instid0(VALU_DEP_1) | instskip(SKIP_2) | instid1(SALU_CYCLE_1)
	s_xor_b32 s2, s2, -1
	v_add_nc_u32_e32 v7, 64, v7
	s_and_b32 s2, exec_lo, s2
	s_or_b32 s0, s2, s0
	s_delay_alu instid0(SALU_CYCLE_1)
	s_and_not1_b32 exec_lo, exec_lo, s0
	s_cbranch_execz .LBB5_52
.LBB5_50:                               ; =>This Inner Loop Header: Depth=1
	ds_load_b32 v1, v7 offset:2048
	s_mov_b32 s2, exec_lo
	s_waitcnt lgkmcnt(0)
	v_cmpx_gt_i32_e64 s1, v1
	s_cbranch_execz .LBB5_49
; %bb.51:                               ;   in Loop: Header=BB5_50 Depth=1
	ds_load_b128 v[2:5], v9
	ds_load_b128 v[10:13], v9 offset:16
	ds_load_b128 v[14:17], v9 offset:32
	;; [unrolled: 1-line block ×7, first 2 shown]
	ds_load_b32 v6, v7
	s_waitcnt lgkmcnt(8)
	v_cmp_gt_i32_e32 vcc_lo, v1, v2
	v_cndmask_b32_e64 v2, 0, 1, vcc_lo
	v_cmp_gt_i32_e32 vcc_lo, v1, v4
	v_cndmask_b32_e64 v4, 0, 1, vcc_lo
	v_cmp_gt_i32_e32 vcc_lo, v1, v3
	s_delay_alu instid0(VALU_DEP_4)
	v_add_co_ci_u32_e32 v2, vcc_lo, v0, v2, vcc_lo
	s_waitcnt lgkmcnt(7)
	v_cmp_gt_i32_e32 vcc_lo, v1, v10
	v_add_nc_u32_e32 v10, s26, v1
	v_cndmask_b32_e64 v3, 0, 1, vcc_lo
	v_cmp_gt_i32_e32 vcc_lo, v1, v5
	v_add_co_ci_u32_e32 v2, vcc_lo, v2, v4, vcc_lo
	v_cmp_gt_i32_e32 vcc_lo, v1, v12
	v_cndmask_b32_e64 v4, 0, 1, vcc_lo
	v_cmp_gt_i32_e32 vcc_lo, v1, v11
	s_delay_alu instid0(VALU_DEP_4)
	v_add_co_ci_u32_e32 v2, vcc_lo, v2, v3, vcc_lo
	s_waitcnt lgkmcnt(6)
	v_cmp_gt_i32_e32 vcc_lo, v1, v14
	v_cndmask_b32_e64 v3, 0, 1, vcc_lo
	v_cmp_gt_i32_e32 vcc_lo, v1, v13
	v_add_co_ci_u32_e32 v2, vcc_lo, v2, v4, vcc_lo
	v_cmp_gt_i32_e32 vcc_lo, v1, v16
	v_cndmask_b32_e64 v4, 0, 1, vcc_lo
	v_cmp_gt_i32_e32 vcc_lo, v1, v15
	s_delay_alu instid0(VALU_DEP_4)
	v_add_co_ci_u32_e32 v2, vcc_lo, v2, v3, vcc_lo
	s_waitcnt lgkmcnt(5)
	v_cmp_gt_i32_e32 vcc_lo, v1, v18
	;; [unrolled: 10-line block ×6, first 2 shown]
	v_cndmask_b32_e64 v3, 0, 1, vcc_lo
	v_cmp_gt_i32_e32 vcc_lo, v1, v33
	v_add_co_ci_u32_e32 v2, vcc_lo, v2, v4, vcc_lo
	v_cmp_gt_i32_e32 vcc_lo, v1, v36
	v_cndmask_b32_e64 v4, 0, 1, vcc_lo
	v_cmp_gt_i32_e32 vcc_lo, v1, v35
	s_delay_alu instid0(VALU_DEP_4) | instskip(SKIP_1) | instid1(VALU_DEP_2)
	v_add_co_ci_u32_e32 v2, vcc_lo, v2, v3, vcc_lo
	v_cmp_gt_i32_e32 vcc_lo, v1, v37
	v_add_co_ci_u32_e32 v2, vcc_lo, v2, v4, vcc_lo
	s_delay_alu instid0(VALU_DEP_1) | instskip(NEXT) | instid1(VALU_DEP_1)
	v_ashrrev_i32_e32 v3, 31, v2
	v_lshlrev_b64 v[2:3], 2, v[2:3]
	s_delay_alu instid0(VALU_DEP_1) | instskip(NEXT) | instid1(VALU_DEP_2)
	v_add_co_u32 v4, vcc_lo, s28, v2
	v_add_co_ci_u32_e32 v5, vcc_lo, s29, v3, vcc_lo
	v_add_co_u32 v1, vcc_lo, s30, v2
	v_add_co_ci_u32_e32 v2, vcc_lo, s31, v3, vcc_lo
	global_store_b32 v[4:5], v10, off
	s_waitcnt lgkmcnt(0)
	global_store_b32 v[1:2], v6, off
	s_branch .LBB5_49
.LBB5_52:
	s_nop 0
	s_sendmsg sendmsg(MSG_DEALLOC_VGPRS)
	s_endpgm
	.section	.rodata,"a",@progbits
	.p2align	6, 0x0
	.amdhsa_kernel _ZN9rocsparseL23csrgemm_fill_wf_per_rowILj256ELj16ELj32ELj137EiifEEvT4_S1_PKS1_S3_NS_24const_host_device_scalarIT5_EEPKT3_S3_PKS5_S9_S3_SB_S6_S9_S3_SB_S9_PS1_PS5_21rocsparse_index_base_SE_SE_SE_bbb
		.amdhsa_group_segment_fixed_size 4096
		.amdhsa_private_segment_fixed_size 0
		.amdhsa_kernarg_size 156
		.amdhsa_user_sgpr_count 15
		.amdhsa_user_sgpr_dispatch_ptr 0
		.amdhsa_user_sgpr_queue_ptr 0
		.amdhsa_user_sgpr_kernarg_segment_ptr 1
		.amdhsa_user_sgpr_dispatch_id 0
		.amdhsa_user_sgpr_private_segment_size 0
		.amdhsa_wavefront_size32 1
		.amdhsa_uses_dynamic_stack 0
		.amdhsa_enable_private_segment 0
		.amdhsa_system_sgpr_workgroup_id_x 1
		.amdhsa_system_sgpr_workgroup_id_y 0
		.amdhsa_system_sgpr_workgroup_id_z 0
		.amdhsa_system_sgpr_workgroup_info 0
		.amdhsa_system_vgpr_workitem_id 0
		.amdhsa_next_free_vgpr 38
		.amdhsa_next_free_sgpr 44
		.amdhsa_reserve_vcc 1
		.amdhsa_float_round_mode_32 0
		.amdhsa_float_round_mode_16_64 0
		.amdhsa_float_denorm_mode_32 3
		.amdhsa_float_denorm_mode_16_64 3
		.amdhsa_dx10_clamp 1
		.amdhsa_ieee_mode 1
		.amdhsa_fp16_overflow 0
		.amdhsa_workgroup_processor_mode 1
		.amdhsa_memory_ordered 1
		.amdhsa_forward_progress 0
		.amdhsa_shared_vgpr_count 0
		.amdhsa_exception_fp_ieee_invalid_op 0
		.amdhsa_exception_fp_denorm_src 0
		.amdhsa_exception_fp_ieee_div_zero 0
		.amdhsa_exception_fp_ieee_overflow 0
		.amdhsa_exception_fp_ieee_underflow 0
		.amdhsa_exception_fp_ieee_inexact 0
		.amdhsa_exception_int_div_zero 0
	.end_amdhsa_kernel
	.section	.text._ZN9rocsparseL23csrgemm_fill_wf_per_rowILj256ELj16ELj32ELj137EiifEEvT4_S1_PKS1_S3_NS_24const_host_device_scalarIT5_EEPKT3_S3_PKS5_S9_S3_SB_S6_S9_S3_SB_S9_PS1_PS5_21rocsparse_index_base_SE_SE_SE_bbb,"axG",@progbits,_ZN9rocsparseL23csrgemm_fill_wf_per_rowILj256ELj16ELj32ELj137EiifEEvT4_S1_PKS1_S3_NS_24const_host_device_scalarIT5_EEPKT3_S3_PKS5_S9_S3_SB_S6_S9_S3_SB_S9_PS1_PS5_21rocsparse_index_base_SE_SE_SE_bbb,comdat
.Lfunc_end5:
	.size	_ZN9rocsparseL23csrgemm_fill_wf_per_rowILj256ELj16ELj32ELj137EiifEEvT4_S1_PKS1_S3_NS_24const_host_device_scalarIT5_EEPKT3_S3_PKS5_S9_S3_SB_S6_S9_S3_SB_S9_PS1_PS5_21rocsparse_index_base_SE_SE_SE_bbb, .Lfunc_end5-_ZN9rocsparseL23csrgemm_fill_wf_per_rowILj256ELj16ELj32ELj137EiifEEvT4_S1_PKS1_S3_NS_24const_host_device_scalarIT5_EEPKT3_S3_PKS5_S9_S3_SB_S6_S9_S3_SB_S9_PS1_PS5_21rocsparse_index_base_SE_SE_SE_bbb
                                        ; -- End function
	.section	.AMDGPU.csdata,"",@progbits
; Kernel info:
; codeLenInByte = 2200
; NumSgprs: 46
; NumVgprs: 38
; ScratchSize: 0
; MemoryBound: 0
; FloatMode: 240
; IeeeMode: 1
; LDSByteSize: 4096 bytes/workgroup (compile time only)
; SGPRBlocks: 5
; VGPRBlocks: 4
; NumSGPRsForWavesPerEU: 46
; NumVGPRsForWavesPerEU: 38
; Occupancy: 16
; WaveLimiterHint : 1
; COMPUTE_PGM_RSRC2:SCRATCH_EN: 0
; COMPUTE_PGM_RSRC2:USER_SGPR: 15
; COMPUTE_PGM_RSRC2:TRAP_HANDLER: 0
; COMPUTE_PGM_RSRC2:TGID_X_EN: 1
; COMPUTE_PGM_RSRC2:TGID_Y_EN: 0
; COMPUTE_PGM_RSRC2:TGID_Z_EN: 0
; COMPUTE_PGM_RSRC2:TIDIG_COMP_CNT: 0
	.section	.text._ZN9rocsparseL26csrgemm_fill_block_per_rowILj128ELj16ELj256ELj137ELj32EiifEEvT5_PKS1_S3_NS_24const_host_device_scalarIT6_EEPKT4_S3_PKS5_S9_S3_SB_S6_S9_S3_SB_S9_PS1_PS5_21rocsparse_index_base_SE_SE_SE_bbb,"axG",@progbits,_ZN9rocsparseL26csrgemm_fill_block_per_rowILj128ELj16ELj256ELj137ELj32EiifEEvT5_PKS1_S3_NS_24const_host_device_scalarIT6_EEPKT4_S3_PKS5_S9_S3_SB_S6_S9_S3_SB_S9_PS1_PS5_21rocsparse_index_base_SE_SE_SE_bbb,comdat
	.globl	_ZN9rocsparseL26csrgemm_fill_block_per_rowILj128ELj16ELj256ELj137ELj32EiifEEvT5_PKS1_S3_NS_24const_host_device_scalarIT6_EEPKT4_S3_PKS5_S9_S3_SB_S6_S9_S3_SB_S9_PS1_PS5_21rocsparse_index_base_SE_SE_SE_bbb ; -- Begin function _ZN9rocsparseL26csrgemm_fill_block_per_rowILj128ELj16ELj256ELj137ELj32EiifEEvT5_PKS1_S3_NS_24const_host_device_scalarIT6_EEPKT4_S3_PKS5_S9_S3_SB_S6_S9_S3_SB_S9_PS1_PS5_21rocsparse_index_base_SE_SE_SE_bbb
	.p2align	8
	.type	_ZN9rocsparseL26csrgemm_fill_block_per_rowILj128ELj16ELj256ELj137ELj32EiifEEvT5_PKS1_S3_NS_24const_host_device_scalarIT6_EEPKT4_S3_PKS5_S9_S3_SB_S6_S9_S3_SB_S9_PS1_PS5_21rocsparse_index_base_SE_SE_SE_bbb,@function
_ZN9rocsparseL26csrgemm_fill_block_per_rowILj128ELj16ELj256ELj137ELj32EiifEEvT5_PKS1_S3_NS_24const_host_device_scalarIT6_EEPKT4_S3_PKS5_S9_S3_SB_S6_S9_S3_SB_S9_PS1_PS5_21rocsparse_index_base_SE_SE_SE_bbb: ; @_ZN9rocsparseL26csrgemm_fill_block_per_rowILj128ELj16ELj256ELj137ELj32EiifEEvT5_PKS1_S3_NS_24const_host_device_scalarIT6_EEPKT4_S3_PKS5_S9_S3_SB_S6_S9_S3_SB_S9_PS1_PS5_21rocsparse_index_base_SE_SE_SE_bbb
; %bb.0:
	s_clause 0x2
	s_load_b32 s6, s[0:1], 0x98
	s_load_b64 s[4:5], s[0:1], 0x18
	s_load_b64 s[2:3], s[0:1], 0x50
	s_waitcnt lgkmcnt(0)
	s_bitcmp1_b32 s6, 0
	s_cselect_b32 s13, -1, 0
	s_bitcmp1_b32 s6, 16
	s_cselect_b32 s7, -1, 0
	s_xor_b32 s8, s13, -1
	s_delay_alu instid0(SALU_CYCLE_1) | instskip(NEXT) | instid1(SALU_CYCLE_1)
	s_or_b32 s8, s8, s7
	s_and_b32 vcc_lo, exec_lo, s8
	s_cbranch_vccnz .LBB6_2
; %bb.1:
	s_load_b32 s4, s[4:5], 0x0
	s_waitcnt lgkmcnt(0)
	v_mov_b32_e32 v8, s4
	s_branch .LBB6_3
.LBB6_2:
	v_cndmask_b32_e64 v8, 0, s4, s13
.LBB6_3:
	s_load_b128 s[24:27], s[0:1], 0x88
	s_bitcmp1_b32 s6, 8
	s_cselect_b32 s33, -1, 0
	s_delay_alu instid0(SALU_CYCLE_1) | instskip(NEXT) | instid1(SALU_CYCLE_1)
	s_xor_b32 s4, s33, -1
	s_or_b32 s4, s4, s7
	s_delay_alu instid0(SALU_CYCLE_1)
	s_and_b32 vcc_lo, exec_lo, s4
	s_cbranch_vccnz .LBB6_5
; %bb.4:
	s_load_b32 s2, s[2:3], 0x0
	s_waitcnt lgkmcnt(0)
	v_mov_b32_e32 v7, s2
	s_branch .LBB6_6
.LBB6_5:
	v_cndmask_b32_e64 v7, 0, s2, s33
.LBB6_6:
	s_clause 0x5
	s_load_b128 s[28:31], s[0:1], 0x78
	s_load_b256 s[4:11], s[0:1], 0x58
	s_load_b128 s[36:39], s[0:1], 0x40
	s_load_b256 s[16:23], s[0:1], 0x20
	s_load_b128 s[40:43], s[0:1], 0x8
	s_load_b32 s14, s[0:1], 0x0
	v_cmp_gt_u32_e64 s0, 0x100, v0
	v_or_b32_e32 v5, 0xffffff80, v0
	v_lshl_add_u32 v6, v0, 2, 0
	s_delay_alu instid0(VALU_DEP_3)
	s_and_saveexec_b32 s1, s0
	s_cbranch_execz .LBB6_9
; %bb.7:
	v_or_b32_e32 v1, 0xffffff80, v0
	v_lshl_add_u32 v2, v0, 2, 0
	s_waitcnt lgkmcnt(0)
	v_dual_mov_b32 v3, s14 :: v_dual_mov_b32 v4, 0
	s_mov_b32 s2, 0
.LBB6_8:                                ; =>This Inner Loop Header: Depth=1
	v_add_co_u32 v1, s3, 0x80, v1
	s_delay_alu instid0(VALU_DEP_1) | instskip(SKIP_3) | instid1(SALU_CYCLE_1)
	s_xor_b32 s3, s3, -1
	ds_store_2addr_stride64_b32 v2, v3, v4 offset1:4
	v_add_nc_u32_e32 v2, 0x200, v2
	s_and_b32 s3, exec_lo, s3
	s_or_b32 s2, s3, s2
	s_delay_alu instid0(SALU_CYCLE_1)
	s_and_not1_b32 exec_lo, exec_lo, s2
	s_cbranch_execnz .LBB6_8
.LBB6_9:
	s_or_b32 exec_lo, exec_lo, s1
	s_waitcnt lgkmcnt(0)
	s_barrier
	buffer_gl0_inv
	s_load_b32 s1, s[40:41], 0x0
	s_mov_b32 s3, 0
	s_waitcnt lgkmcnt(0)
	s_add_i32 s2, s1, s15
	s_delay_alu instid0(SALU_CYCLE_1) | instskip(NEXT) | instid1(SALU_CYCLE_1)
	s_lshl_b64 s[2:3], s[2:3], 2
	s_add_u32 s2, s42, s2
	s_addc_u32 s3, s43, s3
	s_and_b32 vcc_lo, exec_lo, s13
	s_load_b32 s12, s[2:3], 0x0
	s_cbranch_vccz .LBB6_29
; %bb.10:
	s_waitcnt lgkmcnt(0)
	s_ashr_i32 s13, s12, 31
	v_lshrrev_b32_e32 v1, 4, v0
	s_lshl_b64 s[2:3], s[12:13], 2
	s_delay_alu instid0(SALU_CYCLE_1) | instskip(SKIP_1) | instid1(VALU_DEP_1)
	s_add_u32 s2, s16, s2
	s_addc_u32 s3, s17, s3
	v_subrev_nc_u32_e32 v1, s24, v1
	s_load_b64 s[2:3], s[2:3], 0x0
	s_waitcnt lgkmcnt(0)
	s_delay_alu instid0(VALU_DEP_1) | instskip(SKIP_2) | instid1(VALU_DEP_1)
	v_add_nc_u32_e32 v1, s2, v1
	s_sub_i32 s1, s3, s24
	s_mov_b32 s2, exec_lo
	v_cmpx_gt_i32_e64 s1, v1
	s_cbranch_execz .LBB6_28
; %bb.11:
	v_and_b32_e32 v2, 15, v0
	s_mov_b32 s3, 0
	s_delay_alu instid0(VALU_DEP_1)
	v_subrev_nc_u32_e32 v9, s25, v2
	s_branch .LBB6_13
.LBB6_12:                               ;   in Loop: Header=BB6_13 Depth=1
	s_or_b32 exec_lo, exec_lo, s13
	v_add_nc_u32_e32 v1, 8, v1
	s_delay_alu instid0(VALU_DEP_1) | instskip(SKIP_1) | instid1(SALU_CYCLE_1)
	v_cmp_le_i32_e32 vcc_lo, s1, v1
	s_or_b32 s3, vcc_lo, s3
	s_and_not1_b32 exec_lo, exec_lo, s3
	s_cbranch_execz .LBB6_28
.LBB6_13:                               ; =>This Loop Header: Depth=1
                                        ;     Child Loop BB6_16 Depth 2
                                        ;       Child Loop BB6_18 Depth 3
	v_ashrrev_i32_e32 v2, 31, v1
	s_mov_b32 s13, exec_lo
	s_delay_alu instid0(VALU_DEP_1) | instskip(NEXT) | instid1(VALU_DEP_1)
	v_lshlrev_b64 v[3:4], 2, v[1:2]
	v_add_co_u32 v10, vcc_lo, s18, v3
	s_delay_alu instid0(VALU_DEP_2) | instskip(SKIP_3) | instid1(VALU_DEP_1)
	v_add_co_ci_u32_e32 v11, vcc_lo, s19, v4, vcc_lo
	global_load_b32 v2, v[10:11], off
	s_waitcnt vmcnt(0)
	v_subrev_nc_u32_e32 v10, s24, v2
	v_ashrrev_i32_e32 v11, 31, v10
	s_delay_alu instid0(VALU_DEP_1) | instskip(NEXT) | instid1(VALU_DEP_1)
	v_lshlrev_b64 v[10:11], 2, v[10:11]
	v_add_co_u32 v10, vcc_lo, s22, v10
	s_delay_alu instid0(VALU_DEP_2) | instskip(SKIP_4) | instid1(VALU_DEP_1)
	v_add_co_ci_u32_e32 v11, vcc_lo, s23, v11, vcc_lo
	global_load_b64 v[11:12], v[10:11], off
	s_waitcnt vmcnt(0)
	v_subrev_nc_u32_e32 v10, s25, v12
	v_add_nc_u32_e32 v2, v11, v9
	v_cmpx_lt_i32_e64 v2, v10
	s_cbranch_execz .LBB6_12
; %bb.14:                               ;   in Loop: Header=BB6_13 Depth=1
	v_add_co_u32 v3, vcc_lo, s20, v3
	v_add_co_ci_u32_e32 v4, vcc_lo, s21, v4, vcc_lo
	s_mov_b32 s15, 0
	global_load_b32 v3, v[3:4], off
	s_waitcnt vmcnt(0)
	v_mul_f32_e32 v4, v8, v3
	s_branch .LBB6_16
.LBB6_15:                               ;   in Loop: Header=BB6_16 Depth=2
	s_or_b32 exec_lo, exec_lo, s16
	v_add_nc_u32_e32 v2, 16, v2
	s_delay_alu instid0(VALU_DEP_1) | instskip(SKIP_1) | instid1(SALU_CYCLE_1)
	v_cmp_ge_i32_e32 vcc_lo, v2, v10
	s_or_b32 s15, vcc_lo, s15
	s_and_not1_b32 exec_lo, exec_lo, s15
	s_cbranch_execz .LBB6_12
.LBB6_16:                               ;   Parent Loop BB6_13 Depth=1
                                        ; =>  This Loop Header: Depth=2
                                        ;       Child Loop BB6_18 Depth 3
	v_ashrrev_i32_e32 v3, 31, v2
	s_mov_b32 s16, 0
	s_delay_alu instid0(VALU_DEP_1) | instskip(NEXT) | instid1(VALU_DEP_1)
	v_lshlrev_b64 v[11:12], 2, v[2:3]
	v_add_co_u32 v13, vcc_lo, s36, v11
	s_delay_alu instid0(VALU_DEP_2)
	v_add_co_ci_u32_e32 v14, vcc_lo, s37, v12, vcc_lo
	v_add_co_u32 v11, vcc_lo, s38, v11
	v_add_co_ci_u32_e32 v12, vcc_lo, s39, v12, vcc_lo
	global_load_b32 v3, v[13:14], off
	global_load_b32 v11, v[11:12], off
	s_waitcnt vmcnt(1)
	v_subrev_nc_u32_e32 v3, s25, v3
	s_delay_alu instid0(VALU_DEP_1) | instskip(SKIP_1) | instid1(VALU_DEP_1)
	v_mul_lo_u32 v12, 0x89, v3
	s_waitcnt vmcnt(0)
	v_dual_mul_f32 v11, v4, v11 :: v_dual_and_b32 v12, 0xff, v12
	s_branch .LBB6_18
.LBB6_17:                               ;   in Loop: Header=BB6_18 Depth=3
	s_or_b32 exec_lo, exec_lo, s17
	s_xor_b32 s17, s34, -1
	s_delay_alu instid0(SALU_CYCLE_1) | instskip(NEXT) | instid1(SALU_CYCLE_1)
	s_and_b32 s17, exec_lo, s17
	s_or_b32 s16, s17, s16
	s_delay_alu instid0(SALU_CYCLE_1)
	s_and_not1_b32 exec_lo, exec_lo, s16
	s_cbranch_execz .LBB6_15
.LBB6_18:                               ;   Parent Loop BB6_13 Depth=1
                                        ;     Parent Loop BB6_16 Depth=2
                                        ; =>    This Inner Loop Header: Depth=3
	s_delay_alu instid0(VALU_DEP_1)
	v_lshl_add_u32 v13, v12, 2, 0
	s_mov_b32 s17, exec_lo
                                        ; implicit-def: $sgpr34
	ds_load_b32 v14, v13
	s_waitcnt lgkmcnt(0)
	v_cmpx_ne_u32_e64 v14, v3
	s_xor_b32 s17, exec_lo, s17
	s_cbranch_execz .LBB6_26
; %bb.19:                               ;   in Loop: Header=BB6_18 Depth=3
	s_mov_b32 s35, exec_lo
                                        ; implicit-def: $sgpr34
	v_cmpx_ne_u32_e64 s14, v14
	s_xor_b32 s35, exec_lo, s35
; %bb.20:                               ;   in Loop: Header=BB6_18 Depth=3
	v_add_nc_u32_e32 v12, 1, v12
	s_mov_b32 s34, -1
                                        ; implicit-def: $vgpr13
	s_delay_alu instid0(VALU_DEP_1)
	v_and_b32_e32 v12, 0xff, v12
; %bb.21:                               ;   in Loop: Header=BB6_18 Depth=3
	s_and_not1_saveexec_b32 s35, s35
	s_cbranch_execz .LBB6_25
; %bb.22:                               ;   in Loop: Header=BB6_18 Depth=3
	v_mov_b32_e32 v14, s14
	s_mov_b32 s40, -1
	s_mov_b32 s41, exec_lo
	ds_cmpstore_rtn_b32 v14, v13, v3, v14
	s_waitcnt lgkmcnt(0)
	v_cmpx_eq_u32_e64 s14, v14
	s_cbranch_execz .LBB6_24
; %bb.23:                               ;   in Loop: Header=BB6_18 Depth=3
	ds_add_f32 v13, v11 offset:1024
	s_xor_b32 s40, exec_lo, -1
.LBB6_24:                               ;   in Loop: Header=BB6_18 Depth=3
	s_or_b32 exec_lo, exec_lo, s41
	s_delay_alu instid0(SALU_CYCLE_1) | instskip(SKIP_1) | instid1(SALU_CYCLE_1)
	s_and_not1_b32 s34, s34, exec_lo
	s_and_b32 s40, s40, exec_lo
	s_or_b32 s34, s34, s40
.LBB6_25:                               ;   in Loop: Header=BB6_18 Depth=3
	s_or_b32 exec_lo, exec_lo, s35
	s_delay_alu instid0(SALU_CYCLE_1)
	s_and_b32 s34, s34, exec_lo
                                        ; implicit-def: $vgpr13
.LBB6_26:                               ;   in Loop: Header=BB6_18 Depth=3
	s_and_not1_saveexec_b32 s17, s17
	s_cbranch_execz .LBB6_17
; %bb.27:                               ;   in Loop: Header=BB6_18 Depth=3
	ds_add_f32 v13, v11 offset:1024
	s_and_not1_b32 s34, s34, exec_lo
	s_branch .LBB6_17
.LBB6_28:
	s_or_b32 exec_lo, exec_lo, s2
.LBB6_29:
	s_delay_alu instid0(SALU_CYCLE_1)
	s_and_not1_b32 vcc_lo, exec_lo, s33
	s_cbranch_vccnz .LBB6_46
; %bb.30:
	s_waitcnt lgkmcnt(0)
	s_ashr_i32 s13, s12, 31
	v_subrev_nc_u32_e32 v1, s27, v0
	s_lshl_b64 s[2:3], s[12:13], 2
	s_delay_alu instid0(SALU_CYCLE_1)
	s_add_u32 s2, s4, s2
	s_addc_u32 s3, s5, s3
	s_load_b64 s[2:3], s[2:3], 0x0
	s_waitcnt lgkmcnt(0)
	v_add_nc_u32_e32 v1, s2, v1
	s_sub_i32 s1, s3, s27
	s_mov_b32 s2, exec_lo
	s_delay_alu instid0(VALU_DEP_1)
	v_cmpx_gt_i32_e64 s1, v1
	s_cbranch_execz .LBB6_45
; %bb.31:
	s_mov_b32 s3, 0
	s_branch .LBB6_33
.LBB6_32:                               ;   in Loop: Header=BB6_33 Depth=1
	s_or_b32 exec_lo, exec_lo, s4
	v_add_nc_u32_e32 v1, 0x80, v1
	s_delay_alu instid0(VALU_DEP_1) | instskip(SKIP_1) | instid1(SALU_CYCLE_1)
	v_cmp_le_i32_e32 vcc_lo, s1, v1
	s_or_b32 s3, vcc_lo, s3
	s_and_not1_b32 exec_lo, exec_lo, s3
	s_cbranch_execz .LBB6_45
.LBB6_33:                               ; =>This Loop Header: Depth=1
                                        ;     Child Loop BB6_35 Depth 2
	v_ashrrev_i32_e32 v2, 31, v1
	s_mov_b32 s4, 0
	s_delay_alu instid0(VALU_DEP_1) | instskip(NEXT) | instid1(VALU_DEP_1)
	v_lshlrev_b64 v[2:3], 2, v[1:2]
	v_add_co_u32 v8, vcc_lo, s6, v2
	s_delay_alu instid0(VALU_DEP_2)
	v_add_co_ci_u32_e32 v9, vcc_lo, s7, v3, vcc_lo
	v_add_co_u32 v2, vcc_lo, s8, v2
	v_add_co_ci_u32_e32 v3, vcc_lo, s9, v3, vcc_lo
	global_load_b32 v4, v[8:9], off
	global_load_b32 v3, v[2:3], off
	s_waitcnt vmcnt(1)
	v_subrev_nc_u32_e32 v2, s27, v4
	s_delay_alu instid0(VALU_DEP_1) | instskip(SKIP_1) | instid1(VALU_DEP_1)
	v_mul_lo_u32 v4, 0x89, v2
	s_waitcnt vmcnt(0)
	v_dual_mul_f32 v3, v7, v3 :: v_dual_and_b32 v4, 0xff, v4
	s_branch .LBB6_35
.LBB6_34:                               ;   in Loop: Header=BB6_35 Depth=2
	s_or_b32 exec_lo, exec_lo, s5
	s_xor_b32 s5, s13, -1
	s_delay_alu instid0(SALU_CYCLE_1) | instskip(NEXT) | instid1(SALU_CYCLE_1)
	s_and_b32 s5, exec_lo, s5
	s_or_b32 s4, s5, s4
	s_delay_alu instid0(SALU_CYCLE_1)
	s_and_not1_b32 exec_lo, exec_lo, s4
	s_cbranch_execz .LBB6_32
.LBB6_35:                               ;   Parent Loop BB6_33 Depth=1
                                        ; =>  This Inner Loop Header: Depth=2
	s_delay_alu instid0(VALU_DEP_1)
	v_lshl_add_u32 v8, v4, 2, 0
	s_mov_b32 s5, exec_lo
                                        ; implicit-def: $sgpr13
	ds_load_b32 v9, v8
	s_waitcnt lgkmcnt(0)
	v_cmpx_ne_u32_e64 v9, v2
	s_xor_b32 s5, exec_lo, s5
	s_cbranch_execz .LBB6_43
; %bb.36:                               ;   in Loop: Header=BB6_35 Depth=2
	s_mov_b32 s15, exec_lo
                                        ; implicit-def: $sgpr13
	v_cmpx_ne_u32_e64 s14, v9
	s_xor_b32 s15, exec_lo, s15
; %bb.37:                               ;   in Loop: Header=BB6_35 Depth=2
	v_add_nc_u32_e32 v4, 1, v4
	s_mov_b32 s13, -1
                                        ; implicit-def: $vgpr8
	s_delay_alu instid0(VALU_DEP_1)
	v_and_b32_e32 v4, 0xff, v4
; %bb.38:                               ;   in Loop: Header=BB6_35 Depth=2
	s_and_not1_saveexec_b32 s15, s15
	s_cbranch_execz .LBB6_42
; %bb.39:                               ;   in Loop: Header=BB6_35 Depth=2
	v_mov_b32_e32 v9, s14
	s_mov_b32 s16, -1
	s_mov_b32 s17, exec_lo
	ds_cmpstore_rtn_b32 v9, v8, v2, v9
	s_waitcnt lgkmcnt(0)
	v_cmpx_eq_u32_e64 s14, v9
	s_cbranch_execz .LBB6_41
; %bb.40:                               ;   in Loop: Header=BB6_35 Depth=2
	ds_add_f32 v8, v3 offset:1024
	s_xor_b32 s16, exec_lo, -1
.LBB6_41:                               ;   in Loop: Header=BB6_35 Depth=2
	s_or_b32 exec_lo, exec_lo, s17
	s_delay_alu instid0(SALU_CYCLE_1) | instskip(SKIP_1) | instid1(SALU_CYCLE_1)
	s_and_not1_b32 s13, s13, exec_lo
	s_and_b32 s16, s16, exec_lo
	s_or_b32 s13, s13, s16
.LBB6_42:                               ;   in Loop: Header=BB6_35 Depth=2
	s_or_b32 exec_lo, exec_lo, s15
	s_delay_alu instid0(SALU_CYCLE_1)
	s_and_b32 s13, s13, exec_lo
                                        ; implicit-def: $vgpr8
.LBB6_43:                               ;   in Loop: Header=BB6_35 Depth=2
	s_and_not1_saveexec_b32 s5, s5
	s_cbranch_execz .LBB6_34
; %bb.44:                               ;   in Loop: Header=BB6_35 Depth=2
	ds_add_f32 v8, v3 offset:1024
	s_and_not1_b32 s13, s13, exec_lo
	s_branch .LBB6_34
.LBB6_45:
	s_or_b32 exec_lo, exec_lo, s2
.LBB6_46:
	s_waitcnt lgkmcnt(0)
	s_barrier
	buffer_gl0_inv
	s_and_saveexec_b32 s4, s0
	s_cbranch_execz .LBB6_59
; %bb.47:
	v_mbcnt_lo_u32_b32 v1, -1, 0
	v_lshrrev_b32_e32 v2, 3, v0
	v_cmp_eq_u32_e32 vcc_lo, 0x7f, v0
	v_cmp_lt_u32_e64 s0, 31, v0
	v_cmp_lt_u32_e64 s1, 63, v0
	v_xor_b32_e32 v1, 63, v1
	v_dual_mov_b32 v8, 0 :: v_dual_and_b32 v3, 12, v2
	v_cmp_lt_u32_e64 s2, 0x5f, v0
	s_mov_b32 s5, 0
	s_delay_alu instid0(VALU_DEP_3) | instskip(NEXT) | instid1(VALU_DEP_3)
	v_lshrrev_b64 v[1:2], v1, -1
	v_dual_mov_b32 v7, 0 :: v_dual_add_nc_u32 v4, 0, v3
	s_branch .LBB6_49
.LBB6_48:                               ;   in Loop: Header=BB6_49 Depth=1
	s_or_b32 exec_lo, exec_lo, s3
	s_waitcnt lgkmcnt(0)
	s_barrier
	buffer_gl0_inv
	ds_load_b32 v2, v7 offset:2060
	v_add_co_u32 v5, s3, 0x80, v5
	s_delay_alu instid0(VALU_DEP_1) | instskip(SKIP_2) | instid1(SALU_CYCLE_1)
	s_xor_b32 s3, s3, -1
	v_add_nc_u32_e32 v6, 0x200, v6
	s_and_b32 s3, exec_lo, s3
	s_or_b32 s5, s3, s5
	s_waitcnt lgkmcnt(0)
	v_add_nc_u32_e32 v8, v2, v8
	s_and_not1_b32 exec_lo, exec_lo, s5
	s_cbranch_execz .LBB6_59
.LBB6_49:                               ; =>This Inner Loop Header: Depth=1
	ds_load_2addr_stride64_b32 v[2:3], v6 offset1:4
	s_waitcnt lgkmcnt(0)
	s_barrier
	buffer_gl0_inv
	v_cmp_gt_i32_e64 s3, s14, v2
	s_delay_alu instid0(VALU_DEP_1) | instskip(NEXT) | instid1(SALU_CYCLE_1)
	s_bcnt1_i32_b32 s6, s3
	v_dual_mov_b32 v10, s6 :: v_dual_and_b32 v9, s3, v1
	s_delay_alu instid0(VALU_DEP_1)
	v_bcnt_u32_b32 v9, v9, 0
	ds_store_b32 v4, v10 offset:2048
	s_waitcnt lgkmcnt(0)
	s_barrier
	buffer_gl0_inv
	s_and_saveexec_b32 s6, s0
	s_cbranch_execnz .LBB6_54
; %bb.50:                               ;   in Loop: Header=BB6_49 Depth=1
	s_or_b32 exec_lo, exec_lo, s6
	s_and_saveexec_b32 s6, s1
	s_cbranch_execnz .LBB6_55
.LBB6_51:                               ;   in Loop: Header=BB6_49 Depth=1
	s_or_b32 exec_lo, exec_lo, s6
	s_and_saveexec_b32 s6, s2
	s_cbranch_execnz .LBB6_56
.LBB6_52:                               ;   in Loop: Header=BB6_49 Depth=1
	s_or_b32 exec_lo, exec_lo, s6
	s_and_saveexec_b32 s6, s3
	s_cbranch_execnz .LBB6_57
.LBB6_53:                               ;   in Loop: Header=BB6_49 Depth=1
	s_or_b32 exec_lo, exec_lo, s6
	s_and_saveexec_b32 s3, vcc_lo
	s_cbranch_execz .LBB6_48
	s_branch .LBB6_58
.LBB6_54:                               ;   in Loop: Header=BB6_49 Depth=1
	ds_load_b32 v10, v7 offset:2048
	s_waitcnt lgkmcnt(0)
	v_add_nc_u32_e32 v9, v10, v9
	s_or_b32 exec_lo, exec_lo, s6
	s_and_saveexec_b32 s6, s1
	s_cbranch_execz .LBB6_51
.LBB6_55:                               ;   in Loop: Header=BB6_49 Depth=1
	ds_load_b32 v10, v7 offset:2052
	s_waitcnt lgkmcnt(0)
	v_add_nc_u32_e32 v9, v10, v9
	s_or_b32 exec_lo, exec_lo, s6
	s_and_saveexec_b32 s6, s2
	s_cbranch_execz .LBB6_52
.LBB6_56:                               ;   in Loop: Header=BB6_49 Depth=1
	ds_load_b32 v10, v7 offset:2056
	s_waitcnt lgkmcnt(0)
	v_add_nc_u32_e32 v9, v10, v9
	s_or_b32 exec_lo, exec_lo, s6
	s_and_saveexec_b32 s6, s3
	s_cbranch_execz .LBB6_53
.LBB6_57:                               ;   in Loop: Header=BB6_49 Depth=1
	s_delay_alu instid0(VALU_DEP_1) | instskip(NEXT) | instid1(VALU_DEP_1)
	v_add3_u32 v10, v8, -1, v9
	v_lshl_add_u32 v10, v10, 2, 0
	ds_store_2addr_stride64_b32 v10, v2, v3 offset1:4
	s_or_b32 exec_lo, exec_lo, s6
	s_and_saveexec_b32 s3, vcc_lo
	s_cbranch_execz .LBB6_48
.LBB6_58:                               ;   in Loop: Header=BB6_49 Depth=1
	ds_store_b32 v7, v9 offset:2060
	s_branch .LBB6_48
.LBB6_59:
	s_or_b32 exec_lo, exec_lo, s4
	s_ashr_i32 s13, s12, 31
	s_mov_b32 s3, exec_lo
	s_lshl_b64 s[0:1], s[12:13], 2
	s_delay_alu instid0(SALU_CYCLE_1) | instskip(SKIP_4) | instid1(SALU_CYCLE_1)
	s_add_u32 s0, s10, s0
	s_addc_u32 s1, s11, s1
	s_load_b64 s[0:1], s[0:1], 0x0
	s_waitcnt lgkmcnt(0)
	s_sub_i32 s2, s1, s0
	v_cmpx_gt_i32_e64 s2, v0
	s_cbranch_execz .LBB6_69
; %bb.60:
	s_sub_i32 s3, s0, s26
	s_sub_i32 s0, s0, s1
	s_and_b32 s1, s2, 7
	s_cmp_lt_u32 s0, -7
	s_mov_b32 s7, 0
	s_cselect_b32 s4, -1, 0
	s_and_b32 s5, s2, -8
	s_cmp_lg_u32 s1, 0
	s_cselect_b32 s6, -1, 0
	s_branch .LBB6_62
.LBB6_61:                               ;   in Loop: Header=BB6_62 Depth=1
	s_delay_alu instid0(VALU_DEP_1) | instskip(SKIP_3) | instid1(VALU_DEP_3)
	v_ashrrev_i32_e32 v4, 31, v3
	v_add_nc_u32_e32 v0, 0x80, v0
	s_waitcnt lgkmcnt(0)
	v_add_nc_u32_e32 v1, s26, v1
	v_lshlrev_b64 v[3:4], 2, v[3:4]
	s_delay_alu instid0(VALU_DEP_3) | instskip(SKIP_1) | instid1(VALU_DEP_2)
	v_cmp_le_i32_e32 vcc_lo, s2, v0
	s_or_b32 s7, vcc_lo, s7
	v_add_co_u32 v5, s0, s28, v3
	s_delay_alu instid0(VALU_DEP_1) | instskip(SKIP_1) | instid1(VALU_DEP_1)
	v_add_co_ci_u32_e64 v6, s0, s29, v4, s0
	v_add_co_u32 v3, s0, s30, v3
	v_add_co_ci_u32_e64 v4, s0, s31, v4, s0
	global_store_b32 v[5:6], v1, off
	global_store_b32 v[3:4], v2, off
	s_and_not1_b32 exec_lo, exec_lo, s7
	s_cbranch_execz .LBB6_69
.LBB6_62:                               ; =>This Loop Header: Depth=1
                                        ;     Child Loop BB6_64 Depth 2
                                        ;     Child Loop BB6_68 Depth 2
	v_lshl_add_u32 v1, v0, 2, 0
	v_mov_b32_e32 v3, s3
	s_and_not1_b32 vcc_lo, exec_lo, s4
	s_mov_b32 s0, 0
	ds_load_2addr_stride64_b32 v[1:2], v1 offset1:4
	s_cbranch_vccnz .LBB6_66
; %bb.63:                               ;   in Loop: Header=BB6_62 Depth=1
	v_mov_b32_e32 v3, s3
	s_mov_b32 s8, 0
	s_set_inst_prefetch_distance 0x1
	.p2align	6
.LBB6_64:                               ;   Parent Loop BB6_62 Depth=1
                                        ; =>  This Inner Loop Header: Depth=2
	v_mov_b32_e32 v10, s8
	s_add_i32 s0, s0, 8
	s_add_i32 s8, s8, 32
	s_cmp_eq_u32 s5, s0
	ds_load_2addr_b32 v[4:5], v10 offset1:1
	ds_load_2addr_b32 v[6:7], v10 offset0:2 offset1:3
	ds_load_2addr_b32 v[8:9], v10 offset0:4 offset1:5
	;; [unrolled: 1-line block ×3, first 2 shown]
	s_waitcnt lgkmcnt(3)
	v_cmp_gt_i32_e32 vcc_lo, v1, v4
	v_cndmask_b32_e64 v4, 0, 1, vcc_lo
	s_waitcnt lgkmcnt(2)
	v_cmp_gt_i32_e32 vcc_lo, v1, v6
	v_cndmask_b32_e64 v6, 0, 1, vcc_lo
	v_cmp_gt_i32_e32 vcc_lo, v1, v5
	v_add_co_ci_u32_e32 v3, vcc_lo, v3, v4, vcc_lo
	s_waitcnt lgkmcnt(1)
	v_cmp_gt_i32_e32 vcc_lo, v1, v8
	v_cndmask_b32_e64 v4, 0, 1, vcc_lo
	v_cmp_gt_i32_e32 vcc_lo, v1, v7
	v_add_co_ci_u32_e32 v3, vcc_lo, v3, v6, vcc_lo
	;; [unrolled: 5-line block ×3, first 2 shown]
	v_cmp_gt_i32_e32 vcc_lo, v1, v11
	s_delay_alu instid0(VALU_DEP_2)
	v_add_co_ci_u32_e32 v3, vcc_lo, v3, v5, vcc_lo
	s_cbranch_scc0 .LBB6_64
; %bb.65:                               ;   in Loop: Header=BB6_62 Depth=1
	s_set_inst_prefetch_distance 0x2
	s_mov_b32 s0, s5
.LBB6_66:                               ;   in Loop: Header=BB6_62 Depth=1
	s_and_not1_b32 vcc_lo, exec_lo, s6
	s_cbranch_vccnz .LBB6_61
; %bb.67:                               ;   in Loop: Header=BB6_62 Depth=1
	s_lshl_b32 s0, s0, 2
	s_mov_b32 s8, s1
	s_add_i32 s0, s0, 0
.LBB6_68:                               ;   Parent Loop BB6_62 Depth=1
                                        ; =>  This Inner Loop Header: Depth=2
	s_delay_alu instid0(SALU_CYCLE_1)
	v_mov_b32_e32 v4, s0
	s_add_i32 s8, s8, -1
	s_add_i32 s0, s0, 4
	s_cmp_lg_u32 s8, 0
	ds_load_b32 v4, v4
	s_waitcnt lgkmcnt(0)
	v_cmp_gt_i32_e32 vcc_lo, v1, v4
	v_add_co_ci_u32_e32 v3, vcc_lo, 0, v3, vcc_lo
	s_cbranch_scc1 .LBB6_68
	s_branch .LBB6_61
.LBB6_69:
	s_nop 0
	s_sendmsg sendmsg(MSG_DEALLOC_VGPRS)
	s_endpgm
	.section	.rodata,"a",@progbits
	.p2align	6, 0x0
	.amdhsa_kernel _ZN9rocsparseL26csrgemm_fill_block_per_rowILj128ELj16ELj256ELj137ELj32EiifEEvT5_PKS1_S3_NS_24const_host_device_scalarIT6_EEPKT4_S3_PKS5_S9_S3_SB_S6_S9_S3_SB_S9_PS1_PS5_21rocsparse_index_base_SE_SE_SE_bbb
		.amdhsa_group_segment_fixed_size 0
		.amdhsa_private_segment_fixed_size 0
		.amdhsa_kernarg_size 156
		.amdhsa_user_sgpr_count 15
		.amdhsa_user_sgpr_dispatch_ptr 0
		.amdhsa_user_sgpr_queue_ptr 0
		.amdhsa_user_sgpr_kernarg_segment_ptr 1
		.amdhsa_user_sgpr_dispatch_id 0
		.amdhsa_user_sgpr_private_segment_size 0
		.amdhsa_wavefront_size32 1
		.amdhsa_uses_dynamic_stack 0
		.amdhsa_enable_private_segment 0
		.amdhsa_system_sgpr_workgroup_id_x 1
		.amdhsa_system_sgpr_workgroup_id_y 0
		.amdhsa_system_sgpr_workgroup_id_z 0
		.amdhsa_system_sgpr_workgroup_info 0
		.amdhsa_system_vgpr_workitem_id 0
		.amdhsa_next_free_vgpr 15
		.amdhsa_next_free_sgpr 44
		.amdhsa_reserve_vcc 1
		.amdhsa_float_round_mode_32 0
		.amdhsa_float_round_mode_16_64 0
		.amdhsa_float_denorm_mode_32 3
		.amdhsa_float_denorm_mode_16_64 3
		.amdhsa_dx10_clamp 1
		.amdhsa_ieee_mode 1
		.amdhsa_fp16_overflow 0
		.amdhsa_workgroup_processor_mode 1
		.amdhsa_memory_ordered 1
		.amdhsa_forward_progress 0
		.amdhsa_shared_vgpr_count 0
		.amdhsa_exception_fp_ieee_invalid_op 0
		.amdhsa_exception_fp_denorm_src 0
		.amdhsa_exception_fp_ieee_div_zero 0
		.amdhsa_exception_fp_ieee_overflow 0
		.amdhsa_exception_fp_ieee_underflow 0
		.amdhsa_exception_fp_ieee_inexact 0
		.amdhsa_exception_int_div_zero 0
	.end_amdhsa_kernel
	.section	.text._ZN9rocsparseL26csrgemm_fill_block_per_rowILj128ELj16ELj256ELj137ELj32EiifEEvT5_PKS1_S3_NS_24const_host_device_scalarIT6_EEPKT4_S3_PKS5_S9_S3_SB_S6_S9_S3_SB_S9_PS1_PS5_21rocsparse_index_base_SE_SE_SE_bbb,"axG",@progbits,_ZN9rocsparseL26csrgemm_fill_block_per_rowILj128ELj16ELj256ELj137ELj32EiifEEvT5_PKS1_S3_NS_24const_host_device_scalarIT6_EEPKT4_S3_PKS5_S9_S3_SB_S6_S9_S3_SB_S9_PS1_PS5_21rocsparse_index_base_SE_SE_SE_bbb,comdat
.Lfunc_end6:
	.size	_ZN9rocsparseL26csrgemm_fill_block_per_rowILj128ELj16ELj256ELj137ELj32EiifEEvT5_PKS1_S3_NS_24const_host_device_scalarIT6_EEPKT4_S3_PKS5_S9_S3_SB_S6_S9_S3_SB_S9_PS1_PS5_21rocsparse_index_base_SE_SE_SE_bbb, .Lfunc_end6-_ZN9rocsparseL26csrgemm_fill_block_per_rowILj128ELj16ELj256ELj137ELj32EiifEEvT5_PKS1_S3_NS_24const_host_device_scalarIT6_EEPKT4_S3_PKS5_S9_S3_SB_S6_S9_S3_SB_S9_PS1_PS5_21rocsparse_index_base_SE_SE_SE_bbb
                                        ; -- End function
	.section	.AMDGPU.csdata,"",@progbits
; Kernel info:
; codeLenInByte = 2464
; NumSgprs: 46
; NumVgprs: 15
; ScratchSize: 0
; MemoryBound: 0
; FloatMode: 240
; IeeeMode: 1
; LDSByteSize: 0 bytes/workgroup (compile time only)
; SGPRBlocks: 5
; VGPRBlocks: 1
; NumSGPRsForWavesPerEU: 46
; NumVGPRsForWavesPerEU: 15
; Occupancy: 16
; WaveLimiterHint : 1
; COMPUTE_PGM_RSRC2:SCRATCH_EN: 0
; COMPUTE_PGM_RSRC2:USER_SGPR: 15
; COMPUTE_PGM_RSRC2:TRAP_HANDLER: 0
; COMPUTE_PGM_RSRC2:TGID_X_EN: 1
; COMPUTE_PGM_RSRC2:TGID_Y_EN: 0
; COMPUTE_PGM_RSRC2:TGID_Z_EN: 0
; COMPUTE_PGM_RSRC2:TIDIG_COMP_CNT: 0
	.section	.text._ZN9rocsparseL26csrgemm_fill_block_per_rowILj128ELj16ELj256ELj137ELj64EiifEEvT5_PKS1_S3_NS_24const_host_device_scalarIT6_EEPKT4_S3_PKS5_S9_S3_SB_S6_S9_S3_SB_S9_PS1_PS5_21rocsparse_index_base_SE_SE_SE_bbb,"axG",@progbits,_ZN9rocsparseL26csrgemm_fill_block_per_rowILj128ELj16ELj256ELj137ELj64EiifEEvT5_PKS1_S3_NS_24const_host_device_scalarIT6_EEPKT4_S3_PKS5_S9_S3_SB_S6_S9_S3_SB_S9_PS1_PS5_21rocsparse_index_base_SE_SE_SE_bbb,comdat
	.globl	_ZN9rocsparseL26csrgemm_fill_block_per_rowILj128ELj16ELj256ELj137ELj64EiifEEvT5_PKS1_S3_NS_24const_host_device_scalarIT6_EEPKT4_S3_PKS5_S9_S3_SB_S6_S9_S3_SB_S9_PS1_PS5_21rocsparse_index_base_SE_SE_SE_bbb ; -- Begin function _ZN9rocsparseL26csrgemm_fill_block_per_rowILj128ELj16ELj256ELj137ELj64EiifEEvT5_PKS1_S3_NS_24const_host_device_scalarIT6_EEPKT4_S3_PKS5_S9_S3_SB_S6_S9_S3_SB_S9_PS1_PS5_21rocsparse_index_base_SE_SE_SE_bbb
	.p2align	8
	.type	_ZN9rocsparseL26csrgemm_fill_block_per_rowILj128ELj16ELj256ELj137ELj64EiifEEvT5_PKS1_S3_NS_24const_host_device_scalarIT6_EEPKT4_S3_PKS5_S9_S3_SB_S6_S9_S3_SB_S9_PS1_PS5_21rocsparse_index_base_SE_SE_SE_bbb,@function
_ZN9rocsparseL26csrgemm_fill_block_per_rowILj128ELj16ELj256ELj137ELj64EiifEEvT5_PKS1_S3_NS_24const_host_device_scalarIT6_EEPKT4_S3_PKS5_S9_S3_SB_S6_S9_S3_SB_S9_PS1_PS5_21rocsparse_index_base_SE_SE_SE_bbb: ; @_ZN9rocsparseL26csrgemm_fill_block_per_rowILj128ELj16ELj256ELj137ELj64EiifEEvT5_PKS1_S3_NS_24const_host_device_scalarIT6_EEPKT4_S3_PKS5_S9_S3_SB_S6_S9_S3_SB_S9_PS1_PS5_21rocsparse_index_base_SE_SE_SE_bbb
; %bb.0:
	s_clause 0x2
	s_load_b32 s6, s[0:1], 0x98
	s_load_b64 s[4:5], s[0:1], 0x18
	s_load_b64 s[2:3], s[0:1], 0x50
	s_waitcnt lgkmcnt(0)
	s_bitcmp1_b32 s6, 0
	s_cselect_b32 s14, -1, 0
	s_bitcmp1_b32 s6, 16
	s_cselect_b32 s7, -1, 0
	s_xor_b32 s8, s14, -1
	s_delay_alu instid0(SALU_CYCLE_1) | instskip(NEXT) | instid1(SALU_CYCLE_1)
	s_or_b32 s8, s8, s7
	s_and_b32 vcc_lo, exec_lo, s8
	s_cbranch_vccnz .LBB7_2
; %bb.1:
	s_load_b32 s4, s[4:5], 0x0
	s_waitcnt lgkmcnt(0)
	v_mov_b32_e32 v9, s4
	s_branch .LBB7_3
.LBB7_2:
	v_cndmask_b32_e64 v9, 0, s4, s14
.LBB7_3:
	s_load_b128 s[24:27], s[0:1], 0x88
	s_bitcmp1_b32 s6, 8
	s_cselect_b32 s13, -1, 0
	s_delay_alu instid0(SALU_CYCLE_1) | instskip(NEXT) | instid1(SALU_CYCLE_1)
	s_xor_b32 s4, s13, -1
	s_or_b32 s4, s4, s7
	s_delay_alu instid0(SALU_CYCLE_1)
	s_and_b32 vcc_lo, exec_lo, s4
	s_cbranch_vccnz .LBB7_5
; %bb.4:
	s_load_b32 s2, s[2:3], 0x0
	s_waitcnt lgkmcnt(0)
	v_mov_b32_e32 v7, s2
	s_branch .LBB7_6
.LBB7_5:
	v_cndmask_b32_e64 v7, 0, s2, s13
.LBB7_6:
	s_clause 0x5
	s_load_b128 s[28:31], s[0:1], 0x78
	s_load_b256 s[4:11], s[0:1], 0x58
	s_load_b128 s[36:39], s[0:1], 0x40
	s_load_b256 s[16:23], s[0:1], 0x20
	s_load_b128 s[40:43], s[0:1], 0x8
	s_load_b32 s12, s[0:1], 0x0
	v_cmp_gt_u32_e64 s0, 0x100, v0
	v_or_b32_e32 v5, 0xffffff80, v0
	v_lshl_add_u32 v6, v0, 2, 0
	s_delay_alu instid0(VALU_DEP_3)
	s_and_saveexec_b32 s1, s0
	s_cbranch_execz .LBB7_9
; %bb.7:
	v_or_b32_e32 v1, 0xffffff80, v0
	v_lshl_add_u32 v2, v0, 2, 0
	s_waitcnt lgkmcnt(0)
	v_dual_mov_b32 v3, s12 :: v_dual_mov_b32 v4, 0
	s_mov_b32 s2, 0
.LBB7_8:                                ; =>This Inner Loop Header: Depth=1
	v_add_co_u32 v1, s3, 0x80, v1
	s_delay_alu instid0(VALU_DEP_1) | instskip(SKIP_3) | instid1(SALU_CYCLE_1)
	s_xor_b32 s3, s3, -1
	ds_store_2addr_stride64_b32 v2, v3, v4 offset1:4
	v_add_nc_u32_e32 v2, 0x200, v2
	s_and_b32 s3, exec_lo, s3
	s_or_b32 s2, s3, s2
	s_delay_alu instid0(SALU_CYCLE_1)
	s_and_not1_b32 exec_lo, exec_lo, s2
	s_cbranch_execnz .LBB7_8
.LBB7_9:
	s_or_b32 exec_lo, exec_lo, s1
	s_waitcnt lgkmcnt(0)
	s_barrier
	buffer_gl0_inv
	s_load_b32 s1, s[40:41], 0x0
	s_mov_b32 s3, 0
	v_lshrrev_b32_e32 v8, 4, v0
	s_waitcnt lgkmcnt(0)
	s_add_i32 s2, s1, s15
	s_delay_alu instid0(SALU_CYCLE_1) | instskip(NEXT) | instid1(SALU_CYCLE_1)
	s_lshl_b64 s[2:3], s[2:3], 2
	s_add_u32 s2, s42, s2
	s_addc_u32 s3, s43, s3
	s_and_b32 vcc_lo, exec_lo, s14
	s_load_b32 s2, s[2:3], 0x0
	s_cbranch_vccz .LBB7_29
; %bb.10:
	s_waitcnt lgkmcnt(0)
	s_ashr_i32 s3, s2, 31
	v_subrev_nc_u32_e32 v1, s24, v8
	s_lshl_b64 s[14:15], s[2:3], 2
	s_mov_b32 s3, exec_lo
	s_add_u32 s14, s16, s14
	s_addc_u32 s15, s17, s15
	s_load_b64 s[14:15], s[14:15], 0x0
	s_waitcnt lgkmcnt(0)
	v_add_nc_u32_e32 v1, s14, v1
	s_sub_i32 s1, s15, s24
	s_delay_alu instid0(VALU_DEP_1) | instid1(SALU_CYCLE_1)
	v_cmpx_gt_i32_e64 s1, v1
	s_cbranch_execz .LBB7_28
; %bb.11:
	v_and_b32_e32 v2, 15, v0
	s_mov_b32 s14, 0
	s_delay_alu instid0(VALU_DEP_1)
	v_subrev_nc_u32_e32 v10, s25, v2
	s_branch .LBB7_13
.LBB7_12:                               ;   in Loop: Header=BB7_13 Depth=1
	s_or_b32 exec_lo, exec_lo, s15
	v_add_nc_u32_e32 v1, 8, v1
	s_delay_alu instid0(VALU_DEP_1) | instskip(SKIP_1) | instid1(SALU_CYCLE_1)
	v_cmp_le_i32_e32 vcc_lo, s1, v1
	s_or_b32 s14, vcc_lo, s14
	s_and_not1_b32 exec_lo, exec_lo, s14
	s_cbranch_execz .LBB7_28
.LBB7_13:                               ; =>This Loop Header: Depth=1
                                        ;     Child Loop BB7_16 Depth 2
                                        ;       Child Loop BB7_18 Depth 3
	v_ashrrev_i32_e32 v2, 31, v1
	s_mov_b32 s15, exec_lo
	s_delay_alu instid0(VALU_DEP_1) | instskip(NEXT) | instid1(VALU_DEP_1)
	v_lshlrev_b64 v[3:4], 2, v[1:2]
	v_add_co_u32 v11, vcc_lo, s18, v3
	s_delay_alu instid0(VALU_DEP_2) | instskip(SKIP_3) | instid1(VALU_DEP_1)
	v_add_co_ci_u32_e32 v12, vcc_lo, s19, v4, vcc_lo
	global_load_b32 v2, v[11:12], off
	s_waitcnt vmcnt(0)
	v_subrev_nc_u32_e32 v11, s24, v2
	v_ashrrev_i32_e32 v12, 31, v11
	s_delay_alu instid0(VALU_DEP_1) | instskip(NEXT) | instid1(VALU_DEP_1)
	v_lshlrev_b64 v[11:12], 2, v[11:12]
	v_add_co_u32 v11, vcc_lo, s22, v11
	s_delay_alu instid0(VALU_DEP_2) | instskip(SKIP_4) | instid1(VALU_DEP_1)
	v_add_co_ci_u32_e32 v12, vcc_lo, s23, v12, vcc_lo
	global_load_b64 v[12:13], v[11:12], off
	s_waitcnt vmcnt(0)
	v_subrev_nc_u32_e32 v11, s25, v13
	v_add_nc_u32_e32 v2, v12, v10
	v_cmpx_lt_i32_e64 v2, v11
	s_cbranch_execz .LBB7_12
; %bb.14:                               ;   in Loop: Header=BB7_13 Depth=1
	v_add_co_u32 v3, vcc_lo, s20, v3
	v_add_co_ci_u32_e32 v4, vcc_lo, s21, v4, vcc_lo
	s_mov_b32 s16, 0
	global_load_b32 v3, v[3:4], off
	s_waitcnt vmcnt(0)
	v_mul_f32_e32 v4, v9, v3
	s_branch .LBB7_16
.LBB7_15:                               ;   in Loop: Header=BB7_16 Depth=2
	s_or_b32 exec_lo, exec_lo, s17
	v_add_nc_u32_e32 v2, 16, v2
	s_delay_alu instid0(VALU_DEP_1) | instskip(SKIP_1) | instid1(SALU_CYCLE_1)
	v_cmp_ge_i32_e32 vcc_lo, v2, v11
	s_or_b32 s16, vcc_lo, s16
	s_and_not1_b32 exec_lo, exec_lo, s16
	s_cbranch_execz .LBB7_12
.LBB7_16:                               ;   Parent Loop BB7_13 Depth=1
                                        ; =>  This Loop Header: Depth=2
                                        ;       Child Loop BB7_18 Depth 3
	v_ashrrev_i32_e32 v3, 31, v2
	s_mov_b32 s17, 0
	s_delay_alu instid0(VALU_DEP_1) | instskip(NEXT) | instid1(VALU_DEP_1)
	v_lshlrev_b64 v[12:13], 2, v[2:3]
	v_add_co_u32 v14, vcc_lo, s36, v12
	s_delay_alu instid0(VALU_DEP_2)
	v_add_co_ci_u32_e32 v15, vcc_lo, s37, v13, vcc_lo
	v_add_co_u32 v12, vcc_lo, s38, v12
	v_add_co_ci_u32_e32 v13, vcc_lo, s39, v13, vcc_lo
	global_load_b32 v3, v[14:15], off
	global_load_b32 v12, v[12:13], off
	s_waitcnt vmcnt(1)
	v_subrev_nc_u32_e32 v3, s25, v3
	s_delay_alu instid0(VALU_DEP_1) | instskip(SKIP_1) | instid1(VALU_DEP_1)
	v_mul_lo_u32 v13, 0x89, v3
	s_waitcnt vmcnt(0)
	v_dual_mul_f32 v12, v4, v12 :: v_dual_and_b32 v13, 0xff, v13
	s_branch .LBB7_18
.LBB7_17:                               ;   in Loop: Header=BB7_18 Depth=3
	s_or_b32 exec_lo, exec_lo, s33
	s_xor_b32 s33, s34, -1
	s_delay_alu instid0(SALU_CYCLE_1) | instskip(NEXT) | instid1(SALU_CYCLE_1)
	s_and_b32 s33, exec_lo, s33
	s_or_b32 s17, s33, s17
	s_delay_alu instid0(SALU_CYCLE_1)
	s_and_not1_b32 exec_lo, exec_lo, s17
	s_cbranch_execz .LBB7_15
.LBB7_18:                               ;   Parent Loop BB7_13 Depth=1
                                        ;     Parent Loop BB7_16 Depth=2
                                        ; =>    This Inner Loop Header: Depth=3
	s_delay_alu instid0(VALU_DEP_1)
	v_lshl_add_u32 v14, v13, 2, 0
	s_mov_b32 s33, exec_lo
                                        ; implicit-def: $sgpr34
	ds_load_b32 v15, v14
	s_waitcnt lgkmcnt(0)
	v_cmpx_ne_u32_e64 v15, v3
	s_xor_b32 s33, exec_lo, s33
	s_cbranch_execz .LBB7_26
; %bb.19:                               ;   in Loop: Header=BB7_18 Depth=3
	s_mov_b32 s35, exec_lo
                                        ; implicit-def: $sgpr34
	v_cmpx_ne_u32_e64 s12, v15
	s_xor_b32 s35, exec_lo, s35
; %bb.20:                               ;   in Loop: Header=BB7_18 Depth=3
	v_add_nc_u32_e32 v13, 1, v13
	s_mov_b32 s34, -1
                                        ; implicit-def: $vgpr14
	s_delay_alu instid0(VALU_DEP_1)
	v_and_b32_e32 v13, 0xff, v13
; %bb.21:                               ;   in Loop: Header=BB7_18 Depth=3
	s_and_not1_saveexec_b32 s35, s35
	s_cbranch_execz .LBB7_25
; %bb.22:                               ;   in Loop: Header=BB7_18 Depth=3
	v_mov_b32_e32 v15, s12
	s_mov_b32 s40, -1
	s_mov_b32 s41, exec_lo
	ds_cmpstore_rtn_b32 v15, v14, v3, v15
	s_waitcnt lgkmcnt(0)
	v_cmpx_eq_u32_e64 s12, v15
	s_cbranch_execz .LBB7_24
; %bb.23:                               ;   in Loop: Header=BB7_18 Depth=3
	ds_add_f32 v14, v12 offset:1024
	s_xor_b32 s40, exec_lo, -1
.LBB7_24:                               ;   in Loop: Header=BB7_18 Depth=3
	s_or_b32 exec_lo, exec_lo, s41
	s_delay_alu instid0(SALU_CYCLE_1) | instskip(SKIP_1) | instid1(SALU_CYCLE_1)
	s_and_not1_b32 s34, s34, exec_lo
	s_and_b32 s40, s40, exec_lo
	s_or_b32 s34, s34, s40
.LBB7_25:                               ;   in Loop: Header=BB7_18 Depth=3
	s_or_b32 exec_lo, exec_lo, s35
	s_delay_alu instid0(SALU_CYCLE_1)
	s_and_b32 s34, s34, exec_lo
                                        ; implicit-def: $vgpr14
.LBB7_26:                               ;   in Loop: Header=BB7_18 Depth=3
	s_and_not1_saveexec_b32 s33, s33
	s_cbranch_execz .LBB7_17
; %bb.27:                               ;   in Loop: Header=BB7_18 Depth=3
	ds_add_f32 v14, v12 offset:1024
	s_and_not1_b32 s34, s34, exec_lo
	s_branch .LBB7_17
.LBB7_28:
	s_or_b32 exec_lo, exec_lo, s3
.LBB7_29:
	s_delay_alu instid0(SALU_CYCLE_1)
	s_and_not1_b32 vcc_lo, exec_lo, s13
	s_cbranch_vccnz .LBB7_46
; %bb.30:
	s_waitcnt lgkmcnt(0)
	s_ashr_i32 s3, s2, 31
	v_subrev_nc_u32_e32 v1, s27, v0
	s_lshl_b64 s[14:15], s[2:3], 2
	s_mov_b32 s3, exec_lo
	s_add_u32 s4, s4, s14
	s_addc_u32 s5, s5, s15
	s_load_b64 s[4:5], s[4:5], 0x0
	s_waitcnt lgkmcnt(0)
	v_add_nc_u32_e32 v1, s4, v1
	s_sub_i32 s1, s5, s27
	s_delay_alu instid0(VALU_DEP_1) | instid1(SALU_CYCLE_1)
	v_cmpx_gt_i32_e64 s1, v1
	s_cbranch_execz .LBB7_45
; %bb.31:
	s_mov_b32 s4, 0
	s_branch .LBB7_33
.LBB7_32:                               ;   in Loop: Header=BB7_33 Depth=1
	s_or_b32 exec_lo, exec_lo, s5
	v_add_nc_u32_e32 v1, 0x80, v1
	s_delay_alu instid0(VALU_DEP_1) | instskip(SKIP_1) | instid1(SALU_CYCLE_1)
	v_cmp_le_i32_e32 vcc_lo, s1, v1
	s_or_b32 s4, vcc_lo, s4
	s_and_not1_b32 exec_lo, exec_lo, s4
	s_cbranch_execz .LBB7_45
.LBB7_33:                               ; =>This Loop Header: Depth=1
                                        ;     Child Loop BB7_35 Depth 2
	v_ashrrev_i32_e32 v2, 31, v1
	s_mov_b32 s5, 0
	s_delay_alu instid0(VALU_DEP_1) | instskip(NEXT) | instid1(VALU_DEP_1)
	v_lshlrev_b64 v[2:3], 2, v[1:2]
	v_add_co_u32 v9, vcc_lo, s6, v2
	s_delay_alu instid0(VALU_DEP_2)
	v_add_co_ci_u32_e32 v10, vcc_lo, s7, v3, vcc_lo
	v_add_co_u32 v2, vcc_lo, s8, v2
	v_add_co_ci_u32_e32 v3, vcc_lo, s9, v3, vcc_lo
	global_load_b32 v4, v[9:10], off
	global_load_b32 v3, v[2:3], off
	s_waitcnt vmcnt(1)
	v_subrev_nc_u32_e32 v2, s27, v4
	s_delay_alu instid0(VALU_DEP_1) | instskip(SKIP_1) | instid1(VALU_DEP_1)
	v_mul_lo_u32 v4, 0x89, v2
	s_waitcnt vmcnt(0)
	v_dual_mul_f32 v3, v7, v3 :: v_dual_and_b32 v4, 0xff, v4
	s_branch .LBB7_35
.LBB7_34:                               ;   in Loop: Header=BB7_35 Depth=2
	s_or_b32 exec_lo, exec_lo, s13
	s_xor_b32 s13, s14, -1
	s_delay_alu instid0(SALU_CYCLE_1) | instskip(NEXT) | instid1(SALU_CYCLE_1)
	s_and_b32 s13, exec_lo, s13
	s_or_b32 s5, s13, s5
	s_delay_alu instid0(SALU_CYCLE_1)
	s_and_not1_b32 exec_lo, exec_lo, s5
	s_cbranch_execz .LBB7_32
.LBB7_35:                               ;   Parent Loop BB7_33 Depth=1
                                        ; =>  This Inner Loop Header: Depth=2
	s_delay_alu instid0(VALU_DEP_1)
	v_lshl_add_u32 v9, v4, 2, 0
	s_mov_b32 s13, exec_lo
                                        ; implicit-def: $sgpr14
	ds_load_b32 v10, v9
	s_waitcnt lgkmcnt(0)
	v_cmpx_ne_u32_e64 v10, v2
	s_xor_b32 s13, exec_lo, s13
	s_cbranch_execz .LBB7_43
; %bb.36:                               ;   in Loop: Header=BB7_35 Depth=2
	s_mov_b32 s15, exec_lo
                                        ; implicit-def: $sgpr14
	v_cmpx_ne_u32_e64 s12, v10
	s_xor_b32 s15, exec_lo, s15
; %bb.37:                               ;   in Loop: Header=BB7_35 Depth=2
	v_add_nc_u32_e32 v4, 1, v4
	s_mov_b32 s14, -1
                                        ; implicit-def: $vgpr9
	s_delay_alu instid0(VALU_DEP_1)
	v_and_b32_e32 v4, 0xff, v4
; %bb.38:                               ;   in Loop: Header=BB7_35 Depth=2
	s_and_not1_saveexec_b32 s15, s15
	s_cbranch_execz .LBB7_42
; %bb.39:                               ;   in Loop: Header=BB7_35 Depth=2
	v_mov_b32_e32 v10, s12
	s_mov_b32 s16, -1
	s_mov_b32 s17, exec_lo
	ds_cmpstore_rtn_b32 v10, v9, v2, v10
	s_waitcnt lgkmcnt(0)
	v_cmpx_eq_u32_e64 s12, v10
	s_cbranch_execz .LBB7_41
; %bb.40:                               ;   in Loop: Header=BB7_35 Depth=2
	ds_add_f32 v9, v3 offset:1024
	s_xor_b32 s16, exec_lo, -1
.LBB7_41:                               ;   in Loop: Header=BB7_35 Depth=2
	s_or_b32 exec_lo, exec_lo, s17
	s_delay_alu instid0(SALU_CYCLE_1) | instskip(SKIP_1) | instid1(SALU_CYCLE_1)
	s_and_not1_b32 s14, s14, exec_lo
	s_and_b32 s16, s16, exec_lo
	s_or_b32 s14, s14, s16
.LBB7_42:                               ;   in Loop: Header=BB7_35 Depth=2
	s_or_b32 exec_lo, exec_lo, s15
	s_delay_alu instid0(SALU_CYCLE_1)
	s_and_b32 s14, s14, exec_lo
                                        ; implicit-def: $vgpr9
.LBB7_43:                               ;   in Loop: Header=BB7_35 Depth=2
	s_and_not1_saveexec_b32 s13, s13
	s_cbranch_execz .LBB7_34
; %bb.44:                               ;   in Loop: Header=BB7_35 Depth=2
	ds_add_f32 v9, v3 offset:1024
	s_and_not1_b32 s14, s14, exec_lo
	s_branch .LBB7_34
.LBB7_45:
	s_or_b32 exec_lo, exec_lo, s3
.LBB7_46:
	s_waitcnt lgkmcnt(0)
	s_barrier
	buffer_gl0_inv
	s_and_saveexec_b32 s3, s0
	s_cbranch_execz .LBB7_55
; %bb.47:
	v_mbcnt_lo_u32_b32 v1, -1, 0
	v_dual_mov_b32 v7, 0 :: v_dual_and_b32 v2, 4, v8
	v_cmp_lt_u32_e32 vcc_lo, 63, v0
	v_cmp_eq_u32_e64 s0, 0x7f, v0
	s_delay_alu instid0(VALU_DEP_4) | instskip(NEXT) | instid1(VALU_DEP_4)
	v_xor_b32_e32 v1, 63, v1
	v_add_nc_u32_e32 v4, 0, v2
	v_mov_b32_e32 v8, 0
	s_mov_b32 s4, 0
	s_delay_alu instid0(VALU_DEP_3)
	v_lshrrev_b64 v[1:2], v1, -1
	s_branch .LBB7_49
.LBB7_48:                               ;   in Loop: Header=BB7_49 Depth=1
	s_or_b32 exec_lo, exec_lo, s1
	s_waitcnt lgkmcnt(0)
	s_barrier
	buffer_gl0_inv
	ds_load_b32 v2, v7 offset:2052
	v_add_co_u32 v5, s1, 0x80, v5
	s_delay_alu instid0(VALU_DEP_1) | instskip(SKIP_2) | instid1(SALU_CYCLE_1)
	s_xor_b32 s1, s1, -1
	v_add_nc_u32_e32 v6, 0x200, v6
	s_and_b32 s1, exec_lo, s1
	s_or_b32 s4, s1, s4
	s_waitcnt lgkmcnt(0)
	v_add_nc_u32_e32 v8, v2, v8
	s_and_not1_b32 exec_lo, exec_lo, s4
	s_cbranch_execz .LBB7_55
.LBB7_49:                               ; =>This Inner Loop Header: Depth=1
	ds_load_2addr_stride64_b32 v[2:3], v6 offset1:4
	s_waitcnt lgkmcnt(0)
	s_barrier
	buffer_gl0_inv
	v_cmp_gt_i32_e64 s1, s12, v2
	s_delay_alu instid0(VALU_DEP_1) | instskip(NEXT) | instid1(SALU_CYCLE_1)
	s_bcnt1_i32_b32 s5, s1
	v_dual_mov_b32 v10, s5 :: v_dual_and_b32 v9, s1, v1
	s_delay_alu instid0(VALU_DEP_1)
	v_bcnt_u32_b32 v9, v9, 0
	ds_store_b32 v4, v10 offset:2048
	s_waitcnt lgkmcnt(0)
	s_barrier
	buffer_gl0_inv
	s_and_saveexec_b32 s5, vcc_lo
	s_cbranch_execnz .LBB7_52
; %bb.50:                               ;   in Loop: Header=BB7_49 Depth=1
	s_or_b32 exec_lo, exec_lo, s5
	s_and_saveexec_b32 s5, s1
	s_cbranch_execnz .LBB7_53
.LBB7_51:                               ;   in Loop: Header=BB7_49 Depth=1
	s_or_b32 exec_lo, exec_lo, s5
	s_and_saveexec_b32 s1, s0
	s_cbranch_execz .LBB7_48
	s_branch .LBB7_54
.LBB7_52:                               ;   in Loop: Header=BB7_49 Depth=1
	ds_load_b32 v10, v7 offset:2048
	s_waitcnt lgkmcnt(0)
	v_add_nc_u32_e32 v9, v10, v9
	s_or_b32 exec_lo, exec_lo, s5
	s_and_saveexec_b32 s5, s1
	s_cbranch_execz .LBB7_51
.LBB7_53:                               ;   in Loop: Header=BB7_49 Depth=1
	s_delay_alu instid0(VALU_DEP_1) | instskip(NEXT) | instid1(VALU_DEP_1)
	v_add3_u32 v10, v8, -1, v9
	v_lshl_add_u32 v10, v10, 2, 0
	ds_store_2addr_stride64_b32 v10, v2, v3 offset1:4
	s_or_b32 exec_lo, exec_lo, s5
	s_and_saveexec_b32 s1, s0
	s_cbranch_execz .LBB7_48
.LBB7_54:                               ;   in Loop: Header=BB7_49 Depth=1
	ds_store_b32 v7, v9 offset:2052
	s_branch .LBB7_48
.LBB7_55:
	s_or_b32 exec_lo, exec_lo, s3
	s_ashr_i32 s3, s2, 31
	s_delay_alu instid0(SALU_CYCLE_1)
	s_lshl_b64 s[0:1], s[2:3], 2
	s_mov_b32 s3, exec_lo
	s_add_u32 s0, s10, s0
	s_addc_u32 s1, s11, s1
	s_load_b64 s[0:1], s[0:1], 0x0
	s_waitcnt lgkmcnt(0)
	s_sub_i32 s2, s1, s0
	s_delay_alu instid0(SALU_CYCLE_1)
	v_cmpx_gt_i32_e64 s2, v0
	s_cbranch_execz .LBB7_65
; %bb.56:
	s_sub_i32 s3, s0, s26
	s_sub_i32 s0, s0, s1
	s_and_b32 s1, s2, 7
	s_cmp_lt_u32 s0, -7
	s_mov_b32 s7, 0
	s_cselect_b32 s4, -1, 0
	s_and_b32 s5, s2, -8
	s_cmp_lg_u32 s1, 0
	s_cselect_b32 s6, -1, 0
	s_branch .LBB7_58
.LBB7_57:                               ;   in Loop: Header=BB7_58 Depth=1
	s_delay_alu instid0(VALU_DEP_1) | instskip(SKIP_3) | instid1(VALU_DEP_3)
	v_ashrrev_i32_e32 v4, 31, v3
	v_add_nc_u32_e32 v0, 0x80, v0
	s_waitcnt lgkmcnt(0)
	v_add_nc_u32_e32 v1, s26, v1
	v_lshlrev_b64 v[3:4], 2, v[3:4]
	s_delay_alu instid0(VALU_DEP_3) | instskip(SKIP_1) | instid1(VALU_DEP_2)
	v_cmp_le_i32_e32 vcc_lo, s2, v0
	s_or_b32 s7, vcc_lo, s7
	v_add_co_u32 v5, s0, s28, v3
	s_delay_alu instid0(VALU_DEP_1) | instskip(SKIP_1) | instid1(VALU_DEP_1)
	v_add_co_ci_u32_e64 v6, s0, s29, v4, s0
	v_add_co_u32 v3, s0, s30, v3
	v_add_co_ci_u32_e64 v4, s0, s31, v4, s0
	global_store_b32 v[5:6], v1, off
	global_store_b32 v[3:4], v2, off
	s_and_not1_b32 exec_lo, exec_lo, s7
	s_cbranch_execz .LBB7_65
.LBB7_58:                               ; =>This Loop Header: Depth=1
                                        ;     Child Loop BB7_60 Depth 2
                                        ;     Child Loop BB7_64 Depth 2
	v_lshl_add_u32 v1, v0, 2, 0
	v_mov_b32_e32 v3, s3
	s_and_not1_b32 vcc_lo, exec_lo, s4
	s_mov_b32 s0, 0
	ds_load_2addr_stride64_b32 v[1:2], v1 offset1:4
	s_cbranch_vccnz .LBB7_62
; %bb.59:                               ;   in Loop: Header=BB7_58 Depth=1
	v_mov_b32_e32 v3, s3
	s_mov_b32 s8, 0
	s_set_inst_prefetch_distance 0x1
	.p2align	6
.LBB7_60:                               ;   Parent Loop BB7_58 Depth=1
                                        ; =>  This Inner Loop Header: Depth=2
	v_mov_b32_e32 v10, s8
	s_add_i32 s0, s0, 8
	s_add_i32 s8, s8, 32
	s_cmp_eq_u32 s5, s0
	ds_load_2addr_b32 v[4:5], v10 offset1:1
	ds_load_2addr_b32 v[6:7], v10 offset0:2 offset1:3
	ds_load_2addr_b32 v[8:9], v10 offset0:4 offset1:5
	ds_load_2addr_b32 v[10:11], v10 offset0:6 offset1:7
	s_waitcnt lgkmcnt(3)
	v_cmp_gt_i32_e32 vcc_lo, v1, v4
	v_cndmask_b32_e64 v4, 0, 1, vcc_lo
	s_waitcnt lgkmcnt(2)
	v_cmp_gt_i32_e32 vcc_lo, v1, v6
	v_cndmask_b32_e64 v6, 0, 1, vcc_lo
	v_cmp_gt_i32_e32 vcc_lo, v1, v5
	v_add_co_ci_u32_e32 v3, vcc_lo, v3, v4, vcc_lo
	s_waitcnt lgkmcnt(1)
	v_cmp_gt_i32_e32 vcc_lo, v1, v8
	v_cndmask_b32_e64 v4, 0, 1, vcc_lo
	v_cmp_gt_i32_e32 vcc_lo, v1, v7
	v_add_co_ci_u32_e32 v3, vcc_lo, v3, v6, vcc_lo
	;; [unrolled: 5-line block ×3, first 2 shown]
	v_cmp_gt_i32_e32 vcc_lo, v1, v11
	s_delay_alu instid0(VALU_DEP_2)
	v_add_co_ci_u32_e32 v3, vcc_lo, v3, v5, vcc_lo
	s_cbranch_scc0 .LBB7_60
; %bb.61:                               ;   in Loop: Header=BB7_58 Depth=1
	s_set_inst_prefetch_distance 0x2
	s_mov_b32 s0, s5
.LBB7_62:                               ;   in Loop: Header=BB7_58 Depth=1
	s_and_not1_b32 vcc_lo, exec_lo, s6
	s_cbranch_vccnz .LBB7_57
; %bb.63:                               ;   in Loop: Header=BB7_58 Depth=1
	s_lshl_b32 s0, s0, 2
	s_mov_b32 s8, s1
	s_add_i32 s0, s0, 0
.LBB7_64:                               ;   Parent Loop BB7_58 Depth=1
                                        ; =>  This Inner Loop Header: Depth=2
	s_delay_alu instid0(SALU_CYCLE_1)
	v_mov_b32_e32 v4, s0
	s_add_i32 s8, s8, -1
	s_add_i32 s0, s0, 4
	s_cmp_lg_u32 s8, 0
	ds_load_b32 v4, v4
	s_waitcnt lgkmcnt(0)
	v_cmp_gt_i32_e32 vcc_lo, v1, v4
	v_add_co_ci_u32_e32 v3, vcc_lo, 0, v3, vcc_lo
	s_cbranch_scc1 .LBB7_64
	s_branch .LBB7_57
.LBB7_65:
	s_nop 0
	s_sendmsg sendmsg(MSG_DEALLOC_VGPRS)
	s_endpgm
	.section	.rodata,"a",@progbits
	.p2align	6, 0x0
	.amdhsa_kernel _ZN9rocsparseL26csrgemm_fill_block_per_rowILj128ELj16ELj256ELj137ELj64EiifEEvT5_PKS1_S3_NS_24const_host_device_scalarIT6_EEPKT4_S3_PKS5_S9_S3_SB_S6_S9_S3_SB_S9_PS1_PS5_21rocsparse_index_base_SE_SE_SE_bbb
		.amdhsa_group_segment_fixed_size 0
		.amdhsa_private_segment_fixed_size 0
		.amdhsa_kernarg_size 156
		.amdhsa_user_sgpr_count 15
		.amdhsa_user_sgpr_dispatch_ptr 0
		.amdhsa_user_sgpr_queue_ptr 0
		.amdhsa_user_sgpr_kernarg_segment_ptr 1
		.amdhsa_user_sgpr_dispatch_id 0
		.amdhsa_user_sgpr_private_segment_size 0
		.amdhsa_wavefront_size32 1
		.amdhsa_uses_dynamic_stack 0
		.amdhsa_enable_private_segment 0
		.amdhsa_system_sgpr_workgroup_id_x 1
		.amdhsa_system_sgpr_workgroup_id_y 0
		.amdhsa_system_sgpr_workgroup_id_z 0
		.amdhsa_system_sgpr_workgroup_info 0
		.amdhsa_system_vgpr_workitem_id 0
		.amdhsa_next_free_vgpr 16
		.amdhsa_next_free_sgpr 44
		.amdhsa_reserve_vcc 1
		.amdhsa_float_round_mode_32 0
		.amdhsa_float_round_mode_16_64 0
		.amdhsa_float_denorm_mode_32 3
		.amdhsa_float_denorm_mode_16_64 3
		.amdhsa_dx10_clamp 1
		.amdhsa_ieee_mode 1
		.amdhsa_fp16_overflow 0
		.amdhsa_workgroup_processor_mode 1
		.amdhsa_memory_ordered 1
		.amdhsa_forward_progress 0
		.amdhsa_shared_vgpr_count 0
		.amdhsa_exception_fp_ieee_invalid_op 0
		.amdhsa_exception_fp_denorm_src 0
		.amdhsa_exception_fp_ieee_div_zero 0
		.amdhsa_exception_fp_ieee_overflow 0
		.amdhsa_exception_fp_ieee_underflow 0
		.amdhsa_exception_fp_ieee_inexact 0
		.amdhsa_exception_int_div_zero 0
	.end_amdhsa_kernel
	.section	.text._ZN9rocsparseL26csrgemm_fill_block_per_rowILj128ELj16ELj256ELj137ELj64EiifEEvT5_PKS1_S3_NS_24const_host_device_scalarIT6_EEPKT4_S3_PKS5_S9_S3_SB_S6_S9_S3_SB_S9_PS1_PS5_21rocsparse_index_base_SE_SE_SE_bbb,"axG",@progbits,_ZN9rocsparseL26csrgemm_fill_block_per_rowILj128ELj16ELj256ELj137ELj64EiifEEvT5_PKS1_S3_NS_24const_host_device_scalarIT6_EEPKT4_S3_PKS5_S9_S3_SB_S6_S9_S3_SB_S9_PS1_PS5_21rocsparse_index_base_SE_SE_SE_bbb,comdat
.Lfunc_end7:
	.size	_ZN9rocsparseL26csrgemm_fill_block_per_rowILj128ELj16ELj256ELj137ELj64EiifEEvT5_PKS1_S3_NS_24const_host_device_scalarIT6_EEPKT4_S3_PKS5_S9_S3_SB_S6_S9_S3_SB_S9_PS1_PS5_21rocsparse_index_base_SE_SE_SE_bbb, .Lfunc_end7-_ZN9rocsparseL26csrgemm_fill_block_per_rowILj128ELj16ELj256ELj137ELj64EiifEEvT5_PKS1_S3_NS_24const_host_device_scalarIT6_EEPKT4_S3_PKS5_S9_S3_SB_S6_S9_S3_SB_S9_PS1_PS5_21rocsparse_index_base_SE_SE_SE_bbb
                                        ; -- End function
	.section	.AMDGPU.csdata,"",@progbits
; Kernel info:
; codeLenInByte = 2360
; NumSgprs: 46
; NumVgprs: 16
; ScratchSize: 0
; MemoryBound: 0
; FloatMode: 240
; IeeeMode: 1
; LDSByteSize: 0 bytes/workgroup (compile time only)
; SGPRBlocks: 5
; VGPRBlocks: 1
; NumSGPRsForWavesPerEU: 46
; NumVGPRsForWavesPerEU: 16
; Occupancy: 16
; WaveLimiterHint : 1
; COMPUTE_PGM_RSRC2:SCRATCH_EN: 0
; COMPUTE_PGM_RSRC2:USER_SGPR: 15
; COMPUTE_PGM_RSRC2:TRAP_HANDLER: 0
; COMPUTE_PGM_RSRC2:TGID_X_EN: 1
; COMPUTE_PGM_RSRC2:TGID_Y_EN: 0
; COMPUTE_PGM_RSRC2:TGID_Z_EN: 0
; COMPUTE_PGM_RSRC2:TIDIG_COMP_CNT: 0
	.section	.text._ZN9rocsparseL26csrgemm_fill_block_per_rowILj256ELj32ELj512ELj137ELj32EiifEEvT5_PKS1_S3_NS_24const_host_device_scalarIT6_EEPKT4_S3_PKS5_S9_S3_SB_S6_S9_S3_SB_S9_PS1_PS5_21rocsparse_index_base_SE_SE_SE_bbb,"axG",@progbits,_ZN9rocsparseL26csrgemm_fill_block_per_rowILj256ELj32ELj512ELj137ELj32EiifEEvT5_PKS1_S3_NS_24const_host_device_scalarIT6_EEPKT4_S3_PKS5_S9_S3_SB_S6_S9_S3_SB_S9_PS1_PS5_21rocsparse_index_base_SE_SE_SE_bbb,comdat
	.globl	_ZN9rocsparseL26csrgemm_fill_block_per_rowILj256ELj32ELj512ELj137ELj32EiifEEvT5_PKS1_S3_NS_24const_host_device_scalarIT6_EEPKT4_S3_PKS5_S9_S3_SB_S6_S9_S3_SB_S9_PS1_PS5_21rocsparse_index_base_SE_SE_SE_bbb ; -- Begin function _ZN9rocsparseL26csrgemm_fill_block_per_rowILj256ELj32ELj512ELj137ELj32EiifEEvT5_PKS1_S3_NS_24const_host_device_scalarIT6_EEPKT4_S3_PKS5_S9_S3_SB_S6_S9_S3_SB_S9_PS1_PS5_21rocsparse_index_base_SE_SE_SE_bbb
	.p2align	8
	.type	_ZN9rocsparseL26csrgemm_fill_block_per_rowILj256ELj32ELj512ELj137ELj32EiifEEvT5_PKS1_S3_NS_24const_host_device_scalarIT6_EEPKT4_S3_PKS5_S9_S3_SB_S6_S9_S3_SB_S9_PS1_PS5_21rocsparse_index_base_SE_SE_SE_bbb,@function
_ZN9rocsparseL26csrgemm_fill_block_per_rowILj256ELj32ELj512ELj137ELj32EiifEEvT5_PKS1_S3_NS_24const_host_device_scalarIT6_EEPKT4_S3_PKS5_S9_S3_SB_S6_S9_S3_SB_S9_PS1_PS5_21rocsparse_index_base_SE_SE_SE_bbb: ; @_ZN9rocsparseL26csrgemm_fill_block_per_rowILj256ELj32ELj512ELj137ELj32EiifEEvT5_PKS1_S3_NS_24const_host_device_scalarIT6_EEPKT4_S3_PKS5_S9_S3_SB_S6_S9_S3_SB_S9_PS1_PS5_21rocsparse_index_base_SE_SE_SE_bbb
; %bb.0:
	s_clause 0x2
	s_load_b32 s6, s[0:1], 0x98
	s_load_b64 s[4:5], s[0:1], 0x18
	s_load_b64 s[2:3], s[0:1], 0x50
	s_waitcnt lgkmcnt(0)
	s_bitcmp1_b32 s6, 0
	s_cselect_b32 s13, -1, 0
	s_bitcmp1_b32 s6, 16
	s_cselect_b32 s7, -1, 0
	s_xor_b32 s8, s13, -1
	s_delay_alu instid0(SALU_CYCLE_1) | instskip(NEXT) | instid1(SALU_CYCLE_1)
	s_or_b32 s8, s8, s7
	s_and_b32 vcc_lo, exec_lo, s8
	s_cbranch_vccnz .LBB8_2
; %bb.1:
	s_load_b32 s4, s[4:5], 0x0
	s_waitcnt lgkmcnt(0)
	v_mov_b32_e32 v9, s4
	s_branch .LBB8_3
.LBB8_2:
	v_cndmask_b32_e64 v9, 0, s4, s13
.LBB8_3:
	s_load_b128 s[24:27], s[0:1], 0x88
	s_bitcmp1_b32 s6, 8
	s_cselect_b32 s33, -1, 0
	s_delay_alu instid0(SALU_CYCLE_1) | instskip(NEXT) | instid1(SALU_CYCLE_1)
	s_xor_b32 s4, s33, -1
	s_or_b32 s4, s4, s7
	s_delay_alu instid0(SALU_CYCLE_1)
	s_and_b32 vcc_lo, exec_lo, s4
	s_cbranch_vccnz .LBB8_5
; %bb.4:
	s_load_b32 s2, s[2:3], 0x0
	s_waitcnt lgkmcnt(0)
	v_mov_b32_e32 v7, s2
	s_branch .LBB8_6
.LBB8_5:
	v_cndmask_b32_e64 v7, 0, s2, s33
.LBB8_6:
	s_clause 0x5
	s_load_b128 s[28:31], s[0:1], 0x78
	s_load_b256 s[4:11], s[0:1], 0x58
	s_load_b128 s[36:39], s[0:1], 0x40
	s_load_b256 s[16:23], s[0:1], 0x20
	s_load_b128 s[40:43], s[0:1], 0x8
	s_load_b32 s14, s[0:1], 0x0
	v_cmp_gt_u32_e64 s0, 0x200, v0
	v_or_b32_e32 v5, 0xffffff00, v0
	v_lshl_add_u32 v6, v0, 2, 0
	s_delay_alu instid0(VALU_DEP_3)
	s_and_saveexec_b32 s1, s0
	s_cbranch_execz .LBB8_9
; %bb.7:
	v_or_b32_e32 v1, 0xffffff00, v0
	v_lshl_add_u32 v2, v0, 2, 0
	s_waitcnt lgkmcnt(0)
	v_dual_mov_b32 v3, s14 :: v_dual_mov_b32 v4, 0
	s_mov_b32 s2, 0
.LBB8_8:                                ; =>This Inner Loop Header: Depth=1
	v_add_co_u32 v1, s3, 0x100, v1
	s_delay_alu instid0(VALU_DEP_1) | instskip(SKIP_3) | instid1(SALU_CYCLE_1)
	s_xor_b32 s3, s3, -1
	ds_store_2addr_stride64_b32 v2, v3, v4 offset1:8
	v_add_nc_u32_e32 v2, 0x400, v2
	s_and_b32 s3, exec_lo, s3
	s_or_b32 s2, s3, s2
	s_delay_alu instid0(SALU_CYCLE_1)
	s_and_not1_b32 exec_lo, exec_lo, s2
	s_cbranch_execnz .LBB8_8
.LBB8_9:
	s_or_b32 exec_lo, exec_lo, s1
	s_waitcnt lgkmcnt(0)
	s_barrier
	buffer_gl0_inv
	s_load_b32 s1, s[40:41], 0x0
	s_mov_b32 s3, 0
	v_lshrrev_b32_e32 v8, 5, v0
	s_waitcnt lgkmcnt(0)
	s_add_i32 s2, s1, s15
	s_delay_alu instid0(SALU_CYCLE_1) | instskip(NEXT) | instid1(SALU_CYCLE_1)
	s_lshl_b64 s[2:3], s[2:3], 2
	s_add_u32 s2, s42, s2
	s_addc_u32 s3, s43, s3
	s_and_b32 vcc_lo, exec_lo, s13
	s_load_b32 s12, s[2:3], 0x0
	s_cbranch_vccz .LBB8_29
; %bb.10:
	s_waitcnt lgkmcnt(0)
	s_ashr_i32 s13, s12, 31
	v_subrev_nc_u32_e32 v1, s24, v8
	s_lshl_b64 s[2:3], s[12:13], 2
	s_delay_alu instid0(SALU_CYCLE_1)
	s_add_u32 s2, s16, s2
	s_addc_u32 s3, s17, s3
	s_load_b64 s[2:3], s[2:3], 0x0
	s_waitcnt lgkmcnt(0)
	v_add_nc_u32_e32 v1, s2, v1
	s_sub_i32 s1, s3, s24
	s_mov_b32 s2, exec_lo
	s_delay_alu instid0(VALU_DEP_1)
	v_cmpx_gt_i32_e64 s1, v1
	s_cbranch_execz .LBB8_28
; %bb.11:
	v_and_b32_e32 v2, 31, v0
	s_mov_b32 s3, 0
	s_delay_alu instid0(VALU_DEP_1)
	v_subrev_nc_u32_e32 v10, s25, v2
	s_branch .LBB8_13
.LBB8_12:                               ;   in Loop: Header=BB8_13 Depth=1
	s_or_b32 exec_lo, exec_lo, s13
	v_add_nc_u32_e32 v1, 8, v1
	s_delay_alu instid0(VALU_DEP_1) | instskip(SKIP_1) | instid1(SALU_CYCLE_1)
	v_cmp_le_i32_e32 vcc_lo, s1, v1
	s_or_b32 s3, vcc_lo, s3
	s_and_not1_b32 exec_lo, exec_lo, s3
	s_cbranch_execz .LBB8_28
.LBB8_13:                               ; =>This Loop Header: Depth=1
                                        ;     Child Loop BB8_16 Depth 2
                                        ;       Child Loop BB8_18 Depth 3
	v_ashrrev_i32_e32 v2, 31, v1
	s_mov_b32 s13, exec_lo
	s_delay_alu instid0(VALU_DEP_1) | instskip(NEXT) | instid1(VALU_DEP_1)
	v_lshlrev_b64 v[3:4], 2, v[1:2]
	v_add_co_u32 v11, vcc_lo, s18, v3
	s_delay_alu instid0(VALU_DEP_2) | instskip(SKIP_3) | instid1(VALU_DEP_1)
	v_add_co_ci_u32_e32 v12, vcc_lo, s19, v4, vcc_lo
	global_load_b32 v2, v[11:12], off
	s_waitcnt vmcnt(0)
	v_subrev_nc_u32_e32 v11, s24, v2
	v_ashrrev_i32_e32 v12, 31, v11
	s_delay_alu instid0(VALU_DEP_1) | instskip(NEXT) | instid1(VALU_DEP_1)
	v_lshlrev_b64 v[11:12], 2, v[11:12]
	v_add_co_u32 v11, vcc_lo, s22, v11
	s_delay_alu instid0(VALU_DEP_2) | instskip(SKIP_4) | instid1(VALU_DEP_1)
	v_add_co_ci_u32_e32 v12, vcc_lo, s23, v12, vcc_lo
	global_load_b64 v[12:13], v[11:12], off
	s_waitcnt vmcnt(0)
	v_subrev_nc_u32_e32 v11, s25, v13
	v_add_nc_u32_e32 v2, v12, v10
	v_cmpx_lt_i32_e64 v2, v11
	s_cbranch_execz .LBB8_12
; %bb.14:                               ;   in Loop: Header=BB8_13 Depth=1
	v_add_co_u32 v3, vcc_lo, s20, v3
	v_add_co_ci_u32_e32 v4, vcc_lo, s21, v4, vcc_lo
	s_mov_b32 s15, 0
	global_load_b32 v3, v[3:4], off
	s_waitcnt vmcnt(0)
	v_mul_f32_e32 v4, v9, v3
	s_branch .LBB8_16
.LBB8_15:                               ;   in Loop: Header=BB8_16 Depth=2
	s_or_b32 exec_lo, exec_lo, s16
	v_add_nc_u32_e32 v2, 32, v2
	s_delay_alu instid0(VALU_DEP_1) | instskip(SKIP_1) | instid1(SALU_CYCLE_1)
	v_cmp_ge_i32_e32 vcc_lo, v2, v11
	s_or_b32 s15, vcc_lo, s15
	s_and_not1_b32 exec_lo, exec_lo, s15
	s_cbranch_execz .LBB8_12
.LBB8_16:                               ;   Parent Loop BB8_13 Depth=1
                                        ; =>  This Loop Header: Depth=2
                                        ;       Child Loop BB8_18 Depth 3
	v_ashrrev_i32_e32 v3, 31, v2
	s_mov_b32 s16, 0
	s_delay_alu instid0(VALU_DEP_1) | instskip(NEXT) | instid1(VALU_DEP_1)
	v_lshlrev_b64 v[12:13], 2, v[2:3]
	v_add_co_u32 v14, vcc_lo, s36, v12
	s_delay_alu instid0(VALU_DEP_2)
	v_add_co_ci_u32_e32 v15, vcc_lo, s37, v13, vcc_lo
	v_add_co_u32 v12, vcc_lo, s38, v12
	v_add_co_ci_u32_e32 v13, vcc_lo, s39, v13, vcc_lo
	global_load_b32 v3, v[14:15], off
	global_load_b32 v12, v[12:13], off
	s_waitcnt vmcnt(1)
	v_subrev_nc_u32_e32 v3, s25, v3
	s_delay_alu instid0(VALU_DEP_1) | instskip(SKIP_1) | instid1(VALU_DEP_1)
	v_mul_lo_u32 v13, 0x89, v3
	s_waitcnt vmcnt(0)
	v_dual_mul_f32 v12, v4, v12 :: v_dual_and_b32 v13, 0x1ff, v13
	s_branch .LBB8_18
.LBB8_17:                               ;   in Loop: Header=BB8_18 Depth=3
	s_or_b32 exec_lo, exec_lo, s17
	s_xor_b32 s17, s34, -1
	s_delay_alu instid0(SALU_CYCLE_1) | instskip(NEXT) | instid1(SALU_CYCLE_1)
	s_and_b32 s17, exec_lo, s17
	s_or_b32 s16, s17, s16
	s_delay_alu instid0(SALU_CYCLE_1)
	s_and_not1_b32 exec_lo, exec_lo, s16
	s_cbranch_execz .LBB8_15
.LBB8_18:                               ;   Parent Loop BB8_13 Depth=1
                                        ;     Parent Loop BB8_16 Depth=2
                                        ; =>    This Inner Loop Header: Depth=3
	s_delay_alu instid0(VALU_DEP_1)
	v_lshl_add_u32 v14, v13, 2, 0
	s_mov_b32 s17, exec_lo
                                        ; implicit-def: $sgpr34
	ds_load_b32 v15, v14
	s_waitcnt lgkmcnt(0)
	v_cmpx_ne_u32_e64 v15, v3
	s_xor_b32 s17, exec_lo, s17
	s_cbranch_execz .LBB8_26
; %bb.19:                               ;   in Loop: Header=BB8_18 Depth=3
	s_mov_b32 s35, exec_lo
                                        ; implicit-def: $sgpr34
	v_cmpx_ne_u32_e64 s14, v15
	s_xor_b32 s35, exec_lo, s35
; %bb.20:                               ;   in Loop: Header=BB8_18 Depth=3
	v_add_nc_u32_e32 v13, 1, v13
	s_mov_b32 s34, -1
                                        ; implicit-def: $vgpr14
	s_delay_alu instid0(VALU_DEP_1)
	v_and_b32_e32 v13, 0x1ff, v13
; %bb.21:                               ;   in Loop: Header=BB8_18 Depth=3
	s_and_not1_saveexec_b32 s35, s35
	s_cbranch_execz .LBB8_25
; %bb.22:                               ;   in Loop: Header=BB8_18 Depth=3
	v_mov_b32_e32 v15, s14
	s_mov_b32 s40, -1
	s_mov_b32 s41, exec_lo
	ds_cmpstore_rtn_b32 v15, v14, v3, v15
	s_waitcnt lgkmcnt(0)
	v_cmpx_eq_u32_e64 s14, v15
	s_cbranch_execz .LBB8_24
; %bb.23:                               ;   in Loop: Header=BB8_18 Depth=3
	ds_add_f32 v14, v12 offset:2048
	s_xor_b32 s40, exec_lo, -1
.LBB8_24:                               ;   in Loop: Header=BB8_18 Depth=3
	s_or_b32 exec_lo, exec_lo, s41
	s_delay_alu instid0(SALU_CYCLE_1) | instskip(SKIP_1) | instid1(SALU_CYCLE_1)
	s_and_not1_b32 s34, s34, exec_lo
	s_and_b32 s40, s40, exec_lo
	s_or_b32 s34, s34, s40
.LBB8_25:                               ;   in Loop: Header=BB8_18 Depth=3
	s_or_b32 exec_lo, exec_lo, s35
	s_delay_alu instid0(SALU_CYCLE_1)
	s_and_b32 s34, s34, exec_lo
                                        ; implicit-def: $vgpr14
.LBB8_26:                               ;   in Loop: Header=BB8_18 Depth=3
	s_and_not1_saveexec_b32 s17, s17
	s_cbranch_execz .LBB8_17
; %bb.27:                               ;   in Loop: Header=BB8_18 Depth=3
	ds_add_f32 v14, v12 offset:2048
	s_and_not1_b32 s34, s34, exec_lo
	s_branch .LBB8_17
.LBB8_28:
	s_or_b32 exec_lo, exec_lo, s2
.LBB8_29:
	s_delay_alu instid0(SALU_CYCLE_1)
	s_and_not1_b32 vcc_lo, exec_lo, s33
	s_cbranch_vccnz .LBB8_46
; %bb.30:
	s_waitcnt lgkmcnt(0)
	s_ashr_i32 s13, s12, 31
	v_subrev_nc_u32_e32 v1, s27, v0
	s_lshl_b64 s[2:3], s[12:13], 2
	s_delay_alu instid0(SALU_CYCLE_1)
	s_add_u32 s2, s4, s2
	s_addc_u32 s3, s5, s3
	s_load_b64 s[2:3], s[2:3], 0x0
	s_waitcnt lgkmcnt(0)
	v_add_nc_u32_e32 v1, s2, v1
	s_sub_i32 s1, s3, s27
	s_mov_b32 s2, exec_lo
	s_delay_alu instid0(VALU_DEP_1)
	v_cmpx_gt_i32_e64 s1, v1
	s_cbranch_execz .LBB8_45
; %bb.31:
	s_mov_b32 s3, 0
	s_branch .LBB8_33
.LBB8_32:                               ;   in Loop: Header=BB8_33 Depth=1
	s_or_b32 exec_lo, exec_lo, s4
	v_add_nc_u32_e32 v1, 0x100, v1
	s_delay_alu instid0(VALU_DEP_1) | instskip(SKIP_1) | instid1(SALU_CYCLE_1)
	v_cmp_le_i32_e32 vcc_lo, s1, v1
	s_or_b32 s3, vcc_lo, s3
	s_and_not1_b32 exec_lo, exec_lo, s3
	s_cbranch_execz .LBB8_45
.LBB8_33:                               ; =>This Loop Header: Depth=1
                                        ;     Child Loop BB8_35 Depth 2
	v_ashrrev_i32_e32 v2, 31, v1
	s_mov_b32 s4, 0
	s_delay_alu instid0(VALU_DEP_1) | instskip(NEXT) | instid1(VALU_DEP_1)
	v_lshlrev_b64 v[2:3], 2, v[1:2]
	v_add_co_u32 v9, vcc_lo, s6, v2
	s_delay_alu instid0(VALU_DEP_2)
	v_add_co_ci_u32_e32 v10, vcc_lo, s7, v3, vcc_lo
	v_add_co_u32 v2, vcc_lo, s8, v2
	v_add_co_ci_u32_e32 v3, vcc_lo, s9, v3, vcc_lo
	global_load_b32 v4, v[9:10], off
	global_load_b32 v3, v[2:3], off
	s_waitcnt vmcnt(1)
	v_subrev_nc_u32_e32 v2, s27, v4
	s_delay_alu instid0(VALU_DEP_1) | instskip(SKIP_1) | instid1(VALU_DEP_1)
	v_mul_lo_u32 v4, 0x89, v2
	s_waitcnt vmcnt(0)
	v_dual_mul_f32 v3, v7, v3 :: v_dual_and_b32 v4, 0x1ff, v4
	s_branch .LBB8_35
.LBB8_34:                               ;   in Loop: Header=BB8_35 Depth=2
	s_or_b32 exec_lo, exec_lo, s5
	s_xor_b32 s5, s13, -1
	s_delay_alu instid0(SALU_CYCLE_1) | instskip(NEXT) | instid1(SALU_CYCLE_1)
	s_and_b32 s5, exec_lo, s5
	s_or_b32 s4, s5, s4
	s_delay_alu instid0(SALU_CYCLE_1)
	s_and_not1_b32 exec_lo, exec_lo, s4
	s_cbranch_execz .LBB8_32
.LBB8_35:                               ;   Parent Loop BB8_33 Depth=1
                                        ; =>  This Inner Loop Header: Depth=2
	s_delay_alu instid0(VALU_DEP_1)
	v_lshl_add_u32 v9, v4, 2, 0
	s_mov_b32 s5, exec_lo
                                        ; implicit-def: $sgpr13
	ds_load_b32 v10, v9
	s_waitcnt lgkmcnt(0)
	v_cmpx_ne_u32_e64 v10, v2
	s_xor_b32 s5, exec_lo, s5
	s_cbranch_execz .LBB8_43
; %bb.36:                               ;   in Loop: Header=BB8_35 Depth=2
	s_mov_b32 s15, exec_lo
                                        ; implicit-def: $sgpr13
	v_cmpx_ne_u32_e64 s14, v10
	s_xor_b32 s15, exec_lo, s15
; %bb.37:                               ;   in Loop: Header=BB8_35 Depth=2
	v_add_nc_u32_e32 v4, 1, v4
	s_mov_b32 s13, -1
                                        ; implicit-def: $vgpr9
	s_delay_alu instid0(VALU_DEP_1)
	v_and_b32_e32 v4, 0x1ff, v4
; %bb.38:                               ;   in Loop: Header=BB8_35 Depth=2
	s_and_not1_saveexec_b32 s15, s15
	s_cbranch_execz .LBB8_42
; %bb.39:                               ;   in Loop: Header=BB8_35 Depth=2
	v_mov_b32_e32 v10, s14
	s_mov_b32 s16, -1
	s_mov_b32 s17, exec_lo
	ds_cmpstore_rtn_b32 v10, v9, v2, v10
	s_waitcnt lgkmcnt(0)
	v_cmpx_eq_u32_e64 s14, v10
	s_cbranch_execz .LBB8_41
; %bb.40:                               ;   in Loop: Header=BB8_35 Depth=2
	ds_add_f32 v9, v3 offset:2048
	s_xor_b32 s16, exec_lo, -1
.LBB8_41:                               ;   in Loop: Header=BB8_35 Depth=2
	s_or_b32 exec_lo, exec_lo, s17
	s_delay_alu instid0(SALU_CYCLE_1) | instskip(SKIP_1) | instid1(SALU_CYCLE_1)
	s_and_not1_b32 s13, s13, exec_lo
	s_and_b32 s16, s16, exec_lo
	s_or_b32 s13, s13, s16
.LBB8_42:                               ;   in Loop: Header=BB8_35 Depth=2
	s_or_b32 exec_lo, exec_lo, s15
	s_delay_alu instid0(SALU_CYCLE_1)
	s_and_b32 s13, s13, exec_lo
                                        ; implicit-def: $vgpr9
.LBB8_43:                               ;   in Loop: Header=BB8_35 Depth=2
	s_and_not1_saveexec_b32 s5, s5
	s_cbranch_execz .LBB8_34
; %bb.44:                               ;   in Loop: Header=BB8_35 Depth=2
	ds_add_f32 v9, v3 offset:2048
	s_and_not1_b32 s13, s13, exec_lo
	s_branch .LBB8_34
.LBB8_45:
	s_or_b32 exec_lo, exec_lo, s2
.LBB8_46:
	s_waitcnt lgkmcnt(0)
	s_barrier
	buffer_gl0_inv
	s_and_saveexec_b32 s8, s0
	s_cbranch_execz .LBB8_67
; %bb.47:
	v_mbcnt_lo_u32_b32 v1, -1, 0
	v_lshl_add_u32 v4, v8, 2, 0
	v_cmp_eq_u32_e32 vcc_lo, 0xff, v0
	v_cmp_lt_u32_e64 s0, 31, v0
	v_cmp_lt_u32_e64 s1, 63, v0
	v_xor_b32_e32 v1, 63, v1
	v_cmp_lt_u32_e64 s2, 0x5f, v0
	v_cmp_lt_u32_e64 s3, 0x7f, v0
	;; [unrolled: 1-line block ×4, first 2 shown]
	v_lshrrev_b64 v[1:2], v1, -1
	v_cmp_lt_u32_e64 s6, 0xdf, v0
	v_dual_mov_b32 v7, 0 :: v_dual_mov_b32 v8, 0
	s_mov_b32 s9, 0
	s_branch .LBB8_49
.LBB8_48:                               ;   in Loop: Header=BB8_49 Depth=1
	s_or_b32 exec_lo, exec_lo, s7
	s_waitcnt lgkmcnt(0)
	s_barrier
	buffer_gl0_inv
	ds_load_b32 v2, v7 offset:4124
	v_add_co_u32 v5, s7, 0x100, v5
	s_delay_alu instid0(VALU_DEP_1) | instskip(SKIP_2) | instid1(SALU_CYCLE_1)
	s_xor_b32 s7, s7, -1
	v_add_nc_u32_e32 v6, 0x400, v6
	s_and_b32 s7, exec_lo, s7
	s_or_b32 s9, s7, s9
	s_waitcnt lgkmcnt(0)
	v_add_nc_u32_e32 v8, v2, v8
	s_and_not1_b32 exec_lo, exec_lo, s9
	s_cbranch_execz .LBB8_67
.LBB8_49:                               ; =>This Inner Loop Header: Depth=1
	ds_load_2addr_stride64_b32 v[2:3], v6 offset1:8
	s_waitcnt lgkmcnt(0)
	s_barrier
	buffer_gl0_inv
	v_cmp_gt_i32_e64 s7, s14, v2
	s_delay_alu instid0(VALU_DEP_1) | instskip(NEXT) | instid1(SALU_CYCLE_1)
	s_bcnt1_i32_b32 s13, s7
	v_dual_mov_b32 v10, s13 :: v_dual_and_b32 v9, s7, v1
	s_delay_alu instid0(VALU_DEP_1)
	v_bcnt_u32_b32 v9, v9, 0
	ds_store_b32 v4, v10 offset:4096
	s_waitcnt lgkmcnt(0)
	s_barrier
	buffer_gl0_inv
	s_and_saveexec_b32 s13, s0
	s_cbranch_execnz .LBB8_58
; %bb.50:                               ;   in Loop: Header=BB8_49 Depth=1
	s_or_b32 exec_lo, exec_lo, s13
	s_and_saveexec_b32 s13, s1
	s_cbranch_execnz .LBB8_59
.LBB8_51:                               ;   in Loop: Header=BB8_49 Depth=1
	s_or_b32 exec_lo, exec_lo, s13
	s_and_saveexec_b32 s13, s2
	s_cbranch_execnz .LBB8_60
.LBB8_52:                               ;   in Loop: Header=BB8_49 Depth=1
	s_or_b32 exec_lo, exec_lo, s13
	s_and_saveexec_b32 s13, s3
	s_cbranch_execnz .LBB8_61
.LBB8_53:                               ;   in Loop: Header=BB8_49 Depth=1
	s_or_b32 exec_lo, exec_lo, s13
	s_and_saveexec_b32 s13, s4
	s_cbranch_execnz .LBB8_62
.LBB8_54:                               ;   in Loop: Header=BB8_49 Depth=1
	s_or_b32 exec_lo, exec_lo, s13
	s_and_saveexec_b32 s13, s5
	s_cbranch_execnz .LBB8_63
.LBB8_55:                               ;   in Loop: Header=BB8_49 Depth=1
	s_or_b32 exec_lo, exec_lo, s13
	s_and_saveexec_b32 s13, s6
	s_cbranch_execnz .LBB8_64
.LBB8_56:                               ;   in Loop: Header=BB8_49 Depth=1
	s_or_b32 exec_lo, exec_lo, s13
	s_and_saveexec_b32 s13, s7
	s_cbranch_execnz .LBB8_65
.LBB8_57:                               ;   in Loop: Header=BB8_49 Depth=1
	s_or_b32 exec_lo, exec_lo, s13
	s_and_saveexec_b32 s7, vcc_lo
	s_cbranch_execz .LBB8_48
	s_branch .LBB8_66
.LBB8_58:                               ;   in Loop: Header=BB8_49 Depth=1
	ds_load_b32 v10, v7 offset:4096
	s_waitcnt lgkmcnt(0)
	v_add_nc_u32_e32 v9, v10, v9
	s_or_b32 exec_lo, exec_lo, s13
	s_and_saveexec_b32 s13, s1
	s_cbranch_execz .LBB8_51
.LBB8_59:                               ;   in Loop: Header=BB8_49 Depth=1
	ds_load_b32 v10, v7 offset:4100
	s_waitcnt lgkmcnt(0)
	v_add_nc_u32_e32 v9, v10, v9
	s_or_b32 exec_lo, exec_lo, s13
	s_and_saveexec_b32 s13, s2
	s_cbranch_execz .LBB8_52
.LBB8_60:                               ;   in Loop: Header=BB8_49 Depth=1
	ds_load_b32 v10, v7 offset:4104
	s_waitcnt lgkmcnt(0)
	v_add_nc_u32_e32 v9, v10, v9
	s_or_b32 exec_lo, exec_lo, s13
	s_and_saveexec_b32 s13, s3
	s_cbranch_execz .LBB8_53
.LBB8_61:                               ;   in Loop: Header=BB8_49 Depth=1
	ds_load_b32 v10, v7 offset:4108
	s_waitcnt lgkmcnt(0)
	v_add_nc_u32_e32 v9, v10, v9
	s_or_b32 exec_lo, exec_lo, s13
	s_and_saveexec_b32 s13, s4
	s_cbranch_execz .LBB8_54
.LBB8_62:                               ;   in Loop: Header=BB8_49 Depth=1
	ds_load_b32 v10, v7 offset:4112
	s_waitcnt lgkmcnt(0)
	v_add_nc_u32_e32 v9, v10, v9
	s_or_b32 exec_lo, exec_lo, s13
	s_and_saveexec_b32 s13, s5
	s_cbranch_execz .LBB8_55
.LBB8_63:                               ;   in Loop: Header=BB8_49 Depth=1
	ds_load_b32 v10, v7 offset:4116
	s_waitcnt lgkmcnt(0)
	v_add_nc_u32_e32 v9, v10, v9
	s_or_b32 exec_lo, exec_lo, s13
	s_and_saveexec_b32 s13, s6
	s_cbranch_execz .LBB8_56
.LBB8_64:                               ;   in Loop: Header=BB8_49 Depth=1
	ds_load_b32 v10, v7 offset:4120
	s_waitcnt lgkmcnt(0)
	v_add_nc_u32_e32 v9, v10, v9
	s_or_b32 exec_lo, exec_lo, s13
	s_and_saveexec_b32 s13, s7
	s_cbranch_execz .LBB8_57
.LBB8_65:                               ;   in Loop: Header=BB8_49 Depth=1
	s_delay_alu instid0(VALU_DEP_1) | instskip(NEXT) | instid1(VALU_DEP_1)
	v_add3_u32 v10, v8, -1, v9
	v_lshl_add_u32 v10, v10, 2, 0
	ds_store_2addr_stride64_b32 v10, v2, v3 offset1:8
	s_or_b32 exec_lo, exec_lo, s13
	s_and_saveexec_b32 s7, vcc_lo
	s_cbranch_execz .LBB8_48
.LBB8_66:                               ;   in Loop: Header=BB8_49 Depth=1
	ds_store_b32 v7, v9 offset:4124
	s_branch .LBB8_48
.LBB8_67:
	s_or_b32 exec_lo, exec_lo, s8
	s_ashr_i32 s13, s12, 31
	s_mov_b32 s3, exec_lo
	s_lshl_b64 s[0:1], s[12:13], 2
	s_delay_alu instid0(SALU_CYCLE_1) | instskip(SKIP_4) | instid1(SALU_CYCLE_1)
	s_add_u32 s0, s10, s0
	s_addc_u32 s1, s11, s1
	s_load_b64 s[0:1], s[0:1], 0x0
	s_waitcnt lgkmcnt(0)
	s_sub_i32 s2, s1, s0
	v_cmpx_gt_i32_e64 s2, v0
	s_cbranch_execz .LBB8_77
; %bb.68:
	s_sub_i32 s3, s0, s26
	s_sub_i32 s0, s0, s1
	s_and_b32 s1, s2, 7
	s_cmp_lt_u32 s0, -7
	s_mov_b32 s7, 0
	s_cselect_b32 s4, -1, 0
	s_and_b32 s5, s2, -8
	s_cmp_lg_u32 s1, 0
	s_cselect_b32 s6, -1, 0
	s_branch .LBB8_70
.LBB8_69:                               ;   in Loop: Header=BB8_70 Depth=1
	s_delay_alu instid0(VALU_DEP_1) | instskip(SKIP_3) | instid1(VALU_DEP_3)
	v_ashrrev_i32_e32 v4, 31, v3
	v_add_nc_u32_e32 v0, 0x100, v0
	s_waitcnt lgkmcnt(0)
	v_add_nc_u32_e32 v1, s26, v1
	v_lshlrev_b64 v[3:4], 2, v[3:4]
	s_delay_alu instid0(VALU_DEP_3) | instskip(SKIP_1) | instid1(VALU_DEP_2)
	v_cmp_le_i32_e32 vcc_lo, s2, v0
	s_or_b32 s7, vcc_lo, s7
	v_add_co_u32 v5, s0, s28, v3
	s_delay_alu instid0(VALU_DEP_1) | instskip(SKIP_1) | instid1(VALU_DEP_1)
	v_add_co_ci_u32_e64 v6, s0, s29, v4, s0
	v_add_co_u32 v3, s0, s30, v3
	v_add_co_ci_u32_e64 v4, s0, s31, v4, s0
	global_store_b32 v[5:6], v1, off
	global_store_b32 v[3:4], v2, off
	s_and_not1_b32 exec_lo, exec_lo, s7
	s_cbranch_execz .LBB8_77
.LBB8_70:                               ; =>This Loop Header: Depth=1
                                        ;     Child Loop BB8_72 Depth 2
                                        ;     Child Loop BB8_76 Depth 2
	v_lshl_add_u32 v1, v0, 2, 0
	v_mov_b32_e32 v3, s3
	s_and_not1_b32 vcc_lo, exec_lo, s4
	s_mov_b32 s0, 0
	ds_load_2addr_stride64_b32 v[1:2], v1 offset1:8
	s_cbranch_vccnz .LBB8_74
; %bb.71:                               ;   in Loop: Header=BB8_70 Depth=1
	v_mov_b32_e32 v3, s3
	s_mov_b32 s8, 0
	s_set_inst_prefetch_distance 0x1
	.p2align	6
.LBB8_72:                               ;   Parent Loop BB8_70 Depth=1
                                        ; =>  This Inner Loop Header: Depth=2
	v_mov_b32_e32 v10, s8
	s_add_i32 s0, s0, 8
	s_add_i32 s8, s8, 32
	s_cmp_eq_u32 s5, s0
	ds_load_2addr_b32 v[4:5], v10 offset1:1
	ds_load_2addr_b32 v[6:7], v10 offset0:2 offset1:3
	ds_load_2addr_b32 v[8:9], v10 offset0:4 offset1:5
	;; [unrolled: 1-line block ×3, first 2 shown]
	s_waitcnt lgkmcnt(3)
	v_cmp_gt_i32_e32 vcc_lo, v1, v4
	v_cndmask_b32_e64 v4, 0, 1, vcc_lo
	s_waitcnt lgkmcnt(2)
	v_cmp_gt_i32_e32 vcc_lo, v1, v6
	v_cndmask_b32_e64 v6, 0, 1, vcc_lo
	v_cmp_gt_i32_e32 vcc_lo, v1, v5
	v_add_co_ci_u32_e32 v3, vcc_lo, v3, v4, vcc_lo
	s_waitcnt lgkmcnt(1)
	v_cmp_gt_i32_e32 vcc_lo, v1, v8
	v_cndmask_b32_e64 v4, 0, 1, vcc_lo
	v_cmp_gt_i32_e32 vcc_lo, v1, v7
	v_add_co_ci_u32_e32 v3, vcc_lo, v3, v6, vcc_lo
	;; [unrolled: 5-line block ×3, first 2 shown]
	v_cmp_gt_i32_e32 vcc_lo, v1, v11
	s_delay_alu instid0(VALU_DEP_2)
	v_add_co_ci_u32_e32 v3, vcc_lo, v3, v5, vcc_lo
	s_cbranch_scc0 .LBB8_72
; %bb.73:                               ;   in Loop: Header=BB8_70 Depth=1
	s_set_inst_prefetch_distance 0x2
	s_mov_b32 s0, s5
.LBB8_74:                               ;   in Loop: Header=BB8_70 Depth=1
	s_and_not1_b32 vcc_lo, exec_lo, s6
	s_cbranch_vccnz .LBB8_69
; %bb.75:                               ;   in Loop: Header=BB8_70 Depth=1
	s_lshl_b32 s0, s0, 2
	s_mov_b32 s8, s1
	s_add_i32 s0, s0, 0
.LBB8_76:                               ;   Parent Loop BB8_70 Depth=1
                                        ; =>  This Inner Loop Header: Depth=2
	s_delay_alu instid0(SALU_CYCLE_1)
	v_mov_b32_e32 v4, s0
	s_add_i32 s8, s8, -1
	s_add_i32 s0, s0, 4
	s_cmp_lg_u32 s8, 0
	ds_load_b32 v4, v4
	s_waitcnt lgkmcnt(0)
	v_cmp_gt_i32_e32 vcc_lo, v1, v4
	v_add_co_ci_u32_e32 v3, vcc_lo, 0, v3, vcc_lo
	s_cbranch_scc1 .LBB8_76
	s_branch .LBB8_69
.LBB8_77:
	s_nop 0
	s_sendmsg sendmsg(MSG_DEALLOC_VGPRS)
	s_endpgm
	.section	.rodata,"a",@progbits
	.p2align	6, 0x0
	.amdhsa_kernel _ZN9rocsparseL26csrgemm_fill_block_per_rowILj256ELj32ELj512ELj137ELj32EiifEEvT5_PKS1_S3_NS_24const_host_device_scalarIT6_EEPKT4_S3_PKS5_S9_S3_SB_S6_S9_S3_SB_S9_PS1_PS5_21rocsparse_index_base_SE_SE_SE_bbb
		.amdhsa_group_segment_fixed_size 0
		.amdhsa_private_segment_fixed_size 0
		.amdhsa_kernarg_size 156
		.amdhsa_user_sgpr_count 15
		.amdhsa_user_sgpr_dispatch_ptr 0
		.amdhsa_user_sgpr_queue_ptr 0
		.amdhsa_user_sgpr_kernarg_segment_ptr 1
		.amdhsa_user_sgpr_dispatch_id 0
		.amdhsa_user_sgpr_private_segment_size 0
		.amdhsa_wavefront_size32 1
		.amdhsa_uses_dynamic_stack 0
		.amdhsa_enable_private_segment 0
		.amdhsa_system_sgpr_workgroup_id_x 1
		.amdhsa_system_sgpr_workgroup_id_y 0
		.amdhsa_system_sgpr_workgroup_id_z 0
		.amdhsa_system_sgpr_workgroup_info 0
		.amdhsa_system_vgpr_workitem_id 0
		.amdhsa_next_free_vgpr 16
		.amdhsa_next_free_sgpr 44
		.amdhsa_reserve_vcc 1
		.amdhsa_float_round_mode_32 0
		.amdhsa_float_round_mode_16_64 0
		.amdhsa_float_denorm_mode_32 3
		.amdhsa_float_denorm_mode_16_64 3
		.amdhsa_dx10_clamp 1
		.amdhsa_ieee_mode 1
		.amdhsa_fp16_overflow 0
		.amdhsa_workgroup_processor_mode 1
		.amdhsa_memory_ordered 1
		.amdhsa_forward_progress 0
		.amdhsa_shared_vgpr_count 0
		.amdhsa_exception_fp_ieee_invalid_op 0
		.amdhsa_exception_fp_denorm_src 0
		.amdhsa_exception_fp_ieee_div_zero 0
		.amdhsa_exception_fp_ieee_overflow 0
		.amdhsa_exception_fp_ieee_underflow 0
		.amdhsa_exception_fp_ieee_inexact 0
		.amdhsa_exception_int_div_zero 0
	.end_amdhsa_kernel
	.section	.text._ZN9rocsparseL26csrgemm_fill_block_per_rowILj256ELj32ELj512ELj137ELj32EiifEEvT5_PKS1_S3_NS_24const_host_device_scalarIT6_EEPKT4_S3_PKS5_S9_S3_SB_S6_S9_S3_SB_S9_PS1_PS5_21rocsparse_index_base_SE_SE_SE_bbb,"axG",@progbits,_ZN9rocsparseL26csrgemm_fill_block_per_rowILj256ELj32ELj512ELj137ELj32EiifEEvT5_PKS1_S3_NS_24const_host_device_scalarIT6_EEPKT4_S3_PKS5_S9_S3_SB_S6_S9_S3_SB_S9_PS1_PS5_21rocsparse_index_base_SE_SE_SE_bbb,comdat
.Lfunc_end8:
	.size	_ZN9rocsparseL26csrgemm_fill_block_per_rowILj256ELj32ELj512ELj137ELj32EiifEEvT5_PKS1_S3_NS_24const_host_device_scalarIT6_EEPKT4_S3_PKS5_S9_S3_SB_S6_S9_S3_SB_S9_PS1_PS5_21rocsparse_index_base_SE_SE_SE_bbb, .Lfunc_end8-_ZN9rocsparseL26csrgemm_fill_block_per_rowILj256ELj32ELj512ELj137ELj32EiifEEvT5_PKS1_S3_NS_24const_host_device_scalarIT6_EEPKT4_S3_PKS5_S9_S3_SB_S6_S9_S3_SB_S9_PS1_PS5_21rocsparse_index_base_SE_SE_SE_bbb
                                        ; -- End function
	.section	.AMDGPU.csdata,"",@progbits
; Kernel info:
; codeLenInByte = 2664
; NumSgprs: 46
; NumVgprs: 16
; ScratchSize: 0
; MemoryBound: 0
; FloatMode: 240
; IeeeMode: 1
; LDSByteSize: 0 bytes/workgroup (compile time only)
; SGPRBlocks: 5
; VGPRBlocks: 1
; NumSGPRsForWavesPerEU: 46
; NumVGPRsForWavesPerEU: 16
; Occupancy: 16
; WaveLimiterHint : 1
; COMPUTE_PGM_RSRC2:SCRATCH_EN: 0
; COMPUTE_PGM_RSRC2:USER_SGPR: 15
; COMPUTE_PGM_RSRC2:TRAP_HANDLER: 0
; COMPUTE_PGM_RSRC2:TGID_X_EN: 1
; COMPUTE_PGM_RSRC2:TGID_Y_EN: 0
; COMPUTE_PGM_RSRC2:TGID_Z_EN: 0
; COMPUTE_PGM_RSRC2:TIDIG_COMP_CNT: 0
	.section	.text._ZN9rocsparseL26csrgemm_fill_block_per_rowILj256ELj32ELj512ELj137ELj64EiifEEvT5_PKS1_S3_NS_24const_host_device_scalarIT6_EEPKT4_S3_PKS5_S9_S3_SB_S6_S9_S3_SB_S9_PS1_PS5_21rocsparse_index_base_SE_SE_SE_bbb,"axG",@progbits,_ZN9rocsparseL26csrgemm_fill_block_per_rowILj256ELj32ELj512ELj137ELj64EiifEEvT5_PKS1_S3_NS_24const_host_device_scalarIT6_EEPKT4_S3_PKS5_S9_S3_SB_S6_S9_S3_SB_S9_PS1_PS5_21rocsparse_index_base_SE_SE_SE_bbb,comdat
	.globl	_ZN9rocsparseL26csrgemm_fill_block_per_rowILj256ELj32ELj512ELj137ELj64EiifEEvT5_PKS1_S3_NS_24const_host_device_scalarIT6_EEPKT4_S3_PKS5_S9_S3_SB_S6_S9_S3_SB_S9_PS1_PS5_21rocsparse_index_base_SE_SE_SE_bbb ; -- Begin function _ZN9rocsparseL26csrgemm_fill_block_per_rowILj256ELj32ELj512ELj137ELj64EiifEEvT5_PKS1_S3_NS_24const_host_device_scalarIT6_EEPKT4_S3_PKS5_S9_S3_SB_S6_S9_S3_SB_S9_PS1_PS5_21rocsparse_index_base_SE_SE_SE_bbb
	.p2align	8
	.type	_ZN9rocsparseL26csrgemm_fill_block_per_rowILj256ELj32ELj512ELj137ELj64EiifEEvT5_PKS1_S3_NS_24const_host_device_scalarIT6_EEPKT4_S3_PKS5_S9_S3_SB_S6_S9_S3_SB_S9_PS1_PS5_21rocsparse_index_base_SE_SE_SE_bbb,@function
_ZN9rocsparseL26csrgemm_fill_block_per_rowILj256ELj32ELj512ELj137ELj64EiifEEvT5_PKS1_S3_NS_24const_host_device_scalarIT6_EEPKT4_S3_PKS5_S9_S3_SB_S6_S9_S3_SB_S9_PS1_PS5_21rocsparse_index_base_SE_SE_SE_bbb: ; @_ZN9rocsparseL26csrgemm_fill_block_per_rowILj256ELj32ELj512ELj137ELj64EiifEEvT5_PKS1_S3_NS_24const_host_device_scalarIT6_EEPKT4_S3_PKS5_S9_S3_SB_S6_S9_S3_SB_S9_PS1_PS5_21rocsparse_index_base_SE_SE_SE_bbb
; %bb.0:
	s_clause 0x2
	s_load_b32 s6, s[0:1], 0x98
	s_load_b64 s[4:5], s[0:1], 0x18
	s_load_b64 s[2:3], s[0:1], 0x50
	s_waitcnt lgkmcnt(0)
	s_bitcmp1_b32 s6, 0
	s_cselect_b32 s13, -1, 0
	s_bitcmp1_b32 s6, 16
	s_cselect_b32 s7, -1, 0
	s_xor_b32 s8, s13, -1
	s_delay_alu instid0(SALU_CYCLE_1) | instskip(NEXT) | instid1(SALU_CYCLE_1)
	s_or_b32 s8, s8, s7
	s_and_b32 vcc_lo, exec_lo, s8
	s_cbranch_vccnz .LBB9_2
; %bb.1:
	s_load_b32 s4, s[4:5], 0x0
	s_waitcnt lgkmcnt(0)
	v_mov_b32_e32 v8, s4
	s_branch .LBB9_3
.LBB9_2:
	v_cndmask_b32_e64 v8, 0, s4, s13
.LBB9_3:
	s_load_b128 s[24:27], s[0:1], 0x88
	s_bitcmp1_b32 s6, 8
	s_cselect_b32 s33, -1, 0
	s_delay_alu instid0(SALU_CYCLE_1) | instskip(NEXT) | instid1(SALU_CYCLE_1)
	s_xor_b32 s4, s33, -1
	s_or_b32 s4, s4, s7
	s_delay_alu instid0(SALU_CYCLE_1)
	s_and_b32 vcc_lo, exec_lo, s4
	s_cbranch_vccnz .LBB9_5
; %bb.4:
	s_load_b32 s2, s[2:3], 0x0
	s_waitcnt lgkmcnt(0)
	v_mov_b32_e32 v7, s2
	s_branch .LBB9_6
.LBB9_5:
	v_cndmask_b32_e64 v7, 0, s2, s33
.LBB9_6:
	s_clause 0x5
	s_load_b128 s[28:31], s[0:1], 0x78
	s_load_b256 s[4:11], s[0:1], 0x58
	s_load_b128 s[36:39], s[0:1], 0x40
	s_load_b256 s[16:23], s[0:1], 0x20
	s_load_b128 s[40:43], s[0:1], 0x8
	s_load_b32 s14, s[0:1], 0x0
	v_cmp_gt_u32_e64 s0, 0x200, v0
	v_or_b32_e32 v5, 0xffffff00, v0
	v_lshl_add_u32 v6, v0, 2, 0
	s_delay_alu instid0(VALU_DEP_3)
	s_and_saveexec_b32 s1, s0
	s_cbranch_execz .LBB9_9
; %bb.7:
	v_or_b32_e32 v1, 0xffffff00, v0
	v_lshl_add_u32 v2, v0, 2, 0
	s_waitcnt lgkmcnt(0)
	v_dual_mov_b32 v3, s14 :: v_dual_mov_b32 v4, 0
	s_mov_b32 s2, 0
.LBB9_8:                                ; =>This Inner Loop Header: Depth=1
	v_add_co_u32 v1, s3, 0x100, v1
	s_delay_alu instid0(VALU_DEP_1) | instskip(SKIP_3) | instid1(SALU_CYCLE_1)
	s_xor_b32 s3, s3, -1
	ds_store_2addr_stride64_b32 v2, v3, v4 offset1:8
	v_add_nc_u32_e32 v2, 0x400, v2
	s_and_b32 s3, exec_lo, s3
	s_or_b32 s2, s3, s2
	s_delay_alu instid0(SALU_CYCLE_1)
	s_and_not1_b32 exec_lo, exec_lo, s2
	s_cbranch_execnz .LBB9_8
.LBB9_9:
	s_or_b32 exec_lo, exec_lo, s1
	s_waitcnt lgkmcnt(0)
	s_barrier
	buffer_gl0_inv
	s_load_b32 s1, s[40:41], 0x0
	s_mov_b32 s3, 0
	s_waitcnt lgkmcnt(0)
	s_add_i32 s2, s1, s15
	s_delay_alu instid0(SALU_CYCLE_1) | instskip(NEXT) | instid1(SALU_CYCLE_1)
	s_lshl_b64 s[2:3], s[2:3], 2
	s_add_u32 s2, s42, s2
	s_addc_u32 s3, s43, s3
	s_and_b32 vcc_lo, exec_lo, s13
	s_load_b32 s12, s[2:3], 0x0
	s_cbranch_vccz .LBB9_29
; %bb.10:
	s_waitcnt lgkmcnt(0)
	s_ashr_i32 s13, s12, 31
	v_lshrrev_b32_e32 v1, 5, v0
	s_lshl_b64 s[2:3], s[12:13], 2
	s_delay_alu instid0(SALU_CYCLE_1) | instskip(SKIP_1) | instid1(VALU_DEP_1)
	s_add_u32 s2, s16, s2
	s_addc_u32 s3, s17, s3
	v_subrev_nc_u32_e32 v1, s24, v1
	s_load_b64 s[2:3], s[2:3], 0x0
	s_waitcnt lgkmcnt(0)
	s_delay_alu instid0(VALU_DEP_1) | instskip(SKIP_2) | instid1(VALU_DEP_1)
	v_add_nc_u32_e32 v1, s2, v1
	s_sub_i32 s1, s3, s24
	s_mov_b32 s2, exec_lo
	v_cmpx_gt_i32_e64 s1, v1
	s_cbranch_execz .LBB9_28
; %bb.11:
	v_and_b32_e32 v2, 31, v0
	s_mov_b32 s3, 0
	s_delay_alu instid0(VALU_DEP_1)
	v_subrev_nc_u32_e32 v9, s25, v2
	s_branch .LBB9_13
.LBB9_12:                               ;   in Loop: Header=BB9_13 Depth=1
	s_or_b32 exec_lo, exec_lo, s13
	v_add_nc_u32_e32 v1, 8, v1
	s_delay_alu instid0(VALU_DEP_1) | instskip(SKIP_1) | instid1(SALU_CYCLE_1)
	v_cmp_le_i32_e32 vcc_lo, s1, v1
	s_or_b32 s3, vcc_lo, s3
	s_and_not1_b32 exec_lo, exec_lo, s3
	s_cbranch_execz .LBB9_28
.LBB9_13:                               ; =>This Loop Header: Depth=1
                                        ;     Child Loop BB9_16 Depth 2
                                        ;       Child Loop BB9_18 Depth 3
	v_ashrrev_i32_e32 v2, 31, v1
	s_mov_b32 s13, exec_lo
	s_delay_alu instid0(VALU_DEP_1) | instskip(NEXT) | instid1(VALU_DEP_1)
	v_lshlrev_b64 v[3:4], 2, v[1:2]
	v_add_co_u32 v10, vcc_lo, s18, v3
	s_delay_alu instid0(VALU_DEP_2) | instskip(SKIP_3) | instid1(VALU_DEP_1)
	v_add_co_ci_u32_e32 v11, vcc_lo, s19, v4, vcc_lo
	global_load_b32 v2, v[10:11], off
	s_waitcnt vmcnt(0)
	v_subrev_nc_u32_e32 v10, s24, v2
	v_ashrrev_i32_e32 v11, 31, v10
	s_delay_alu instid0(VALU_DEP_1) | instskip(NEXT) | instid1(VALU_DEP_1)
	v_lshlrev_b64 v[10:11], 2, v[10:11]
	v_add_co_u32 v10, vcc_lo, s22, v10
	s_delay_alu instid0(VALU_DEP_2) | instskip(SKIP_4) | instid1(VALU_DEP_1)
	v_add_co_ci_u32_e32 v11, vcc_lo, s23, v11, vcc_lo
	global_load_b64 v[11:12], v[10:11], off
	s_waitcnt vmcnt(0)
	v_subrev_nc_u32_e32 v10, s25, v12
	v_add_nc_u32_e32 v2, v11, v9
	v_cmpx_lt_i32_e64 v2, v10
	s_cbranch_execz .LBB9_12
; %bb.14:                               ;   in Loop: Header=BB9_13 Depth=1
	v_add_co_u32 v3, vcc_lo, s20, v3
	v_add_co_ci_u32_e32 v4, vcc_lo, s21, v4, vcc_lo
	s_mov_b32 s15, 0
	global_load_b32 v3, v[3:4], off
	s_waitcnt vmcnt(0)
	v_mul_f32_e32 v4, v8, v3
	s_branch .LBB9_16
.LBB9_15:                               ;   in Loop: Header=BB9_16 Depth=2
	s_or_b32 exec_lo, exec_lo, s16
	v_add_nc_u32_e32 v2, 32, v2
	s_delay_alu instid0(VALU_DEP_1) | instskip(SKIP_1) | instid1(SALU_CYCLE_1)
	v_cmp_ge_i32_e32 vcc_lo, v2, v10
	s_or_b32 s15, vcc_lo, s15
	s_and_not1_b32 exec_lo, exec_lo, s15
	s_cbranch_execz .LBB9_12
.LBB9_16:                               ;   Parent Loop BB9_13 Depth=1
                                        ; =>  This Loop Header: Depth=2
                                        ;       Child Loop BB9_18 Depth 3
	v_ashrrev_i32_e32 v3, 31, v2
	s_mov_b32 s16, 0
	s_delay_alu instid0(VALU_DEP_1) | instskip(NEXT) | instid1(VALU_DEP_1)
	v_lshlrev_b64 v[11:12], 2, v[2:3]
	v_add_co_u32 v13, vcc_lo, s36, v11
	s_delay_alu instid0(VALU_DEP_2)
	v_add_co_ci_u32_e32 v14, vcc_lo, s37, v12, vcc_lo
	v_add_co_u32 v11, vcc_lo, s38, v11
	v_add_co_ci_u32_e32 v12, vcc_lo, s39, v12, vcc_lo
	global_load_b32 v3, v[13:14], off
	global_load_b32 v11, v[11:12], off
	s_waitcnt vmcnt(1)
	v_subrev_nc_u32_e32 v3, s25, v3
	s_delay_alu instid0(VALU_DEP_1) | instskip(SKIP_1) | instid1(VALU_DEP_1)
	v_mul_lo_u32 v12, 0x89, v3
	s_waitcnt vmcnt(0)
	v_dual_mul_f32 v11, v4, v11 :: v_dual_and_b32 v12, 0x1ff, v12
	s_branch .LBB9_18
.LBB9_17:                               ;   in Loop: Header=BB9_18 Depth=3
	s_or_b32 exec_lo, exec_lo, s17
	s_xor_b32 s17, s34, -1
	s_delay_alu instid0(SALU_CYCLE_1) | instskip(NEXT) | instid1(SALU_CYCLE_1)
	s_and_b32 s17, exec_lo, s17
	s_or_b32 s16, s17, s16
	s_delay_alu instid0(SALU_CYCLE_1)
	s_and_not1_b32 exec_lo, exec_lo, s16
	s_cbranch_execz .LBB9_15
.LBB9_18:                               ;   Parent Loop BB9_13 Depth=1
                                        ;     Parent Loop BB9_16 Depth=2
                                        ; =>    This Inner Loop Header: Depth=3
	s_delay_alu instid0(VALU_DEP_1)
	v_lshl_add_u32 v13, v12, 2, 0
	s_mov_b32 s17, exec_lo
                                        ; implicit-def: $sgpr34
	ds_load_b32 v14, v13
	s_waitcnt lgkmcnt(0)
	v_cmpx_ne_u32_e64 v14, v3
	s_xor_b32 s17, exec_lo, s17
	s_cbranch_execz .LBB9_26
; %bb.19:                               ;   in Loop: Header=BB9_18 Depth=3
	s_mov_b32 s35, exec_lo
                                        ; implicit-def: $sgpr34
	v_cmpx_ne_u32_e64 s14, v14
	s_xor_b32 s35, exec_lo, s35
; %bb.20:                               ;   in Loop: Header=BB9_18 Depth=3
	v_add_nc_u32_e32 v12, 1, v12
	s_mov_b32 s34, -1
                                        ; implicit-def: $vgpr13
	s_delay_alu instid0(VALU_DEP_1)
	v_and_b32_e32 v12, 0x1ff, v12
; %bb.21:                               ;   in Loop: Header=BB9_18 Depth=3
	s_and_not1_saveexec_b32 s35, s35
	s_cbranch_execz .LBB9_25
; %bb.22:                               ;   in Loop: Header=BB9_18 Depth=3
	v_mov_b32_e32 v14, s14
	s_mov_b32 s40, -1
	s_mov_b32 s41, exec_lo
	ds_cmpstore_rtn_b32 v14, v13, v3, v14
	s_waitcnt lgkmcnt(0)
	v_cmpx_eq_u32_e64 s14, v14
	s_cbranch_execz .LBB9_24
; %bb.23:                               ;   in Loop: Header=BB9_18 Depth=3
	ds_add_f32 v13, v11 offset:2048
	s_xor_b32 s40, exec_lo, -1
.LBB9_24:                               ;   in Loop: Header=BB9_18 Depth=3
	s_or_b32 exec_lo, exec_lo, s41
	s_delay_alu instid0(SALU_CYCLE_1) | instskip(SKIP_1) | instid1(SALU_CYCLE_1)
	s_and_not1_b32 s34, s34, exec_lo
	s_and_b32 s40, s40, exec_lo
	s_or_b32 s34, s34, s40
.LBB9_25:                               ;   in Loop: Header=BB9_18 Depth=3
	s_or_b32 exec_lo, exec_lo, s35
	s_delay_alu instid0(SALU_CYCLE_1)
	s_and_b32 s34, s34, exec_lo
                                        ; implicit-def: $vgpr13
.LBB9_26:                               ;   in Loop: Header=BB9_18 Depth=3
	s_and_not1_saveexec_b32 s17, s17
	s_cbranch_execz .LBB9_17
; %bb.27:                               ;   in Loop: Header=BB9_18 Depth=3
	ds_add_f32 v13, v11 offset:2048
	s_and_not1_b32 s34, s34, exec_lo
	s_branch .LBB9_17
.LBB9_28:
	s_or_b32 exec_lo, exec_lo, s2
.LBB9_29:
	s_delay_alu instid0(SALU_CYCLE_1)
	s_and_not1_b32 vcc_lo, exec_lo, s33
	s_cbranch_vccnz .LBB9_46
; %bb.30:
	s_waitcnt lgkmcnt(0)
	s_ashr_i32 s13, s12, 31
	v_subrev_nc_u32_e32 v1, s27, v0
	s_lshl_b64 s[2:3], s[12:13], 2
	s_delay_alu instid0(SALU_CYCLE_1)
	s_add_u32 s2, s4, s2
	s_addc_u32 s3, s5, s3
	s_load_b64 s[2:3], s[2:3], 0x0
	s_waitcnt lgkmcnt(0)
	v_add_nc_u32_e32 v1, s2, v1
	s_sub_i32 s1, s3, s27
	s_mov_b32 s2, exec_lo
	s_delay_alu instid0(VALU_DEP_1)
	v_cmpx_gt_i32_e64 s1, v1
	s_cbranch_execz .LBB9_45
; %bb.31:
	s_mov_b32 s3, 0
	s_branch .LBB9_33
.LBB9_32:                               ;   in Loop: Header=BB9_33 Depth=1
	s_or_b32 exec_lo, exec_lo, s4
	v_add_nc_u32_e32 v1, 0x100, v1
	s_delay_alu instid0(VALU_DEP_1) | instskip(SKIP_1) | instid1(SALU_CYCLE_1)
	v_cmp_le_i32_e32 vcc_lo, s1, v1
	s_or_b32 s3, vcc_lo, s3
	s_and_not1_b32 exec_lo, exec_lo, s3
	s_cbranch_execz .LBB9_45
.LBB9_33:                               ; =>This Loop Header: Depth=1
                                        ;     Child Loop BB9_35 Depth 2
	v_ashrrev_i32_e32 v2, 31, v1
	s_mov_b32 s4, 0
	s_delay_alu instid0(VALU_DEP_1) | instskip(NEXT) | instid1(VALU_DEP_1)
	v_lshlrev_b64 v[2:3], 2, v[1:2]
	v_add_co_u32 v8, vcc_lo, s6, v2
	s_delay_alu instid0(VALU_DEP_2)
	v_add_co_ci_u32_e32 v9, vcc_lo, s7, v3, vcc_lo
	v_add_co_u32 v2, vcc_lo, s8, v2
	v_add_co_ci_u32_e32 v3, vcc_lo, s9, v3, vcc_lo
	global_load_b32 v4, v[8:9], off
	global_load_b32 v3, v[2:3], off
	s_waitcnt vmcnt(1)
	v_subrev_nc_u32_e32 v2, s27, v4
	s_delay_alu instid0(VALU_DEP_1) | instskip(SKIP_1) | instid1(VALU_DEP_1)
	v_mul_lo_u32 v4, 0x89, v2
	s_waitcnt vmcnt(0)
	v_dual_mul_f32 v3, v7, v3 :: v_dual_and_b32 v4, 0x1ff, v4
	s_branch .LBB9_35
.LBB9_34:                               ;   in Loop: Header=BB9_35 Depth=2
	s_or_b32 exec_lo, exec_lo, s5
	s_xor_b32 s5, s13, -1
	s_delay_alu instid0(SALU_CYCLE_1) | instskip(NEXT) | instid1(SALU_CYCLE_1)
	s_and_b32 s5, exec_lo, s5
	s_or_b32 s4, s5, s4
	s_delay_alu instid0(SALU_CYCLE_1)
	s_and_not1_b32 exec_lo, exec_lo, s4
	s_cbranch_execz .LBB9_32
.LBB9_35:                               ;   Parent Loop BB9_33 Depth=1
                                        ; =>  This Inner Loop Header: Depth=2
	s_delay_alu instid0(VALU_DEP_1)
	v_lshl_add_u32 v8, v4, 2, 0
	s_mov_b32 s5, exec_lo
                                        ; implicit-def: $sgpr13
	ds_load_b32 v9, v8
	s_waitcnt lgkmcnt(0)
	v_cmpx_ne_u32_e64 v9, v2
	s_xor_b32 s5, exec_lo, s5
	s_cbranch_execz .LBB9_43
; %bb.36:                               ;   in Loop: Header=BB9_35 Depth=2
	s_mov_b32 s15, exec_lo
                                        ; implicit-def: $sgpr13
	v_cmpx_ne_u32_e64 s14, v9
	s_xor_b32 s15, exec_lo, s15
; %bb.37:                               ;   in Loop: Header=BB9_35 Depth=2
	v_add_nc_u32_e32 v4, 1, v4
	s_mov_b32 s13, -1
                                        ; implicit-def: $vgpr8
	s_delay_alu instid0(VALU_DEP_1)
	v_and_b32_e32 v4, 0x1ff, v4
; %bb.38:                               ;   in Loop: Header=BB9_35 Depth=2
	s_and_not1_saveexec_b32 s15, s15
	s_cbranch_execz .LBB9_42
; %bb.39:                               ;   in Loop: Header=BB9_35 Depth=2
	v_mov_b32_e32 v9, s14
	s_mov_b32 s16, -1
	s_mov_b32 s17, exec_lo
	ds_cmpstore_rtn_b32 v9, v8, v2, v9
	s_waitcnt lgkmcnt(0)
	v_cmpx_eq_u32_e64 s14, v9
	s_cbranch_execz .LBB9_41
; %bb.40:                               ;   in Loop: Header=BB9_35 Depth=2
	ds_add_f32 v8, v3 offset:2048
	s_xor_b32 s16, exec_lo, -1
.LBB9_41:                               ;   in Loop: Header=BB9_35 Depth=2
	s_or_b32 exec_lo, exec_lo, s17
	s_delay_alu instid0(SALU_CYCLE_1) | instskip(SKIP_1) | instid1(SALU_CYCLE_1)
	s_and_not1_b32 s13, s13, exec_lo
	s_and_b32 s16, s16, exec_lo
	s_or_b32 s13, s13, s16
.LBB9_42:                               ;   in Loop: Header=BB9_35 Depth=2
	s_or_b32 exec_lo, exec_lo, s15
	s_delay_alu instid0(SALU_CYCLE_1)
	s_and_b32 s13, s13, exec_lo
                                        ; implicit-def: $vgpr8
.LBB9_43:                               ;   in Loop: Header=BB9_35 Depth=2
	s_and_not1_saveexec_b32 s5, s5
	s_cbranch_execz .LBB9_34
; %bb.44:                               ;   in Loop: Header=BB9_35 Depth=2
	ds_add_f32 v8, v3 offset:2048
	s_and_not1_b32 s13, s13, exec_lo
	s_branch .LBB9_34
.LBB9_45:
	s_or_b32 exec_lo, exec_lo, s2
.LBB9_46:
	s_waitcnt lgkmcnt(0)
	s_barrier
	buffer_gl0_inv
	s_and_saveexec_b32 s4, s0
	s_cbranch_execz .LBB9_59
; %bb.47:
	v_mbcnt_lo_u32_b32 v1, -1, 0
	v_lshrrev_b32_e32 v2, 4, v0
	v_cmp_eq_u32_e32 vcc_lo, 0xff, v0
	v_cmp_lt_u32_e64 s0, 63, v0
	v_cmp_lt_u32_e64 s1, 0x7f, v0
	v_xor_b32_e32 v1, 63, v1
	v_dual_mov_b32 v8, 0 :: v_dual_and_b32 v3, 12, v2
	v_cmp_lt_u32_e64 s2, 0xbf, v0
	s_mov_b32 s5, 0
	s_delay_alu instid0(VALU_DEP_3) | instskip(NEXT) | instid1(VALU_DEP_3)
	v_lshrrev_b64 v[1:2], v1, -1
	v_dual_mov_b32 v7, 0 :: v_dual_add_nc_u32 v4, 0, v3
	s_branch .LBB9_49
.LBB9_48:                               ;   in Loop: Header=BB9_49 Depth=1
	s_or_b32 exec_lo, exec_lo, s3
	s_waitcnt lgkmcnt(0)
	s_barrier
	buffer_gl0_inv
	ds_load_b32 v2, v7 offset:4108
	v_add_co_u32 v5, s3, 0x100, v5
	s_delay_alu instid0(VALU_DEP_1) | instskip(SKIP_2) | instid1(SALU_CYCLE_1)
	s_xor_b32 s3, s3, -1
	v_add_nc_u32_e32 v6, 0x400, v6
	s_and_b32 s3, exec_lo, s3
	s_or_b32 s5, s3, s5
	s_waitcnt lgkmcnt(0)
	v_add_nc_u32_e32 v8, v2, v8
	s_and_not1_b32 exec_lo, exec_lo, s5
	s_cbranch_execz .LBB9_59
.LBB9_49:                               ; =>This Inner Loop Header: Depth=1
	ds_load_2addr_stride64_b32 v[2:3], v6 offset1:8
	s_waitcnt lgkmcnt(0)
	s_barrier
	buffer_gl0_inv
	v_cmp_gt_i32_e64 s3, s14, v2
	s_delay_alu instid0(VALU_DEP_1) | instskip(NEXT) | instid1(SALU_CYCLE_1)
	s_bcnt1_i32_b32 s6, s3
	v_dual_mov_b32 v10, s6 :: v_dual_and_b32 v9, s3, v1
	s_delay_alu instid0(VALU_DEP_1)
	v_bcnt_u32_b32 v9, v9, 0
	ds_store_b32 v4, v10 offset:4096
	s_waitcnt lgkmcnt(0)
	s_barrier
	buffer_gl0_inv
	s_and_saveexec_b32 s6, s0
	s_cbranch_execnz .LBB9_54
; %bb.50:                               ;   in Loop: Header=BB9_49 Depth=1
	s_or_b32 exec_lo, exec_lo, s6
	s_and_saveexec_b32 s6, s1
	s_cbranch_execnz .LBB9_55
.LBB9_51:                               ;   in Loop: Header=BB9_49 Depth=1
	s_or_b32 exec_lo, exec_lo, s6
	s_and_saveexec_b32 s6, s2
	s_cbranch_execnz .LBB9_56
.LBB9_52:                               ;   in Loop: Header=BB9_49 Depth=1
	s_or_b32 exec_lo, exec_lo, s6
	s_and_saveexec_b32 s6, s3
	s_cbranch_execnz .LBB9_57
.LBB9_53:                               ;   in Loop: Header=BB9_49 Depth=1
	s_or_b32 exec_lo, exec_lo, s6
	s_and_saveexec_b32 s3, vcc_lo
	s_cbranch_execz .LBB9_48
	s_branch .LBB9_58
.LBB9_54:                               ;   in Loop: Header=BB9_49 Depth=1
	ds_load_b32 v10, v7 offset:4096
	s_waitcnt lgkmcnt(0)
	v_add_nc_u32_e32 v9, v10, v9
	s_or_b32 exec_lo, exec_lo, s6
	s_and_saveexec_b32 s6, s1
	s_cbranch_execz .LBB9_51
.LBB9_55:                               ;   in Loop: Header=BB9_49 Depth=1
	ds_load_b32 v10, v7 offset:4100
	s_waitcnt lgkmcnt(0)
	v_add_nc_u32_e32 v9, v10, v9
	s_or_b32 exec_lo, exec_lo, s6
	s_and_saveexec_b32 s6, s2
	s_cbranch_execz .LBB9_52
.LBB9_56:                               ;   in Loop: Header=BB9_49 Depth=1
	ds_load_b32 v10, v7 offset:4104
	s_waitcnt lgkmcnt(0)
	v_add_nc_u32_e32 v9, v10, v9
	s_or_b32 exec_lo, exec_lo, s6
	s_and_saveexec_b32 s6, s3
	s_cbranch_execz .LBB9_53
.LBB9_57:                               ;   in Loop: Header=BB9_49 Depth=1
	s_delay_alu instid0(VALU_DEP_1) | instskip(NEXT) | instid1(VALU_DEP_1)
	v_add3_u32 v10, v8, -1, v9
	v_lshl_add_u32 v10, v10, 2, 0
	ds_store_2addr_stride64_b32 v10, v2, v3 offset1:8
	s_or_b32 exec_lo, exec_lo, s6
	s_and_saveexec_b32 s3, vcc_lo
	s_cbranch_execz .LBB9_48
.LBB9_58:                               ;   in Loop: Header=BB9_49 Depth=1
	ds_store_b32 v7, v9 offset:4108
	s_branch .LBB9_48
.LBB9_59:
	s_or_b32 exec_lo, exec_lo, s4
	s_ashr_i32 s13, s12, 31
	s_mov_b32 s3, exec_lo
	s_lshl_b64 s[0:1], s[12:13], 2
	s_delay_alu instid0(SALU_CYCLE_1) | instskip(SKIP_4) | instid1(SALU_CYCLE_1)
	s_add_u32 s0, s10, s0
	s_addc_u32 s1, s11, s1
	s_load_b64 s[0:1], s[0:1], 0x0
	s_waitcnt lgkmcnt(0)
	s_sub_i32 s2, s1, s0
	v_cmpx_gt_i32_e64 s2, v0
	s_cbranch_execz .LBB9_69
; %bb.60:
	s_sub_i32 s3, s0, s26
	s_sub_i32 s0, s0, s1
	s_and_b32 s1, s2, 7
	s_cmp_lt_u32 s0, -7
	s_mov_b32 s7, 0
	s_cselect_b32 s4, -1, 0
	s_and_b32 s5, s2, -8
	s_cmp_lg_u32 s1, 0
	s_cselect_b32 s6, -1, 0
	s_branch .LBB9_62
.LBB9_61:                               ;   in Loop: Header=BB9_62 Depth=1
	s_delay_alu instid0(VALU_DEP_1) | instskip(SKIP_3) | instid1(VALU_DEP_3)
	v_ashrrev_i32_e32 v4, 31, v3
	v_add_nc_u32_e32 v0, 0x100, v0
	s_waitcnt lgkmcnt(0)
	v_add_nc_u32_e32 v1, s26, v1
	v_lshlrev_b64 v[3:4], 2, v[3:4]
	s_delay_alu instid0(VALU_DEP_3) | instskip(SKIP_1) | instid1(VALU_DEP_2)
	v_cmp_le_i32_e32 vcc_lo, s2, v0
	s_or_b32 s7, vcc_lo, s7
	v_add_co_u32 v5, s0, s28, v3
	s_delay_alu instid0(VALU_DEP_1) | instskip(SKIP_1) | instid1(VALU_DEP_1)
	v_add_co_ci_u32_e64 v6, s0, s29, v4, s0
	v_add_co_u32 v3, s0, s30, v3
	v_add_co_ci_u32_e64 v4, s0, s31, v4, s0
	global_store_b32 v[5:6], v1, off
	global_store_b32 v[3:4], v2, off
	s_and_not1_b32 exec_lo, exec_lo, s7
	s_cbranch_execz .LBB9_69
.LBB9_62:                               ; =>This Loop Header: Depth=1
                                        ;     Child Loop BB9_64 Depth 2
                                        ;     Child Loop BB9_68 Depth 2
	v_lshl_add_u32 v1, v0, 2, 0
	v_mov_b32_e32 v3, s3
	s_and_not1_b32 vcc_lo, exec_lo, s4
	s_mov_b32 s0, 0
	ds_load_2addr_stride64_b32 v[1:2], v1 offset1:8
	s_cbranch_vccnz .LBB9_66
; %bb.63:                               ;   in Loop: Header=BB9_62 Depth=1
	v_mov_b32_e32 v3, s3
	s_mov_b32 s8, 0
	s_set_inst_prefetch_distance 0x1
	.p2align	6
.LBB9_64:                               ;   Parent Loop BB9_62 Depth=1
                                        ; =>  This Inner Loop Header: Depth=2
	v_mov_b32_e32 v10, s8
	s_add_i32 s0, s0, 8
	s_add_i32 s8, s8, 32
	s_cmp_eq_u32 s5, s0
	ds_load_2addr_b32 v[4:5], v10 offset1:1
	ds_load_2addr_b32 v[6:7], v10 offset0:2 offset1:3
	ds_load_2addr_b32 v[8:9], v10 offset0:4 offset1:5
	;; [unrolled: 1-line block ×3, first 2 shown]
	s_waitcnt lgkmcnt(3)
	v_cmp_gt_i32_e32 vcc_lo, v1, v4
	v_cndmask_b32_e64 v4, 0, 1, vcc_lo
	s_waitcnt lgkmcnt(2)
	v_cmp_gt_i32_e32 vcc_lo, v1, v6
	v_cndmask_b32_e64 v6, 0, 1, vcc_lo
	v_cmp_gt_i32_e32 vcc_lo, v1, v5
	v_add_co_ci_u32_e32 v3, vcc_lo, v3, v4, vcc_lo
	s_waitcnt lgkmcnt(1)
	v_cmp_gt_i32_e32 vcc_lo, v1, v8
	v_cndmask_b32_e64 v4, 0, 1, vcc_lo
	v_cmp_gt_i32_e32 vcc_lo, v1, v7
	v_add_co_ci_u32_e32 v3, vcc_lo, v3, v6, vcc_lo
	;; [unrolled: 5-line block ×3, first 2 shown]
	v_cmp_gt_i32_e32 vcc_lo, v1, v11
	s_delay_alu instid0(VALU_DEP_2)
	v_add_co_ci_u32_e32 v3, vcc_lo, v3, v5, vcc_lo
	s_cbranch_scc0 .LBB9_64
; %bb.65:                               ;   in Loop: Header=BB9_62 Depth=1
	s_set_inst_prefetch_distance 0x2
	s_mov_b32 s0, s5
.LBB9_66:                               ;   in Loop: Header=BB9_62 Depth=1
	s_and_not1_b32 vcc_lo, exec_lo, s6
	s_cbranch_vccnz .LBB9_61
; %bb.67:                               ;   in Loop: Header=BB9_62 Depth=1
	s_lshl_b32 s0, s0, 2
	s_mov_b32 s8, s1
	s_add_i32 s0, s0, 0
.LBB9_68:                               ;   Parent Loop BB9_62 Depth=1
                                        ; =>  This Inner Loop Header: Depth=2
	s_delay_alu instid0(SALU_CYCLE_1)
	v_mov_b32_e32 v4, s0
	s_add_i32 s8, s8, -1
	s_add_i32 s0, s0, 4
	s_cmp_lg_u32 s8, 0
	ds_load_b32 v4, v4
	s_waitcnt lgkmcnt(0)
	v_cmp_gt_i32_e32 vcc_lo, v1, v4
	v_add_co_ci_u32_e32 v3, vcc_lo, 0, v3, vcc_lo
	s_cbranch_scc1 .LBB9_68
	s_branch .LBB9_61
.LBB9_69:
	s_nop 0
	s_sendmsg sendmsg(MSG_DEALLOC_VGPRS)
	s_endpgm
	.section	.rodata,"a",@progbits
	.p2align	6, 0x0
	.amdhsa_kernel _ZN9rocsparseL26csrgemm_fill_block_per_rowILj256ELj32ELj512ELj137ELj64EiifEEvT5_PKS1_S3_NS_24const_host_device_scalarIT6_EEPKT4_S3_PKS5_S9_S3_SB_S6_S9_S3_SB_S9_PS1_PS5_21rocsparse_index_base_SE_SE_SE_bbb
		.amdhsa_group_segment_fixed_size 0
		.amdhsa_private_segment_fixed_size 0
		.amdhsa_kernarg_size 156
		.amdhsa_user_sgpr_count 15
		.amdhsa_user_sgpr_dispatch_ptr 0
		.amdhsa_user_sgpr_queue_ptr 0
		.amdhsa_user_sgpr_kernarg_segment_ptr 1
		.amdhsa_user_sgpr_dispatch_id 0
		.amdhsa_user_sgpr_private_segment_size 0
		.amdhsa_wavefront_size32 1
		.amdhsa_uses_dynamic_stack 0
		.amdhsa_enable_private_segment 0
		.amdhsa_system_sgpr_workgroup_id_x 1
		.amdhsa_system_sgpr_workgroup_id_y 0
		.amdhsa_system_sgpr_workgroup_id_z 0
		.amdhsa_system_sgpr_workgroup_info 0
		.amdhsa_system_vgpr_workitem_id 0
		.amdhsa_next_free_vgpr 15
		.amdhsa_next_free_sgpr 44
		.amdhsa_reserve_vcc 1
		.amdhsa_float_round_mode_32 0
		.amdhsa_float_round_mode_16_64 0
		.amdhsa_float_denorm_mode_32 3
		.amdhsa_float_denorm_mode_16_64 3
		.amdhsa_dx10_clamp 1
		.amdhsa_ieee_mode 1
		.amdhsa_fp16_overflow 0
		.amdhsa_workgroup_processor_mode 1
		.amdhsa_memory_ordered 1
		.amdhsa_forward_progress 0
		.amdhsa_shared_vgpr_count 0
		.amdhsa_exception_fp_ieee_invalid_op 0
		.amdhsa_exception_fp_denorm_src 0
		.amdhsa_exception_fp_ieee_div_zero 0
		.amdhsa_exception_fp_ieee_overflow 0
		.amdhsa_exception_fp_ieee_underflow 0
		.amdhsa_exception_fp_ieee_inexact 0
		.amdhsa_exception_int_div_zero 0
	.end_amdhsa_kernel
	.section	.text._ZN9rocsparseL26csrgemm_fill_block_per_rowILj256ELj32ELj512ELj137ELj64EiifEEvT5_PKS1_S3_NS_24const_host_device_scalarIT6_EEPKT4_S3_PKS5_S9_S3_SB_S6_S9_S3_SB_S9_PS1_PS5_21rocsparse_index_base_SE_SE_SE_bbb,"axG",@progbits,_ZN9rocsparseL26csrgemm_fill_block_per_rowILj256ELj32ELj512ELj137ELj64EiifEEvT5_PKS1_S3_NS_24const_host_device_scalarIT6_EEPKT4_S3_PKS5_S9_S3_SB_S6_S9_S3_SB_S9_PS1_PS5_21rocsparse_index_base_SE_SE_SE_bbb,comdat
.Lfunc_end9:
	.size	_ZN9rocsparseL26csrgemm_fill_block_per_rowILj256ELj32ELj512ELj137ELj64EiifEEvT5_PKS1_S3_NS_24const_host_device_scalarIT6_EEPKT4_S3_PKS5_S9_S3_SB_S6_S9_S3_SB_S9_PS1_PS5_21rocsparse_index_base_SE_SE_SE_bbb, .Lfunc_end9-_ZN9rocsparseL26csrgemm_fill_block_per_rowILj256ELj32ELj512ELj137ELj64EiifEEvT5_PKS1_S3_NS_24const_host_device_scalarIT6_EEPKT4_S3_PKS5_S9_S3_SB_S6_S9_S3_SB_S9_PS1_PS5_21rocsparse_index_base_SE_SE_SE_bbb
                                        ; -- End function
	.section	.AMDGPU.csdata,"",@progbits
; Kernel info:
; codeLenInByte = 2468
; NumSgprs: 46
; NumVgprs: 15
; ScratchSize: 0
; MemoryBound: 0
; FloatMode: 240
; IeeeMode: 1
; LDSByteSize: 0 bytes/workgroup (compile time only)
; SGPRBlocks: 5
; VGPRBlocks: 1
; NumSGPRsForWavesPerEU: 46
; NumVGPRsForWavesPerEU: 15
; Occupancy: 16
; WaveLimiterHint : 1
; COMPUTE_PGM_RSRC2:SCRATCH_EN: 0
; COMPUTE_PGM_RSRC2:USER_SGPR: 15
; COMPUTE_PGM_RSRC2:TRAP_HANDLER: 0
; COMPUTE_PGM_RSRC2:TGID_X_EN: 1
; COMPUTE_PGM_RSRC2:TGID_Y_EN: 0
; COMPUTE_PGM_RSRC2:TGID_Z_EN: 0
; COMPUTE_PGM_RSRC2:TIDIG_COMP_CNT: 0
	.section	.text._ZN9rocsparseL26csrgemm_fill_block_per_rowILj512ELj32ELj1024ELj137ELj32EiifEEvT5_PKS1_S3_NS_24const_host_device_scalarIT6_EEPKT4_S3_PKS5_S9_S3_SB_S6_S9_S3_SB_S9_PS1_PS5_21rocsparse_index_base_SE_SE_SE_bbb,"axG",@progbits,_ZN9rocsparseL26csrgemm_fill_block_per_rowILj512ELj32ELj1024ELj137ELj32EiifEEvT5_PKS1_S3_NS_24const_host_device_scalarIT6_EEPKT4_S3_PKS5_S9_S3_SB_S6_S9_S3_SB_S9_PS1_PS5_21rocsparse_index_base_SE_SE_SE_bbb,comdat
	.globl	_ZN9rocsparseL26csrgemm_fill_block_per_rowILj512ELj32ELj1024ELj137ELj32EiifEEvT5_PKS1_S3_NS_24const_host_device_scalarIT6_EEPKT4_S3_PKS5_S9_S3_SB_S6_S9_S3_SB_S9_PS1_PS5_21rocsparse_index_base_SE_SE_SE_bbb ; -- Begin function _ZN9rocsparseL26csrgemm_fill_block_per_rowILj512ELj32ELj1024ELj137ELj32EiifEEvT5_PKS1_S3_NS_24const_host_device_scalarIT6_EEPKT4_S3_PKS5_S9_S3_SB_S6_S9_S3_SB_S9_PS1_PS5_21rocsparse_index_base_SE_SE_SE_bbb
	.p2align	8
	.type	_ZN9rocsparseL26csrgemm_fill_block_per_rowILj512ELj32ELj1024ELj137ELj32EiifEEvT5_PKS1_S3_NS_24const_host_device_scalarIT6_EEPKT4_S3_PKS5_S9_S3_SB_S6_S9_S3_SB_S9_PS1_PS5_21rocsparse_index_base_SE_SE_SE_bbb,@function
_ZN9rocsparseL26csrgemm_fill_block_per_rowILj512ELj32ELj1024ELj137ELj32EiifEEvT5_PKS1_S3_NS_24const_host_device_scalarIT6_EEPKT4_S3_PKS5_S9_S3_SB_S6_S9_S3_SB_S9_PS1_PS5_21rocsparse_index_base_SE_SE_SE_bbb: ; @_ZN9rocsparseL26csrgemm_fill_block_per_rowILj512ELj32ELj1024ELj137ELj32EiifEEvT5_PKS1_S3_NS_24const_host_device_scalarIT6_EEPKT4_S3_PKS5_S9_S3_SB_S6_S9_S3_SB_S9_PS1_PS5_21rocsparse_index_base_SE_SE_SE_bbb
; %bb.0:
	s_clause 0x3
	s_load_b32 s12, s[0:1], 0x98
	s_load_b128 s[24:27], s[0:1], 0x88
	s_load_b64 s[4:5], s[0:1], 0x18
	s_load_b64 s[2:3], s[0:1], 0x50
	s_waitcnt lgkmcnt(0)
	s_bitcmp1_b32 s12, 0
	s_cselect_b32 s13, -1, 0
	s_bitcmp1_b32 s12, 16
	s_cselect_b32 s14, -1, 0
	s_xor_b32 s6, s13, -1
	s_delay_alu instid0(SALU_CYCLE_1) | instskip(NEXT) | instid1(SALU_CYCLE_1)
	s_or_b32 s6, s6, s14
	s_and_b32 vcc_lo, exec_lo, s6
	s_cbranch_vccnz .LBB10_2
; %bb.1:
	s_load_b32 s4, s[4:5], 0x0
	s_waitcnt lgkmcnt(0)
	v_mov_b32_e32 v9, s4
	s_branch .LBB10_3
.LBB10_2:
	v_cndmask_b32_e64 v9, 0, s4, s13
.LBB10_3:
	s_clause 0x4
	s_load_b128 s[28:31], s[0:1], 0x78
	s_load_b256 s[16:23], s[0:1], 0x58
	s_load_b128 s[36:39], s[0:1], 0x40
	s_load_b128 s[40:43], s[0:1], 0x8
	s_load_b256 s[4:11], s[0:1], 0x20
	s_bitcmp1_b32 s12, 8
	s_cselect_b32 s12, -1, 0
	s_delay_alu instid0(SALU_CYCLE_1) | instskip(NEXT) | instid1(SALU_CYCLE_1)
	s_xor_b32 s33, s12, -1
	s_or_b32 s14, s33, s14
	s_delay_alu instid0(SALU_CYCLE_1)
	s_and_b32 vcc_lo, exec_lo, s14
	s_cbranch_vccnz .LBB10_5
; %bb.4:
	s_load_b32 s2, s[2:3], 0x0
	s_waitcnt lgkmcnt(0)
	v_mov_b32_e32 v7, s2
	s_branch .LBB10_6
.LBB10_5:
	v_cndmask_b32_e64 v7, 0, s2, s12
.LBB10_6:
	s_load_b32 s33, s[0:1], 0x0
	v_lshl_add_u32 v5, v0, 2, 0
	v_or_b32_e32 v6, 0xfffffe00, v0
	v_mov_b32_e32 v1, 0
	s_mov_b32 s0, 0
	s_delay_alu instid0(VALU_DEP_3)
	v_mov_b32_e32 v2, v5
	s_waitcnt lgkmcnt(0)
	v_dual_mov_b32 v4, v6 :: v_dual_mov_b32 v3, s33
.LBB10_7:                               ; =>This Inner Loop Header: Depth=1
	s_delay_alu instid0(VALU_DEP_1) | instskip(NEXT) | instid1(VALU_DEP_1)
	v_add_co_u32 v4, s1, 0x200, v4
	s_xor_b32 s1, s1, -1
	ds_store_2addr_stride64_b32 v2, v3, v1 offset1:16
	v_add_nc_u32_e32 v2, 0x800, v2
	s_and_b32 s1, exec_lo, s1
	s_delay_alu instid0(SALU_CYCLE_1) | instskip(NEXT) | instid1(SALU_CYCLE_1)
	s_or_b32 s0, s1, s0
	s_and_not1_b32 exec_lo, exec_lo, s0
	s_cbranch_execnz .LBB10_7
; %bb.8:
	s_or_b32 exec_lo, exec_lo, s0
	s_waitcnt lgkmcnt(0)
	s_barrier
	buffer_gl0_inv
	s_load_b32 s0, s[40:41], 0x0
	s_mov_b32 s1, 0
	v_lshrrev_b32_e32 v8, 5, v0
	s_waitcnt lgkmcnt(0)
	s_add_i32 s0, s0, s15
	s_delay_alu instid0(SALU_CYCLE_1) | instskip(NEXT) | instid1(SALU_CYCLE_1)
	s_lshl_b64 s[0:1], s[0:1], 2
	s_add_u32 s0, s42, s0
	s_addc_u32 s1, s43, s1
	s_and_b32 vcc_lo, exec_lo, s13
	s_load_b32 s34, s[0:1], 0x0
	s_cbranch_vccz .LBB10_28
; %bb.9:
	s_waitcnt lgkmcnt(0)
	s_ashr_i32 s35, s34, 31
	v_subrev_nc_u32_e32 v1, s24, v8
	s_lshl_b64 s[0:1], s[34:35], 2
	s_delay_alu instid0(SALU_CYCLE_1)
	s_add_u32 s0, s4, s0
	s_addc_u32 s1, s5, s1
	s_load_b64 s[0:1], s[0:1], 0x0
	s_waitcnt lgkmcnt(0)
	v_add_nc_u32_e32 v1, s0, v1
	s_sub_i32 s0, s1, s24
	s_mov_b32 s1, exec_lo
	s_delay_alu instid0(VALU_DEP_1)
	v_cmpx_gt_i32_e64 s0, v1
	s_cbranch_execz .LBB10_27
; %bb.10:
	v_and_b32_e32 v2, 31, v0
	s_mov_b32 s2, 0
	s_delay_alu instid0(VALU_DEP_1)
	v_subrev_nc_u32_e32 v10, s25, v2
	s_branch .LBB10_12
.LBB10_11:                              ;   in Loop: Header=BB10_12 Depth=1
	s_or_b32 exec_lo, exec_lo, s3
	v_add_nc_u32_e32 v1, 16, v1
	s_delay_alu instid0(VALU_DEP_1) | instskip(SKIP_1) | instid1(SALU_CYCLE_1)
	v_cmp_le_i32_e32 vcc_lo, s0, v1
	s_or_b32 s2, vcc_lo, s2
	s_and_not1_b32 exec_lo, exec_lo, s2
	s_cbranch_execz .LBB10_27
.LBB10_12:                              ; =>This Loop Header: Depth=1
                                        ;     Child Loop BB10_15 Depth 2
                                        ;       Child Loop BB10_17 Depth 3
	v_ashrrev_i32_e32 v2, 31, v1
	s_mov_b32 s3, exec_lo
	s_delay_alu instid0(VALU_DEP_1) | instskip(NEXT) | instid1(VALU_DEP_1)
	v_lshlrev_b64 v[3:4], 2, v[1:2]
	v_add_co_u32 v11, vcc_lo, s6, v3
	s_delay_alu instid0(VALU_DEP_2) | instskip(SKIP_3) | instid1(VALU_DEP_1)
	v_add_co_ci_u32_e32 v12, vcc_lo, s7, v4, vcc_lo
	global_load_b32 v2, v[11:12], off
	s_waitcnt vmcnt(0)
	v_subrev_nc_u32_e32 v11, s24, v2
	v_ashrrev_i32_e32 v12, 31, v11
	s_delay_alu instid0(VALU_DEP_1) | instskip(NEXT) | instid1(VALU_DEP_1)
	v_lshlrev_b64 v[11:12], 2, v[11:12]
	v_add_co_u32 v11, vcc_lo, s10, v11
	s_delay_alu instid0(VALU_DEP_2) | instskip(SKIP_4) | instid1(VALU_DEP_1)
	v_add_co_ci_u32_e32 v12, vcc_lo, s11, v12, vcc_lo
	global_load_b64 v[12:13], v[11:12], off
	s_waitcnt vmcnt(0)
	v_subrev_nc_u32_e32 v11, s25, v13
	v_add_nc_u32_e32 v2, v12, v10
	v_cmpx_lt_i32_e64 v2, v11
	s_cbranch_execz .LBB10_11
; %bb.13:                               ;   in Loop: Header=BB10_12 Depth=1
	v_add_co_u32 v3, vcc_lo, s8, v3
	v_add_co_ci_u32_e32 v4, vcc_lo, s9, v4, vcc_lo
	s_mov_b32 s4, 0
	global_load_b32 v3, v[3:4], off
	s_waitcnt vmcnt(0)
	v_mul_f32_e32 v4, v9, v3
	s_branch .LBB10_15
.LBB10_14:                              ;   in Loop: Header=BB10_15 Depth=2
	s_or_b32 exec_lo, exec_lo, s5
	v_add_nc_u32_e32 v2, 32, v2
	s_delay_alu instid0(VALU_DEP_1) | instskip(SKIP_1) | instid1(SALU_CYCLE_1)
	v_cmp_ge_i32_e32 vcc_lo, v2, v11
	s_or_b32 s4, vcc_lo, s4
	s_and_not1_b32 exec_lo, exec_lo, s4
	s_cbranch_execz .LBB10_11
.LBB10_15:                              ;   Parent Loop BB10_12 Depth=1
                                        ; =>  This Loop Header: Depth=2
                                        ;       Child Loop BB10_17 Depth 3
	v_ashrrev_i32_e32 v3, 31, v2
	s_mov_b32 s5, 0
	s_delay_alu instid0(VALU_DEP_1) | instskip(NEXT) | instid1(VALU_DEP_1)
	v_lshlrev_b64 v[12:13], 2, v[2:3]
	v_add_co_u32 v14, vcc_lo, s36, v12
	s_delay_alu instid0(VALU_DEP_2)
	v_add_co_ci_u32_e32 v15, vcc_lo, s37, v13, vcc_lo
	v_add_co_u32 v12, vcc_lo, s38, v12
	v_add_co_ci_u32_e32 v13, vcc_lo, s39, v13, vcc_lo
	global_load_b32 v3, v[14:15], off
	global_load_b32 v12, v[12:13], off
	s_waitcnt vmcnt(1)
	v_subrev_nc_u32_e32 v3, s25, v3
	s_delay_alu instid0(VALU_DEP_1) | instskip(SKIP_1) | instid1(VALU_DEP_1)
	v_mul_lo_u32 v13, 0x89, v3
	s_waitcnt vmcnt(0)
	v_dual_mul_f32 v12, v4, v12 :: v_dual_and_b32 v13, 0x3ff, v13
	s_branch .LBB10_17
.LBB10_16:                              ;   in Loop: Header=BB10_17 Depth=3
	s_or_b32 exec_lo, exec_lo, s13
	s_xor_b32 s13, s14, -1
	s_delay_alu instid0(SALU_CYCLE_1) | instskip(NEXT) | instid1(SALU_CYCLE_1)
	s_and_b32 s13, exec_lo, s13
	s_or_b32 s5, s13, s5
	s_delay_alu instid0(SALU_CYCLE_1)
	s_and_not1_b32 exec_lo, exec_lo, s5
	s_cbranch_execz .LBB10_14
.LBB10_17:                              ;   Parent Loop BB10_12 Depth=1
                                        ;     Parent Loop BB10_15 Depth=2
                                        ; =>    This Inner Loop Header: Depth=3
	s_delay_alu instid0(VALU_DEP_1)
	v_lshl_add_u32 v14, v13, 2, 0
	s_mov_b32 s13, exec_lo
                                        ; implicit-def: $sgpr14
	ds_load_b32 v15, v14
	s_waitcnt lgkmcnt(0)
	v_cmpx_ne_u32_e64 v15, v3
	s_xor_b32 s13, exec_lo, s13
	s_cbranch_execz .LBB10_25
; %bb.18:                               ;   in Loop: Header=BB10_17 Depth=3
	s_mov_b32 s15, exec_lo
                                        ; implicit-def: $sgpr14
	v_cmpx_ne_u32_e64 s33, v15
	s_xor_b32 s15, exec_lo, s15
; %bb.19:                               ;   in Loop: Header=BB10_17 Depth=3
	v_add_nc_u32_e32 v13, 1, v13
	s_mov_b32 s14, -1
                                        ; implicit-def: $vgpr14
	s_delay_alu instid0(VALU_DEP_1)
	v_and_b32_e32 v13, 0x3ff, v13
; %bb.20:                               ;   in Loop: Header=BB10_17 Depth=3
	s_and_not1_saveexec_b32 s15, s15
	s_cbranch_execz .LBB10_24
; %bb.21:                               ;   in Loop: Header=BB10_17 Depth=3
	v_mov_b32_e32 v15, s33
	s_mov_b32 s35, -1
	s_mov_b32 s40, exec_lo
	ds_cmpstore_rtn_b32 v15, v14, v3, v15
	s_waitcnt lgkmcnt(0)
	v_cmpx_eq_u32_e64 s33, v15
	s_cbranch_execz .LBB10_23
; %bb.22:                               ;   in Loop: Header=BB10_17 Depth=3
	ds_add_f32 v14, v12 offset:4096
	s_xor_b32 s35, exec_lo, -1
.LBB10_23:                              ;   in Loop: Header=BB10_17 Depth=3
	s_or_b32 exec_lo, exec_lo, s40
	s_delay_alu instid0(SALU_CYCLE_1) | instskip(SKIP_1) | instid1(SALU_CYCLE_1)
	s_and_not1_b32 s14, s14, exec_lo
	s_and_b32 s35, s35, exec_lo
	s_or_b32 s14, s14, s35
.LBB10_24:                              ;   in Loop: Header=BB10_17 Depth=3
	s_or_b32 exec_lo, exec_lo, s15
	s_delay_alu instid0(SALU_CYCLE_1)
	s_and_b32 s14, s14, exec_lo
                                        ; implicit-def: $vgpr14
.LBB10_25:                              ;   in Loop: Header=BB10_17 Depth=3
	s_and_not1_saveexec_b32 s13, s13
	s_cbranch_execz .LBB10_16
; %bb.26:                               ;   in Loop: Header=BB10_17 Depth=3
	ds_add_f32 v14, v12 offset:4096
	s_and_not1_b32 s14, s14, exec_lo
	s_branch .LBB10_16
.LBB10_27:
	s_or_b32 exec_lo, exec_lo, s1
.LBB10_28:
	s_delay_alu instid0(SALU_CYCLE_1)
	s_and_not1_b32 vcc_lo, exec_lo, s12
	s_cbranch_vccnz .LBB10_45
; %bb.29:
	s_waitcnt lgkmcnt(0)
	s_ashr_i32 s35, s34, 31
	v_subrev_nc_u32_e32 v1, s27, v0
	s_lshl_b64 s[0:1], s[34:35], 2
	s_delay_alu instid0(SALU_CYCLE_1)
	s_add_u32 s0, s16, s0
	s_addc_u32 s1, s17, s1
	s_load_b64 s[0:1], s[0:1], 0x0
	s_waitcnt lgkmcnt(0)
	v_add_nc_u32_e32 v1, s0, v1
	s_sub_i32 s0, s1, s27
	s_mov_b32 s1, exec_lo
	s_delay_alu instid0(VALU_DEP_1)
	v_cmpx_gt_i32_e64 s0, v1
	s_cbranch_execz .LBB10_44
; %bb.30:
	s_mov_b32 s2, 0
	s_branch .LBB10_32
.LBB10_31:                              ;   in Loop: Header=BB10_32 Depth=1
	s_or_b32 exec_lo, exec_lo, s3
	v_add_nc_u32_e32 v1, 0x200, v1
	s_delay_alu instid0(VALU_DEP_1) | instskip(SKIP_1) | instid1(SALU_CYCLE_1)
	v_cmp_le_i32_e32 vcc_lo, s0, v1
	s_or_b32 s2, vcc_lo, s2
	s_and_not1_b32 exec_lo, exec_lo, s2
	s_cbranch_execz .LBB10_44
.LBB10_32:                              ; =>This Loop Header: Depth=1
                                        ;     Child Loop BB10_34 Depth 2
	v_ashrrev_i32_e32 v2, 31, v1
	s_mov_b32 s3, 0
	s_delay_alu instid0(VALU_DEP_1) | instskip(NEXT) | instid1(VALU_DEP_1)
	v_lshlrev_b64 v[2:3], 2, v[1:2]
	v_add_co_u32 v9, vcc_lo, s18, v2
	s_delay_alu instid0(VALU_DEP_2)
	v_add_co_ci_u32_e32 v10, vcc_lo, s19, v3, vcc_lo
	v_add_co_u32 v2, vcc_lo, s20, v2
	v_add_co_ci_u32_e32 v3, vcc_lo, s21, v3, vcc_lo
	global_load_b32 v4, v[9:10], off
	global_load_b32 v3, v[2:3], off
	s_waitcnt vmcnt(1)
	v_subrev_nc_u32_e32 v2, s27, v4
	s_delay_alu instid0(VALU_DEP_1) | instskip(SKIP_1) | instid1(VALU_DEP_1)
	v_mul_lo_u32 v4, 0x89, v2
	s_waitcnt vmcnt(0)
	v_dual_mul_f32 v3, v7, v3 :: v_dual_and_b32 v4, 0x3ff, v4
	s_branch .LBB10_34
.LBB10_33:                              ;   in Loop: Header=BB10_34 Depth=2
	s_or_b32 exec_lo, exec_lo, s4
	s_xor_b32 s4, s5, -1
	s_delay_alu instid0(SALU_CYCLE_1) | instskip(NEXT) | instid1(SALU_CYCLE_1)
	s_and_b32 s4, exec_lo, s4
	s_or_b32 s3, s4, s3
	s_delay_alu instid0(SALU_CYCLE_1)
	s_and_not1_b32 exec_lo, exec_lo, s3
	s_cbranch_execz .LBB10_31
.LBB10_34:                              ;   Parent Loop BB10_32 Depth=1
                                        ; =>  This Inner Loop Header: Depth=2
	s_delay_alu instid0(VALU_DEP_1)
	v_lshl_add_u32 v9, v4, 2, 0
	s_mov_b32 s4, exec_lo
                                        ; implicit-def: $sgpr5
	ds_load_b32 v10, v9
	s_waitcnt lgkmcnt(0)
	v_cmpx_ne_u32_e64 v10, v2
	s_xor_b32 s4, exec_lo, s4
	s_cbranch_execz .LBB10_42
; %bb.35:                               ;   in Loop: Header=BB10_34 Depth=2
	s_mov_b32 s6, exec_lo
                                        ; implicit-def: $sgpr5
	v_cmpx_ne_u32_e64 s33, v10
	s_xor_b32 s6, exec_lo, s6
; %bb.36:                               ;   in Loop: Header=BB10_34 Depth=2
	v_add_nc_u32_e32 v4, 1, v4
	s_mov_b32 s5, -1
                                        ; implicit-def: $vgpr9
	s_delay_alu instid0(VALU_DEP_1)
	v_and_b32_e32 v4, 0x3ff, v4
; %bb.37:                               ;   in Loop: Header=BB10_34 Depth=2
	s_and_not1_saveexec_b32 s6, s6
	s_cbranch_execz .LBB10_41
; %bb.38:                               ;   in Loop: Header=BB10_34 Depth=2
	v_mov_b32_e32 v10, s33
	s_mov_b32 s7, -1
	s_mov_b32 s8, exec_lo
	ds_cmpstore_rtn_b32 v10, v9, v2, v10
	s_waitcnt lgkmcnt(0)
	v_cmpx_eq_u32_e64 s33, v10
	s_cbranch_execz .LBB10_40
; %bb.39:                               ;   in Loop: Header=BB10_34 Depth=2
	ds_add_f32 v9, v3 offset:4096
	s_xor_b32 s7, exec_lo, -1
.LBB10_40:                              ;   in Loop: Header=BB10_34 Depth=2
	s_or_b32 exec_lo, exec_lo, s8
	s_delay_alu instid0(SALU_CYCLE_1) | instskip(SKIP_1) | instid1(SALU_CYCLE_1)
	s_and_not1_b32 s5, s5, exec_lo
	s_and_b32 s7, s7, exec_lo
	s_or_b32 s5, s5, s7
.LBB10_41:                              ;   in Loop: Header=BB10_34 Depth=2
	s_or_b32 exec_lo, exec_lo, s6
	s_delay_alu instid0(SALU_CYCLE_1)
	s_and_b32 s5, s5, exec_lo
                                        ; implicit-def: $vgpr9
.LBB10_42:                              ;   in Loop: Header=BB10_34 Depth=2
	s_and_not1_saveexec_b32 s4, s4
	s_cbranch_execz .LBB10_33
; %bb.43:                               ;   in Loop: Header=BB10_34 Depth=2
	ds_add_f32 v9, v3 offset:4096
	s_and_not1_b32 s5, s5, exec_lo
	s_branch .LBB10_33
.LBB10_44:
	s_or_b32 exec_lo, exec_lo, s1
.LBB10_45:
	v_mbcnt_lo_u32_b32 v1, -1, 0
	v_lshl_add_u32 v4, v8, 2, 0
	v_cmp_eq_u32_e32 vcc_lo, 0x1ff, v0
	v_cmp_lt_u32_e64 s0, 31, v0
	v_cmp_lt_u32_e64 s1, 63, v0
	v_xor_b32_e32 v1, 63, v1
	v_cmp_lt_u32_e64 s2, 0x5f, v0
	v_cmp_lt_u32_e64 s3, 0x7f, v0
	;; [unrolled: 1-line block ×4, first 2 shown]
	v_lshrrev_b64 v[1:2], v1, -1
	v_cmp_lt_u32_e64 s6, 0xdf, v0
	v_cmp_lt_u32_e64 s7, 0xff, v0
	;; [unrolled: 1-line block ×9, first 2 shown]
	v_dual_mov_b32 v7, 0 :: v_dual_mov_b32 v8, 0
	s_mov_b32 s16, 0
	s_waitcnt lgkmcnt(0)
	s_barrier
	buffer_gl0_inv
	s_branch .LBB10_47
.LBB10_46:                              ;   in Loop: Header=BB10_47 Depth=1
	s_or_b32 exec_lo, exec_lo, s15
	s_waitcnt lgkmcnt(0)
	s_barrier
	buffer_gl0_inv
	ds_load_b32 v2, v7 offset:8252
	v_add_co_u32 v6, s15, 0x200, v6
	s_delay_alu instid0(VALU_DEP_1) | instskip(SKIP_2) | instid1(SALU_CYCLE_1)
	s_xor_b32 s15, s15, -1
	v_add_nc_u32_e32 v5, 0x800, v5
	s_and_b32 s15, exec_lo, s15
	s_or_b32 s16, s15, s16
	s_waitcnt lgkmcnt(0)
	v_add_nc_u32_e32 v8, v2, v8
	s_and_not1_b32 exec_lo, exec_lo, s16
	s_cbranch_execz .LBB10_81
.LBB10_47:                              ; =>This Inner Loop Header: Depth=1
	ds_load_2addr_stride64_b32 v[2:3], v5 offset1:16
	s_waitcnt lgkmcnt(0)
	s_barrier
	buffer_gl0_inv
	v_cmp_gt_i32_e64 s15, s33, v2
	s_delay_alu instid0(VALU_DEP_1) | instskip(NEXT) | instid1(SALU_CYCLE_1)
	s_bcnt1_i32_b32 s17, s15
	v_dual_mov_b32 v10, s17 :: v_dual_and_b32 v9, s15, v1
	s_delay_alu instid0(VALU_DEP_1)
	v_bcnt_u32_b32 v9, v9, 0
	ds_store_b32 v4, v10 offset:8192
	s_waitcnt lgkmcnt(0)
	s_barrier
	buffer_gl0_inv
	s_and_saveexec_b32 s17, s0
	s_cbranch_execnz .LBB10_64
; %bb.48:                               ;   in Loop: Header=BB10_47 Depth=1
	s_or_b32 exec_lo, exec_lo, s17
	s_and_saveexec_b32 s17, s1
	s_cbranch_execnz .LBB10_65
.LBB10_49:                              ;   in Loop: Header=BB10_47 Depth=1
	s_or_b32 exec_lo, exec_lo, s17
	s_and_saveexec_b32 s17, s2
	s_cbranch_execnz .LBB10_66
.LBB10_50:                              ;   in Loop: Header=BB10_47 Depth=1
	s_or_b32 exec_lo, exec_lo, s17
	s_and_saveexec_b32 s17, s3
	s_cbranch_execnz .LBB10_67
.LBB10_51:                              ;   in Loop: Header=BB10_47 Depth=1
	s_or_b32 exec_lo, exec_lo, s17
	s_and_saveexec_b32 s17, s4
	s_cbranch_execnz .LBB10_68
.LBB10_52:                              ;   in Loop: Header=BB10_47 Depth=1
	s_or_b32 exec_lo, exec_lo, s17
	s_and_saveexec_b32 s17, s5
	s_cbranch_execnz .LBB10_69
.LBB10_53:                              ;   in Loop: Header=BB10_47 Depth=1
	s_or_b32 exec_lo, exec_lo, s17
	s_and_saveexec_b32 s17, s6
	s_cbranch_execnz .LBB10_70
.LBB10_54:                              ;   in Loop: Header=BB10_47 Depth=1
	s_or_b32 exec_lo, exec_lo, s17
	s_and_saveexec_b32 s17, s7
	s_cbranch_execnz .LBB10_71
.LBB10_55:                              ;   in Loop: Header=BB10_47 Depth=1
	s_or_b32 exec_lo, exec_lo, s17
	s_and_saveexec_b32 s17, s8
	s_cbranch_execnz .LBB10_72
.LBB10_56:                              ;   in Loop: Header=BB10_47 Depth=1
	s_or_b32 exec_lo, exec_lo, s17
	s_and_saveexec_b32 s17, s9
	s_cbranch_execnz .LBB10_73
.LBB10_57:                              ;   in Loop: Header=BB10_47 Depth=1
	s_or_b32 exec_lo, exec_lo, s17
	s_and_saveexec_b32 s17, s10
	s_cbranch_execnz .LBB10_74
.LBB10_58:                              ;   in Loop: Header=BB10_47 Depth=1
	s_or_b32 exec_lo, exec_lo, s17
	s_and_saveexec_b32 s17, s11
	s_cbranch_execnz .LBB10_75
.LBB10_59:                              ;   in Loop: Header=BB10_47 Depth=1
	s_or_b32 exec_lo, exec_lo, s17
	s_and_saveexec_b32 s17, s12
	s_cbranch_execnz .LBB10_76
.LBB10_60:                              ;   in Loop: Header=BB10_47 Depth=1
	s_or_b32 exec_lo, exec_lo, s17
	s_and_saveexec_b32 s17, s13
	s_cbranch_execnz .LBB10_77
.LBB10_61:                              ;   in Loop: Header=BB10_47 Depth=1
	s_or_b32 exec_lo, exec_lo, s17
	s_and_saveexec_b32 s17, s14
	s_cbranch_execnz .LBB10_78
.LBB10_62:                              ;   in Loop: Header=BB10_47 Depth=1
	s_or_b32 exec_lo, exec_lo, s17
	s_and_saveexec_b32 s17, s15
	s_cbranch_execnz .LBB10_79
.LBB10_63:                              ;   in Loop: Header=BB10_47 Depth=1
	s_or_b32 exec_lo, exec_lo, s17
	s_and_saveexec_b32 s15, vcc_lo
	s_cbranch_execz .LBB10_46
	s_branch .LBB10_80
.LBB10_64:                              ;   in Loop: Header=BB10_47 Depth=1
	ds_load_b32 v10, v7 offset:8192
	s_waitcnt lgkmcnt(0)
	v_add_nc_u32_e32 v9, v10, v9
	s_or_b32 exec_lo, exec_lo, s17
	s_and_saveexec_b32 s17, s1
	s_cbranch_execz .LBB10_49
.LBB10_65:                              ;   in Loop: Header=BB10_47 Depth=1
	ds_load_b32 v10, v7 offset:8196
	s_waitcnt lgkmcnt(0)
	v_add_nc_u32_e32 v9, v10, v9
	s_or_b32 exec_lo, exec_lo, s17
	s_and_saveexec_b32 s17, s2
	s_cbranch_execz .LBB10_50
.LBB10_66:                              ;   in Loop: Header=BB10_47 Depth=1
	ds_load_b32 v10, v7 offset:8200
	s_waitcnt lgkmcnt(0)
	v_add_nc_u32_e32 v9, v10, v9
	s_or_b32 exec_lo, exec_lo, s17
	s_and_saveexec_b32 s17, s3
	s_cbranch_execz .LBB10_51
.LBB10_67:                              ;   in Loop: Header=BB10_47 Depth=1
	ds_load_b32 v10, v7 offset:8204
	s_waitcnt lgkmcnt(0)
	v_add_nc_u32_e32 v9, v10, v9
	s_or_b32 exec_lo, exec_lo, s17
	s_and_saveexec_b32 s17, s4
	s_cbranch_execz .LBB10_52
.LBB10_68:                              ;   in Loop: Header=BB10_47 Depth=1
	ds_load_b32 v10, v7 offset:8208
	s_waitcnt lgkmcnt(0)
	v_add_nc_u32_e32 v9, v10, v9
	s_or_b32 exec_lo, exec_lo, s17
	s_and_saveexec_b32 s17, s5
	s_cbranch_execz .LBB10_53
.LBB10_69:                              ;   in Loop: Header=BB10_47 Depth=1
	ds_load_b32 v10, v7 offset:8212
	s_waitcnt lgkmcnt(0)
	v_add_nc_u32_e32 v9, v10, v9
	s_or_b32 exec_lo, exec_lo, s17
	s_and_saveexec_b32 s17, s6
	s_cbranch_execz .LBB10_54
.LBB10_70:                              ;   in Loop: Header=BB10_47 Depth=1
	ds_load_b32 v10, v7 offset:8216
	s_waitcnt lgkmcnt(0)
	v_add_nc_u32_e32 v9, v10, v9
	s_or_b32 exec_lo, exec_lo, s17
	s_and_saveexec_b32 s17, s7
	s_cbranch_execz .LBB10_55
.LBB10_71:                              ;   in Loop: Header=BB10_47 Depth=1
	ds_load_b32 v10, v7 offset:8220
	s_waitcnt lgkmcnt(0)
	v_add_nc_u32_e32 v9, v10, v9
	s_or_b32 exec_lo, exec_lo, s17
	s_and_saveexec_b32 s17, s8
	s_cbranch_execz .LBB10_56
.LBB10_72:                              ;   in Loop: Header=BB10_47 Depth=1
	ds_load_b32 v10, v7 offset:8224
	s_waitcnt lgkmcnt(0)
	v_add_nc_u32_e32 v9, v10, v9
	s_or_b32 exec_lo, exec_lo, s17
	s_and_saveexec_b32 s17, s9
	s_cbranch_execz .LBB10_57
.LBB10_73:                              ;   in Loop: Header=BB10_47 Depth=1
	ds_load_b32 v10, v7 offset:8228
	s_waitcnt lgkmcnt(0)
	v_add_nc_u32_e32 v9, v10, v9
	s_or_b32 exec_lo, exec_lo, s17
	s_and_saveexec_b32 s17, s10
	s_cbranch_execz .LBB10_58
.LBB10_74:                              ;   in Loop: Header=BB10_47 Depth=1
	ds_load_b32 v10, v7 offset:8232
	s_waitcnt lgkmcnt(0)
	v_add_nc_u32_e32 v9, v10, v9
	s_or_b32 exec_lo, exec_lo, s17
	s_and_saveexec_b32 s17, s11
	s_cbranch_execz .LBB10_59
.LBB10_75:                              ;   in Loop: Header=BB10_47 Depth=1
	ds_load_b32 v10, v7 offset:8236
	s_waitcnt lgkmcnt(0)
	v_add_nc_u32_e32 v9, v10, v9
	s_or_b32 exec_lo, exec_lo, s17
	s_and_saveexec_b32 s17, s12
	s_cbranch_execz .LBB10_60
.LBB10_76:                              ;   in Loop: Header=BB10_47 Depth=1
	ds_load_b32 v10, v7 offset:8240
	s_waitcnt lgkmcnt(0)
	v_add_nc_u32_e32 v9, v10, v9
	s_or_b32 exec_lo, exec_lo, s17
	s_and_saveexec_b32 s17, s13
	s_cbranch_execz .LBB10_61
.LBB10_77:                              ;   in Loop: Header=BB10_47 Depth=1
	ds_load_b32 v10, v7 offset:8244
	s_waitcnt lgkmcnt(0)
	v_add_nc_u32_e32 v9, v10, v9
	s_or_b32 exec_lo, exec_lo, s17
	s_and_saveexec_b32 s17, s14
	s_cbranch_execz .LBB10_62
.LBB10_78:                              ;   in Loop: Header=BB10_47 Depth=1
	ds_load_b32 v10, v7 offset:8248
	s_waitcnt lgkmcnt(0)
	v_add_nc_u32_e32 v9, v10, v9
	s_or_b32 exec_lo, exec_lo, s17
	s_and_saveexec_b32 s17, s15
	s_cbranch_execz .LBB10_63
.LBB10_79:                              ;   in Loop: Header=BB10_47 Depth=1
	s_delay_alu instid0(VALU_DEP_1) | instskip(NEXT) | instid1(VALU_DEP_1)
	v_add3_u32 v10, v8, -1, v9
	v_lshl_add_u32 v10, v10, 2, 0
	ds_store_2addr_stride64_b32 v10, v2, v3 offset1:16
	s_or_b32 exec_lo, exec_lo, s17
	s_and_saveexec_b32 s15, vcc_lo
	s_cbranch_execz .LBB10_46
.LBB10_80:                              ;   in Loop: Header=BB10_47 Depth=1
	ds_store_b32 v7, v9 offset:8252
	s_branch .LBB10_46
.LBB10_81:
	s_or_b32 exec_lo, exec_lo, s16
	s_ashr_i32 s35, s34, 31
	s_mov_b32 s3, exec_lo
	s_lshl_b64 s[0:1], s[34:35], 2
	s_delay_alu instid0(SALU_CYCLE_1) | instskip(SKIP_4) | instid1(SALU_CYCLE_1)
	s_add_u32 s0, s22, s0
	s_addc_u32 s1, s23, s1
	s_load_b64 s[0:1], s[0:1], 0x0
	s_waitcnt lgkmcnt(0)
	s_sub_i32 s2, s1, s0
	v_cmpx_gt_i32_e64 s2, v0
	s_cbranch_execz .LBB10_91
; %bb.82:
	s_sub_i32 s3, s0, s26
	s_sub_i32 s0, s0, s1
	s_and_b32 s1, s2, 7
	s_cmp_lt_u32 s0, -7
	s_mov_b32 s7, 0
	s_cselect_b32 s4, -1, 0
	s_and_b32 s5, s2, -8
	s_cmp_lg_u32 s1, 0
	s_cselect_b32 s6, -1, 0
	s_branch .LBB10_84
.LBB10_83:                              ;   in Loop: Header=BB10_84 Depth=1
	s_delay_alu instid0(VALU_DEP_1) | instskip(SKIP_3) | instid1(VALU_DEP_3)
	v_ashrrev_i32_e32 v4, 31, v3
	v_add_nc_u32_e32 v0, 0x200, v0
	s_waitcnt lgkmcnt(0)
	v_add_nc_u32_e32 v1, s26, v1
	v_lshlrev_b64 v[3:4], 2, v[3:4]
	s_delay_alu instid0(VALU_DEP_3) | instskip(SKIP_1) | instid1(VALU_DEP_2)
	v_cmp_le_i32_e32 vcc_lo, s2, v0
	s_or_b32 s7, vcc_lo, s7
	v_add_co_u32 v5, s0, s28, v3
	s_delay_alu instid0(VALU_DEP_1) | instskip(SKIP_1) | instid1(VALU_DEP_1)
	v_add_co_ci_u32_e64 v6, s0, s29, v4, s0
	v_add_co_u32 v3, s0, s30, v3
	v_add_co_ci_u32_e64 v4, s0, s31, v4, s0
	global_store_b32 v[5:6], v1, off
	global_store_b32 v[3:4], v2, off
	s_and_not1_b32 exec_lo, exec_lo, s7
	s_cbranch_execz .LBB10_91
.LBB10_84:                              ; =>This Loop Header: Depth=1
                                        ;     Child Loop BB10_86 Depth 2
                                        ;     Child Loop BB10_90 Depth 2
	v_lshl_add_u32 v1, v0, 2, 0
	v_mov_b32_e32 v3, s3
	s_and_not1_b32 vcc_lo, exec_lo, s4
	s_mov_b32 s0, 0
	ds_load_2addr_stride64_b32 v[1:2], v1 offset1:16
	s_cbranch_vccnz .LBB10_88
; %bb.85:                               ;   in Loop: Header=BB10_84 Depth=1
	v_mov_b32_e32 v3, s3
	s_mov_b32 s8, 0
	s_set_inst_prefetch_distance 0x1
	.p2align	6
.LBB10_86:                              ;   Parent Loop BB10_84 Depth=1
                                        ; =>  This Inner Loop Header: Depth=2
	v_mov_b32_e32 v10, s8
	s_add_i32 s0, s0, 8
	s_add_i32 s8, s8, 32
	s_cmp_eq_u32 s5, s0
	ds_load_2addr_b32 v[4:5], v10 offset1:1
	ds_load_2addr_b32 v[6:7], v10 offset0:2 offset1:3
	ds_load_2addr_b32 v[8:9], v10 offset0:4 offset1:5
	;; [unrolled: 1-line block ×3, first 2 shown]
	s_waitcnt lgkmcnt(3)
	v_cmp_gt_i32_e32 vcc_lo, v1, v4
	v_cndmask_b32_e64 v4, 0, 1, vcc_lo
	s_waitcnt lgkmcnt(2)
	v_cmp_gt_i32_e32 vcc_lo, v1, v6
	v_cndmask_b32_e64 v6, 0, 1, vcc_lo
	v_cmp_gt_i32_e32 vcc_lo, v1, v5
	v_add_co_ci_u32_e32 v3, vcc_lo, v3, v4, vcc_lo
	s_waitcnt lgkmcnt(1)
	v_cmp_gt_i32_e32 vcc_lo, v1, v8
	v_cndmask_b32_e64 v4, 0, 1, vcc_lo
	v_cmp_gt_i32_e32 vcc_lo, v1, v7
	v_add_co_ci_u32_e32 v3, vcc_lo, v3, v6, vcc_lo
	s_waitcnt lgkmcnt(0)
	v_cmp_gt_i32_e32 vcc_lo, v1, v10
	v_cndmask_b32_e64 v5, 0, 1, vcc_lo
	v_cmp_gt_i32_e32 vcc_lo, v1, v9
	v_add_co_ci_u32_e32 v3, vcc_lo, v3, v4, vcc_lo
	v_cmp_gt_i32_e32 vcc_lo, v1, v11
	s_delay_alu instid0(VALU_DEP_2)
	v_add_co_ci_u32_e32 v3, vcc_lo, v3, v5, vcc_lo
	s_cbranch_scc0 .LBB10_86
; %bb.87:                               ;   in Loop: Header=BB10_84 Depth=1
	s_set_inst_prefetch_distance 0x2
	s_mov_b32 s0, s5
.LBB10_88:                              ;   in Loop: Header=BB10_84 Depth=1
	s_and_not1_b32 vcc_lo, exec_lo, s6
	s_cbranch_vccnz .LBB10_83
; %bb.89:                               ;   in Loop: Header=BB10_84 Depth=1
	s_lshl_b32 s0, s0, 2
	s_mov_b32 s8, s1
	s_add_i32 s0, s0, 0
.LBB10_90:                              ;   Parent Loop BB10_84 Depth=1
                                        ; =>  This Inner Loop Header: Depth=2
	s_delay_alu instid0(SALU_CYCLE_1)
	v_mov_b32_e32 v4, s0
	s_add_i32 s8, s8, -1
	s_add_i32 s0, s0, 4
	s_cmp_lg_u32 s8, 0
	ds_load_b32 v4, v4
	s_waitcnt lgkmcnt(0)
	v_cmp_gt_i32_e32 vcc_lo, v1, v4
	v_add_co_ci_u32_e32 v3, vcc_lo, 0, v3, vcc_lo
	s_cbranch_scc1 .LBB10_90
	s_branch .LBB10_83
.LBB10_91:
	s_nop 0
	s_sendmsg sendmsg(MSG_DEALLOC_VGPRS)
	s_endpgm
	.section	.rodata,"a",@progbits
	.p2align	6, 0x0
	.amdhsa_kernel _ZN9rocsparseL26csrgemm_fill_block_per_rowILj512ELj32ELj1024ELj137ELj32EiifEEvT5_PKS1_S3_NS_24const_host_device_scalarIT6_EEPKT4_S3_PKS5_S9_S3_SB_S6_S9_S3_SB_S9_PS1_PS5_21rocsparse_index_base_SE_SE_SE_bbb
		.amdhsa_group_segment_fixed_size 0
		.amdhsa_private_segment_fixed_size 0
		.amdhsa_kernarg_size 156
		.amdhsa_user_sgpr_count 15
		.amdhsa_user_sgpr_dispatch_ptr 0
		.amdhsa_user_sgpr_queue_ptr 0
		.amdhsa_user_sgpr_kernarg_segment_ptr 1
		.amdhsa_user_sgpr_dispatch_id 0
		.amdhsa_user_sgpr_private_segment_size 0
		.amdhsa_wavefront_size32 1
		.amdhsa_uses_dynamic_stack 0
		.amdhsa_enable_private_segment 0
		.amdhsa_system_sgpr_workgroup_id_x 1
		.amdhsa_system_sgpr_workgroup_id_y 0
		.amdhsa_system_sgpr_workgroup_id_z 0
		.amdhsa_system_sgpr_workgroup_info 0
		.amdhsa_system_vgpr_workitem_id 0
		.amdhsa_next_free_vgpr 16
		.amdhsa_next_free_sgpr 44
		.amdhsa_reserve_vcc 1
		.amdhsa_float_round_mode_32 0
		.amdhsa_float_round_mode_16_64 0
		.amdhsa_float_denorm_mode_32 3
		.amdhsa_float_denorm_mode_16_64 3
		.amdhsa_dx10_clamp 1
		.amdhsa_ieee_mode 1
		.amdhsa_fp16_overflow 0
		.amdhsa_workgroup_processor_mode 1
		.amdhsa_memory_ordered 1
		.amdhsa_forward_progress 0
		.amdhsa_shared_vgpr_count 0
		.amdhsa_exception_fp_ieee_invalid_op 0
		.amdhsa_exception_fp_denorm_src 0
		.amdhsa_exception_fp_ieee_div_zero 0
		.amdhsa_exception_fp_ieee_overflow 0
		.amdhsa_exception_fp_ieee_underflow 0
		.amdhsa_exception_fp_ieee_inexact 0
		.amdhsa_exception_int_div_zero 0
	.end_amdhsa_kernel
	.section	.text._ZN9rocsparseL26csrgemm_fill_block_per_rowILj512ELj32ELj1024ELj137ELj32EiifEEvT5_PKS1_S3_NS_24const_host_device_scalarIT6_EEPKT4_S3_PKS5_S9_S3_SB_S6_S9_S3_SB_S9_PS1_PS5_21rocsparse_index_base_SE_SE_SE_bbb,"axG",@progbits,_ZN9rocsparseL26csrgemm_fill_block_per_rowILj512ELj32ELj1024ELj137ELj32EiifEEvT5_PKS1_S3_NS_24const_host_device_scalarIT6_EEPKT4_S3_PKS5_S9_S3_SB_S6_S9_S3_SB_S9_PS1_PS5_21rocsparse_index_base_SE_SE_SE_bbb,comdat
.Lfunc_end10:
	.size	_ZN9rocsparseL26csrgemm_fill_block_per_rowILj512ELj32ELj1024ELj137ELj32EiifEEvT5_PKS1_S3_NS_24const_host_device_scalarIT6_EEPKT4_S3_PKS5_S9_S3_SB_S6_S9_S3_SB_S9_PS1_PS5_21rocsparse_index_base_SE_SE_SE_bbb, .Lfunc_end10-_ZN9rocsparseL26csrgemm_fill_block_per_rowILj512ELj32ELj1024ELj137ELj32EiifEEvT5_PKS1_S3_NS_24const_host_device_scalarIT6_EEPKT4_S3_PKS5_S9_S3_SB_S6_S9_S3_SB_S9_PS1_PS5_21rocsparse_index_base_SE_SE_SE_bbb
                                        ; -- End function
	.section	.AMDGPU.csdata,"",@progbits
; Kernel info:
; codeLenInByte = 3044
; NumSgprs: 46
; NumVgprs: 16
; ScratchSize: 0
; MemoryBound: 0
; FloatMode: 240
; IeeeMode: 1
; LDSByteSize: 0 bytes/workgroup (compile time only)
; SGPRBlocks: 5
; VGPRBlocks: 1
; NumSGPRsForWavesPerEU: 46
; NumVGPRsForWavesPerEU: 16
; Occupancy: 16
; WaveLimiterHint : 1
; COMPUTE_PGM_RSRC2:SCRATCH_EN: 0
; COMPUTE_PGM_RSRC2:USER_SGPR: 15
; COMPUTE_PGM_RSRC2:TRAP_HANDLER: 0
; COMPUTE_PGM_RSRC2:TGID_X_EN: 1
; COMPUTE_PGM_RSRC2:TGID_Y_EN: 0
; COMPUTE_PGM_RSRC2:TGID_Z_EN: 0
; COMPUTE_PGM_RSRC2:TIDIG_COMP_CNT: 0
	.section	.text._ZN9rocsparseL26csrgemm_fill_block_per_rowILj512ELj32ELj1024ELj137ELj64EiifEEvT5_PKS1_S3_NS_24const_host_device_scalarIT6_EEPKT4_S3_PKS5_S9_S3_SB_S6_S9_S3_SB_S9_PS1_PS5_21rocsparse_index_base_SE_SE_SE_bbb,"axG",@progbits,_ZN9rocsparseL26csrgemm_fill_block_per_rowILj512ELj32ELj1024ELj137ELj64EiifEEvT5_PKS1_S3_NS_24const_host_device_scalarIT6_EEPKT4_S3_PKS5_S9_S3_SB_S6_S9_S3_SB_S9_PS1_PS5_21rocsparse_index_base_SE_SE_SE_bbb,comdat
	.globl	_ZN9rocsparseL26csrgemm_fill_block_per_rowILj512ELj32ELj1024ELj137ELj64EiifEEvT5_PKS1_S3_NS_24const_host_device_scalarIT6_EEPKT4_S3_PKS5_S9_S3_SB_S6_S9_S3_SB_S9_PS1_PS5_21rocsparse_index_base_SE_SE_SE_bbb ; -- Begin function _ZN9rocsparseL26csrgemm_fill_block_per_rowILj512ELj32ELj1024ELj137ELj64EiifEEvT5_PKS1_S3_NS_24const_host_device_scalarIT6_EEPKT4_S3_PKS5_S9_S3_SB_S6_S9_S3_SB_S9_PS1_PS5_21rocsparse_index_base_SE_SE_SE_bbb
	.p2align	8
	.type	_ZN9rocsparseL26csrgemm_fill_block_per_rowILj512ELj32ELj1024ELj137ELj64EiifEEvT5_PKS1_S3_NS_24const_host_device_scalarIT6_EEPKT4_S3_PKS5_S9_S3_SB_S6_S9_S3_SB_S9_PS1_PS5_21rocsparse_index_base_SE_SE_SE_bbb,@function
_ZN9rocsparseL26csrgemm_fill_block_per_rowILj512ELj32ELj1024ELj137ELj64EiifEEvT5_PKS1_S3_NS_24const_host_device_scalarIT6_EEPKT4_S3_PKS5_S9_S3_SB_S6_S9_S3_SB_S9_PS1_PS5_21rocsparse_index_base_SE_SE_SE_bbb: ; @_ZN9rocsparseL26csrgemm_fill_block_per_rowILj512ELj32ELj1024ELj137ELj64EiifEEvT5_PKS1_S3_NS_24const_host_device_scalarIT6_EEPKT4_S3_PKS5_S9_S3_SB_S6_S9_S3_SB_S9_PS1_PS5_21rocsparse_index_base_SE_SE_SE_bbb
; %bb.0:
	s_clause 0x3
	s_load_b32 s12, s[0:1], 0x98
	s_load_b128 s[24:27], s[0:1], 0x88
	s_load_b64 s[4:5], s[0:1], 0x18
	s_load_b64 s[2:3], s[0:1], 0x50
	s_waitcnt lgkmcnt(0)
	s_bitcmp1_b32 s12, 0
	s_cselect_b32 s13, -1, 0
	s_bitcmp1_b32 s12, 16
	s_cselect_b32 s14, -1, 0
	s_xor_b32 s6, s13, -1
	s_delay_alu instid0(SALU_CYCLE_1) | instskip(NEXT) | instid1(SALU_CYCLE_1)
	s_or_b32 s6, s6, s14
	s_and_b32 vcc_lo, exec_lo, s6
	s_cbranch_vccnz .LBB11_2
; %bb.1:
	s_load_b32 s4, s[4:5], 0x0
	s_waitcnt lgkmcnt(0)
	v_mov_b32_e32 v8, s4
	s_branch .LBB11_3
.LBB11_2:
	v_cndmask_b32_e64 v8, 0, s4, s13
.LBB11_3:
	s_clause 0x4
	s_load_b128 s[28:31], s[0:1], 0x78
	s_load_b256 s[4:11], s[0:1], 0x58
	s_load_b128 s[36:39], s[0:1], 0x40
	s_load_b128 s[40:43], s[0:1], 0x8
	s_load_b256 s[16:23], s[0:1], 0x20
	s_bitcmp1_b32 s12, 8
	s_cselect_b32 s33, -1, 0
	s_delay_alu instid0(SALU_CYCLE_1) | instskip(NEXT) | instid1(SALU_CYCLE_1)
	s_xor_b32 s12, s33, -1
	s_or_b32 s12, s12, s14
	s_delay_alu instid0(SALU_CYCLE_1)
	s_and_b32 vcc_lo, exec_lo, s12
	s_cbranch_vccnz .LBB11_5
; %bb.4:
	s_load_b32 s2, s[2:3], 0x0
	s_waitcnt lgkmcnt(0)
	v_mov_b32_e32 v7, s2
	s_branch .LBB11_6
.LBB11_5:
	v_cndmask_b32_e64 v7, 0, s2, s33
.LBB11_6:
	s_load_b32 s14, s[0:1], 0x0
	v_lshl_add_u32 v5, v0, 2, 0
	v_or_b32_e32 v6, 0xfffffe00, v0
	v_mov_b32_e32 v1, 0
	s_mov_b32 s0, 0
	s_delay_alu instid0(VALU_DEP_3)
	v_mov_b32_e32 v2, v5
	s_waitcnt lgkmcnt(0)
	v_dual_mov_b32 v4, v6 :: v_dual_mov_b32 v3, s14
.LBB11_7:                               ; =>This Inner Loop Header: Depth=1
	s_delay_alu instid0(VALU_DEP_1) | instskip(NEXT) | instid1(VALU_DEP_1)
	v_add_co_u32 v4, s1, 0x200, v4
	s_xor_b32 s1, s1, -1
	ds_store_2addr_stride64_b32 v2, v3, v1 offset1:16
	v_add_nc_u32_e32 v2, 0x800, v2
	s_and_b32 s1, exec_lo, s1
	s_delay_alu instid0(SALU_CYCLE_1) | instskip(NEXT) | instid1(SALU_CYCLE_1)
	s_or_b32 s0, s1, s0
	s_and_not1_b32 exec_lo, exec_lo, s0
	s_cbranch_execnz .LBB11_7
; %bb.8:
	s_or_b32 exec_lo, exec_lo, s0
	s_waitcnt lgkmcnt(0)
	s_barrier
	buffer_gl0_inv
	s_load_b32 s0, s[40:41], 0x0
	s_mov_b32 s1, 0
	s_waitcnt lgkmcnt(0)
	s_add_i32 s0, s0, s15
	s_delay_alu instid0(SALU_CYCLE_1) | instskip(NEXT) | instid1(SALU_CYCLE_1)
	s_lshl_b64 s[0:1], s[0:1], 2
	s_add_u32 s0, s42, s0
	s_addc_u32 s1, s43, s1
	s_and_b32 vcc_lo, exec_lo, s13
	s_load_b32 s12, s[0:1], 0x0
	s_cbranch_vccz .LBB11_28
; %bb.9:
	s_waitcnt lgkmcnt(0)
	s_ashr_i32 s13, s12, 31
	v_lshrrev_b32_e32 v1, 5, v0
	s_lshl_b64 s[0:1], s[12:13], 2
	s_delay_alu instid0(SALU_CYCLE_1) | instskip(SKIP_1) | instid1(VALU_DEP_1)
	s_add_u32 s0, s16, s0
	s_addc_u32 s1, s17, s1
	v_subrev_nc_u32_e32 v1, s24, v1
	s_load_b64 s[0:1], s[0:1], 0x0
	s_waitcnt lgkmcnt(0)
	s_delay_alu instid0(VALU_DEP_1) | instskip(SKIP_2) | instid1(VALU_DEP_1)
	v_add_nc_u32_e32 v1, s0, v1
	s_sub_i32 s0, s1, s24
	s_mov_b32 s1, exec_lo
	v_cmpx_gt_i32_e64 s0, v1
	s_cbranch_execz .LBB11_27
; %bb.10:
	v_and_b32_e32 v2, 31, v0
	s_mov_b32 s2, 0
	s_delay_alu instid0(VALU_DEP_1)
	v_subrev_nc_u32_e32 v9, s25, v2
	s_branch .LBB11_12
.LBB11_11:                              ;   in Loop: Header=BB11_12 Depth=1
	s_or_b32 exec_lo, exec_lo, s3
	v_add_nc_u32_e32 v1, 16, v1
	s_delay_alu instid0(VALU_DEP_1) | instskip(SKIP_1) | instid1(SALU_CYCLE_1)
	v_cmp_le_i32_e32 vcc_lo, s0, v1
	s_or_b32 s2, vcc_lo, s2
	s_and_not1_b32 exec_lo, exec_lo, s2
	s_cbranch_execz .LBB11_27
.LBB11_12:                              ; =>This Loop Header: Depth=1
                                        ;     Child Loop BB11_15 Depth 2
                                        ;       Child Loop BB11_17 Depth 3
	v_ashrrev_i32_e32 v2, 31, v1
	s_mov_b32 s3, exec_lo
	s_delay_alu instid0(VALU_DEP_1) | instskip(NEXT) | instid1(VALU_DEP_1)
	v_lshlrev_b64 v[3:4], 2, v[1:2]
	v_add_co_u32 v10, vcc_lo, s18, v3
	s_delay_alu instid0(VALU_DEP_2) | instskip(SKIP_3) | instid1(VALU_DEP_1)
	v_add_co_ci_u32_e32 v11, vcc_lo, s19, v4, vcc_lo
	global_load_b32 v2, v[10:11], off
	s_waitcnt vmcnt(0)
	v_subrev_nc_u32_e32 v10, s24, v2
	v_ashrrev_i32_e32 v11, 31, v10
	s_delay_alu instid0(VALU_DEP_1) | instskip(NEXT) | instid1(VALU_DEP_1)
	v_lshlrev_b64 v[10:11], 2, v[10:11]
	v_add_co_u32 v10, vcc_lo, s22, v10
	s_delay_alu instid0(VALU_DEP_2) | instskip(SKIP_4) | instid1(VALU_DEP_1)
	v_add_co_ci_u32_e32 v11, vcc_lo, s23, v11, vcc_lo
	global_load_b64 v[11:12], v[10:11], off
	s_waitcnt vmcnt(0)
	v_subrev_nc_u32_e32 v10, s25, v12
	v_add_nc_u32_e32 v2, v11, v9
	v_cmpx_lt_i32_e64 v2, v10
	s_cbranch_execz .LBB11_11
; %bb.13:                               ;   in Loop: Header=BB11_12 Depth=1
	v_add_co_u32 v3, vcc_lo, s20, v3
	v_add_co_ci_u32_e32 v4, vcc_lo, s21, v4, vcc_lo
	s_mov_b32 s13, 0
	global_load_b32 v3, v[3:4], off
	s_waitcnt vmcnt(0)
	v_mul_f32_e32 v4, v8, v3
	s_branch .LBB11_15
.LBB11_14:                              ;   in Loop: Header=BB11_15 Depth=2
	s_or_b32 exec_lo, exec_lo, s15
	v_add_nc_u32_e32 v2, 32, v2
	s_delay_alu instid0(VALU_DEP_1) | instskip(SKIP_1) | instid1(SALU_CYCLE_1)
	v_cmp_ge_i32_e32 vcc_lo, v2, v10
	s_or_b32 s13, vcc_lo, s13
	s_and_not1_b32 exec_lo, exec_lo, s13
	s_cbranch_execz .LBB11_11
.LBB11_15:                              ;   Parent Loop BB11_12 Depth=1
                                        ; =>  This Loop Header: Depth=2
                                        ;       Child Loop BB11_17 Depth 3
	v_ashrrev_i32_e32 v3, 31, v2
	s_mov_b32 s15, 0
	s_delay_alu instid0(VALU_DEP_1) | instskip(NEXT) | instid1(VALU_DEP_1)
	v_lshlrev_b64 v[11:12], 2, v[2:3]
	v_add_co_u32 v13, vcc_lo, s36, v11
	s_delay_alu instid0(VALU_DEP_2)
	v_add_co_ci_u32_e32 v14, vcc_lo, s37, v12, vcc_lo
	v_add_co_u32 v11, vcc_lo, s38, v11
	v_add_co_ci_u32_e32 v12, vcc_lo, s39, v12, vcc_lo
	global_load_b32 v3, v[13:14], off
	global_load_b32 v11, v[11:12], off
	s_waitcnt vmcnt(1)
	v_subrev_nc_u32_e32 v3, s25, v3
	s_delay_alu instid0(VALU_DEP_1) | instskip(SKIP_1) | instid1(VALU_DEP_1)
	v_mul_lo_u32 v12, 0x89, v3
	s_waitcnt vmcnt(0)
	v_dual_mul_f32 v11, v4, v11 :: v_dual_and_b32 v12, 0x3ff, v12
	s_branch .LBB11_17
.LBB11_16:                              ;   in Loop: Header=BB11_17 Depth=3
	s_or_b32 exec_lo, exec_lo, s16
	s_xor_b32 s16, s17, -1
	s_delay_alu instid0(SALU_CYCLE_1) | instskip(NEXT) | instid1(SALU_CYCLE_1)
	s_and_b32 s16, exec_lo, s16
	s_or_b32 s15, s16, s15
	s_delay_alu instid0(SALU_CYCLE_1)
	s_and_not1_b32 exec_lo, exec_lo, s15
	s_cbranch_execz .LBB11_14
.LBB11_17:                              ;   Parent Loop BB11_12 Depth=1
                                        ;     Parent Loop BB11_15 Depth=2
                                        ; =>    This Inner Loop Header: Depth=3
	s_delay_alu instid0(VALU_DEP_1)
	v_lshl_add_u32 v13, v12, 2, 0
	s_mov_b32 s16, exec_lo
                                        ; implicit-def: $sgpr17
	ds_load_b32 v14, v13
	s_waitcnt lgkmcnt(0)
	v_cmpx_ne_u32_e64 v14, v3
	s_xor_b32 s16, exec_lo, s16
	s_cbranch_execz .LBB11_25
; %bb.18:                               ;   in Loop: Header=BB11_17 Depth=3
	s_mov_b32 s34, exec_lo
                                        ; implicit-def: $sgpr17
	v_cmpx_ne_u32_e64 s14, v14
	s_xor_b32 s34, exec_lo, s34
; %bb.19:                               ;   in Loop: Header=BB11_17 Depth=3
	v_add_nc_u32_e32 v12, 1, v12
	s_mov_b32 s17, -1
                                        ; implicit-def: $vgpr13
	s_delay_alu instid0(VALU_DEP_1)
	v_and_b32_e32 v12, 0x3ff, v12
; %bb.20:                               ;   in Loop: Header=BB11_17 Depth=3
	s_and_not1_saveexec_b32 s34, s34
	s_cbranch_execz .LBB11_24
; %bb.21:                               ;   in Loop: Header=BB11_17 Depth=3
	v_mov_b32_e32 v14, s14
	s_mov_b32 s35, -1
	s_mov_b32 s40, exec_lo
	ds_cmpstore_rtn_b32 v14, v13, v3, v14
	s_waitcnt lgkmcnt(0)
	v_cmpx_eq_u32_e64 s14, v14
	s_cbranch_execz .LBB11_23
; %bb.22:                               ;   in Loop: Header=BB11_17 Depth=3
	ds_add_f32 v13, v11 offset:4096
	s_xor_b32 s35, exec_lo, -1
.LBB11_23:                              ;   in Loop: Header=BB11_17 Depth=3
	s_or_b32 exec_lo, exec_lo, s40
	s_delay_alu instid0(SALU_CYCLE_1) | instskip(SKIP_1) | instid1(SALU_CYCLE_1)
	s_and_not1_b32 s17, s17, exec_lo
	s_and_b32 s35, s35, exec_lo
	s_or_b32 s17, s17, s35
.LBB11_24:                              ;   in Loop: Header=BB11_17 Depth=3
	s_or_b32 exec_lo, exec_lo, s34
	s_delay_alu instid0(SALU_CYCLE_1)
	s_and_b32 s17, s17, exec_lo
                                        ; implicit-def: $vgpr13
.LBB11_25:                              ;   in Loop: Header=BB11_17 Depth=3
	s_and_not1_saveexec_b32 s16, s16
	s_cbranch_execz .LBB11_16
; %bb.26:                               ;   in Loop: Header=BB11_17 Depth=3
	ds_add_f32 v13, v11 offset:4096
	s_and_not1_b32 s17, s17, exec_lo
	s_branch .LBB11_16
.LBB11_27:
	s_or_b32 exec_lo, exec_lo, s1
.LBB11_28:
	s_delay_alu instid0(SALU_CYCLE_1)
	s_and_not1_b32 vcc_lo, exec_lo, s33
	s_cbranch_vccnz .LBB11_45
; %bb.29:
	s_waitcnt lgkmcnt(0)
	s_ashr_i32 s13, s12, 31
	v_subrev_nc_u32_e32 v1, s27, v0
	s_lshl_b64 s[0:1], s[12:13], 2
	s_delay_alu instid0(SALU_CYCLE_1)
	s_add_u32 s0, s4, s0
	s_addc_u32 s1, s5, s1
	s_load_b64 s[0:1], s[0:1], 0x0
	s_waitcnt lgkmcnt(0)
	v_add_nc_u32_e32 v1, s0, v1
	s_sub_i32 s0, s1, s27
	s_mov_b32 s1, exec_lo
	s_delay_alu instid0(VALU_DEP_1)
	v_cmpx_gt_i32_e64 s0, v1
	s_cbranch_execz .LBB11_44
; %bb.30:
	s_mov_b32 s2, 0
	s_branch .LBB11_32
.LBB11_31:                              ;   in Loop: Header=BB11_32 Depth=1
	s_or_b32 exec_lo, exec_lo, s3
	v_add_nc_u32_e32 v1, 0x200, v1
	s_delay_alu instid0(VALU_DEP_1) | instskip(SKIP_1) | instid1(SALU_CYCLE_1)
	v_cmp_le_i32_e32 vcc_lo, s0, v1
	s_or_b32 s2, vcc_lo, s2
	s_and_not1_b32 exec_lo, exec_lo, s2
	s_cbranch_execz .LBB11_44
.LBB11_32:                              ; =>This Loop Header: Depth=1
                                        ;     Child Loop BB11_34 Depth 2
	v_ashrrev_i32_e32 v2, 31, v1
	s_mov_b32 s3, 0
	s_delay_alu instid0(VALU_DEP_1) | instskip(NEXT) | instid1(VALU_DEP_1)
	v_lshlrev_b64 v[2:3], 2, v[1:2]
	v_add_co_u32 v8, vcc_lo, s6, v2
	s_delay_alu instid0(VALU_DEP_2)
	v_add_co_ci_u32_e32 v9, vcc_lo, s7, v3, vcc_lo
	v_add_co_u32 v2, vcc_lo, s8, v2
	v_add_co_ci_u32_e32 v3, vcc_lo, s9, v3, vcc_lo
	global_load_b32 v4, v[8:9], off
	global_load_b32 v3, v[2:3], off
	s_waitcnt vmcnt(1)
	v_subrev_nc_u32_e32 v2, s27, v4
	s_delay_alu instid0(VALU_DEP_1) | instskip(SKIP_1) | instid1(VALU_DEP_1)
	v_mul_lo_u32 v4, 0x89, v2
	s_waitcnt vmcnt(0)
	v_dual_mul_f32 v3, v7, v3 :: v_dual_and_b32 v4, 0x3ff, v4
	s_branch .LBB11_34
.LBB11_33:                              ;   in Loop: Header=BB11_34 Depth=2
	s_or_b32 exec_lo, exec_lo, s4
	s_xor_b32 s4, s5, -1
	s_delay_alu instid0(SALU_CYCLE_1) | instskip(NEXT) | instid1(SALU_CYCLE_1)
	s_and_b32 s4, exec_lo, s4
	s_or_b32 s3, s4, s3
	s_delay_alu instid0(SALU_CYCLE_1)
	s_and_not1_b32 exec_lo, exec_lo, s3
	s_cbranch_execz .LBB11_31
.LBB11_34:                              ;   Parent Loop BB11_32 Depth=1
                                        ; =>  This Inner Loop Header: Depth=2
	s_delay_alu instid0(VALU_DEP_1)
	v_lshl_add_u32 v8, v4, 2, 0
	s_mov_b32 s4, exec_lo
                                        ; implicit-def: $sgpr5
	ds_load_b32 v9, v8
	s_waitcnt lgkmcnt(0)
	v_cmpx_ne_u32_e64 v9, v2
	s_xor_b32 s4, exec_lo, s4
	s_cbranch_execz .LBB11_42
; %bb.35:                               ;   in Loop: Header=BB11_34 Depth=2
	s_mov_b32 s13, exec_lo
                                        ; implicit-def: $sgpr5
	v_cmpx_ne_u32_e64 s14, v9
	s_xor_b32 s13, exec_lo, s13
; %bb.36:                               ;   in Loop: Header=BB11_34 Depth=2
	v_add_nc_u32_e32 v4, 1, v4
	s_mov_b32 s5, -1
                                        ; implicit-def: $vgpr8
	s_delay_alu instid0(VALU_DEP_1)
	v_and_b32_e32 v4, 0x3ff, v4
; %bb.37:                               ;   in Loop: Header=BB11_34 Depth=2
	s_and_not1_saveexec_b32 s13, s13
	s_cbranch_execz .LBB11_41
; %bb.38:                               ;   in Loop: Header=BB11_34 Depth=2
	v_mov_b32_e32 v9, s14
	s_mov_b32 s15, -1
	s_mov_b32 s16, exec_lo
	ds_cmpstore_rtn_b32 v9, v8, v2, v9
	s_waitcnt lgkmcnt(0)
	v_cmpx_eq_u32_e64 s14, v9
	s_cbranch_execz .LBB11_40
; %bb.39:                               ;   in Loop: Header=BB11_34 Depth=2
	ds_add_f32 v8, v3 offset:4096
	s_xor_b32 s15, exec_lo, -1
.LBB11_40:                              ;   in Loop: Header=BB11_34 Depth=2
	s_or_b32 exec_lo, exec_lo, s16
	s_delay_alu instid0(SALU_CYCLE_1) | instskip(SKIP_1) | instid1(SALU_CYCLE_1)
	s_and_not1_b32 s5, s5, exec_lo
	s_and_b32 s15, s15, exec_lo
	s_or_b32 s5, s5, s15
.LBB11_41:                              ;   in Loop: Header=BB11_34 Depth=2
	s_or_b32 exec_lo, exec_lo, s13
	s_delay_alu instid0(SALU_CYCLE_1)
	s_and_b32 s5, s5, exec_lo
                                        ; implicit-def: $vgpr8
.LBB11_42:                              ;   in Loop: Header=BB11_34 Depth=2
	s_and_not1_saveexec_b32 s4, s4
	s_cbranch_execz .LBB11_33
; %bb.43:                               ;   in Loop: Header=BB11_34 Depth=2
	ds_add_f32 v8, v3 offset:4096
	s_and_not1_b32 s5, s5, exec_lo
	s_branch .LBB11_33
.LBB11_44:
	s_or_b32 exec_lo, exec_lo, s1
.LBB11_45:
	v_mbcnt_lo_u32_b32 v1, -1, 0
	v_lshrrev_b32_e32 v2, 4, v0
	v_cmp_eq_u32_e32 vcc_lo, 0x1ff, v0
	v_cmp_lt_u32_e64 s0, 63, v0
	v_cmp_lt_u32_e64 s1, 0x7f, v0
	v_xor_b32_e32 v1, 63, v1
	v_dual_mov_b32 v8, 0 :: v_dual_and_b32 v3, 28, v2
	v_cmp_lt_u32_e64 s2, 0xbf, v0
	v_cmp_lt_u32_e64 s3, 0xff, v0
	s_delay_alu instid0(VALU_DEP_4) | instskip(NEXT) | instid1(VALU_DEP_4)
	v_lshrrev_b64 v[1:2], v1, -1
	v_dual_mov_b32 v7, 0 :: v_dual_add_nc_u32 v4, 0, v3
	v_cmp_lt_u32_e64 s4, 0x13f, v0
	v_cmp_lt_u32_e64 s5, 0x17f, v0
	;; [unrolled: 1-line block ×3, first 2 shown]
	s_mov_b32 s8, 0
	s_waitcnt lgkmcnt(0)
	s_barrier
	buffer_gl0_inv
	s_branch .LBB11_47
.LBB11_46:                              ;   in Loop: Header=BB11_47 Depth=1
	s_or_b32 exec_lo, exec_lo, s7
	s_waitcnt lgkmcnt(0)
	s_barrier
	buffer_gl0_inv
	ds_load_b32 v2, v7 offset:8220
	v_add_co_u32 v6, s7, 0x200, v6
	s_delay_alu instid0(VALU_DEP_1) | instskip(SKIP_2) | instid1(SALU_CYCLE_1)
	s_xor_b32 s7, s7, -1
	v_add_nc_u32_e32 v5, 0x800, v5
	s_and_b32 s7, exec_lo, s7
	s_or_b32 s8, s7, s8
	s_waitcnt lgkmcnt(0)
	v_add_nc_u32_e32 v8, v2, v8
	s_and_not1_b32 exec_lo, exec_lo, s8
	s_cbranch_execz .LBB11_65
.LBB11_47:                              ; =>This Inner Loop Header: Depth=1
	ds_load_2addr_stride64_b32 v[2:3], v5 offset1:16
	s_waitcnt lgkmcnt(0)
	s_barrier
	buffer_gl0_inv
	v_cmp_gt_i32_e64 s7, s14, v2
	s_delay_alu instid0(VALU_DEP_1) | instskip(NEXT) | instid1(SALU_CYCLE_1)
	s_bcnt1_i32_b32 s9, s7
	v_dual_mov_b32 v10, s9 :: v_dual_and_b32 v9, s7, v1
	s_delay_alu instid0(VALU_DEP_1)
	v_bcnt_u32_b32 v9, v9, 0
	ds_store_b32 v4, v10 offset:8192
	s_waitcnt lgkmcnt(0)
	s_barrier
	buffer_gl0_inv
	s_and_saveexec_b32 s9, s0
	s_cbranch_execnz .LBB11_56
; %bb.48:                               ;   in Loop: Header=BB11_47 Depth=1
	s_or_b32 exec_lo, exec_lo, s9
	s_and_saveexec_b32 s9, s1
	s_cbranch_execnz .LBB11_57
.LBB11_49:                              ;   in Loop: Header=BB11_47 Depth=1
	s_or_b32 exec_lo, exec_lo, s9
	s_and_saveexec_b32 s9, s2
	s_cbranch_execnz .LBB11_58
.LBB11_50:                              ;   in Loop: Header=BB11_47 Depth=1
	s_or_b32 exec_lo, exec_lo, s9
	s_and_saveexec_b32 s9, s3
	s_cbranch_execnz .LBB11_59
.LBB11_51:                              ;   in Loop: Header=BB11_47 Depth=1
	s_or_b32 exec_lo, exec_lo, s9
	s_and_saveexec_b32 s9, s4
	s_cbranch_execnz .LBB11_60
.LBB11_52:                              ;   in Loop: Header=BB11_47 Depth=1
	s_or_b32 exec_lo, exec_lo, s9
	s_and_saveexec_b32 s9, s5
	s_cbranch_execnz .LBB11_61
.LBB11_53:                              ;   in Loop: Header=BB11_47 Depth=1
	s_or_b32 exec_lo, exec_lo, s9
	s_and_saveexec_b32 s9, s6
	s_cbranch_execnz .LBB11_62
.LBB11_54:                              ;   in Loop: Header=BB11_47 Depth=1
	s_or_b32 exec_lo, exec_lo, s9
	s_and_saveexec_b32 s9, s7
	s_cbranch_execnz .LBB11_63
.LBB11_55:                              ;   in Loop: Header=BB11_47 Depth=1
	s_or_b32 exec_lo, exec_lo, s9
	s_and_saveexec_b32 s7, vcc_lo
	s_cbranch_execz .LBB11_46
	s_branch .LBB11_64
.LBB11_56:                              ;   in Loop: Header=BB11_47 Depth=1
	ds_load_b32 v10, v7 offset:8192
	s_waitcnt lgkmcnt(0)
	v_add_nc_u32_e32 v9, v10, v9
	s_or_b32 exec_lo, exec_lo, s9
	s_and_saveexec_b32 s9, s1
	s_cbranch_execz .LBB11_49
.LBB11_57:                              ;   in Loop: Header=BB11_47 Depth=1
	ds_load_b32 v10, v7 offset:8196
	s_waitcnt lgkmcnt(0)
	v_add_nc_u32_e32 v9, v10, v9
	s_or_b32 exec_lo, exec_lo, s9
	s_and_saveexec_b32 s9, s2
	s_cbranch_execz .LBB11_50
.LBB11_58:                              ;   in Loop: Header=BB11_47 Depth=1
	ds_load_b32 v10, v7 offset:8200
	s_waitcnt lgkmcnt(0)
	v_add_nc_u32_e32 v9, v10, v9
	s_or_b32 exec_lo, exec_lo, s9
	s_and_saveexec_b32 s9, s3
	s_cbranch_execz .LBB11_51
.LBB11_59:                              ;   in Loop: Header=BB11_47 Depth=1
	ds_load_b32 v10, v7 offset:8204
	s_waitcnt lgkmcnt(0)
	v_add_nc_u32_e32 v9, v10, v9
	s_or_b32 exec_lo, exec_lo, s9
	s_and_saveexec_b32 s9, s4
	s_cbranch_execz .LBB11_52
.LBB11_60:                              ;   in Loop: Header=BB11_47 Depth=1
	ds_load_b32 v10, v7 offset:8208
	s_waitcnt lgkmcnt(0)
	v_add_nc_u32_e32 v9, v10, v9
	s_or_b32 exec_lo, exec_lo, s9
	s_and_saveexec_b32 s9, s5
	s_cbranch_execz .LBB11_53
.LBB11_61:                              ;   in Loop: Header=BB11_47 Depth=1
	ds_load_b32 v10, v7 offset:8212
	s_waitcnt lgkmcnt(0)
	v_add_nc_u32_e32 v9, v10, v9
	s_or_b32 exec_lo, exec_lo, s9
	s_and_saveexec_b32 s9, s6
	s_cbranch_execz .LBB11_54
.LBB11_62:                              ;   in Loop: Header=BB11_47 Depth=1
	ds_load_b32 v10, v7 offset:8216
	s_waitcnt lgkmcnt(0)
	v_add_nc_u32_e32 v9, v10, v9
	s_or_b32 exec_lo, exec_lo, s9
	s_and_saveexec_b32 s9, s7
	s_cbranch_execz .LBB11_55
.LBB11_63:                              ;   in Loop: Header=BB11_47 Depth=1
	s_delay_alu instid0(VALU_DEP_1) | instskip(NEXT) | instid1(VALU_DEP_1)
	v_add3_u32 v10, v8, -1, v9
	v_lshl_add_u32 v10, v10, 2, 0
	ds_store_2addr_stride64_b32 v10, v2, v3 offset1:16
	s_or_b32 exec_lo, exec_lo, s9
	s_and_saveexec_b32 s7, vcc_lo
	s_cbranch_execz .LBB11_46
.LBB11_64:                              ;   in Loop: Header=BB11_47 Depth=1
	ds_store_b32 v7, v9 offset:8220
	s_branch .LBB11_46
.LBB11_65:
	s_or_b32 exec_lo, exec_lo, s8
	s_ashr_i32 s13, s12, 31
	s_mov_b32 s3, exec_lo
	s_lshl_b64 s[0:1], s[12:13], 2
	s_delay_alu instid0(SALU_CYCLE_1) | instskip(SKIP_4) | instid1(SALU_CYCLE_1)
	s_add_u32 s0, s10, s0
	s_addc_u32 s1, s11, s1
	s_load_b64 s[0:1], s[0:1], 0x0
	s_waitcnt lgkmcnt(0)
	s_sub_i32 s2, s1, s0
	v_cmpx_gt_i32_e64 s2, v0
	s_cbranch_execz .LBB11_75
; %bb.66:
	s_sub_i32 s3, s0, s26
	s_sub_i32 s0, s0, s1
	s_and_b32 s1, s2, 7
	s_cmp_lt_u32 s0, -7
	s_mov_b32 s7, 0
	s_cselect_b32 s4, -1, 0
	s_and_b32 s5, s2, -8
	s_cmp_lg_u32 s1, 0
	s_cselect_b32 s6, -1, 0
	s_branch .LBB11_68
.LBB11_67:                              ;   in Loop: Header=BB11_68 Depth=1
	s_delay_alu instid0(VALU_DEP_1) | instskip(SKIP_3) | instid1(VALU_DEP_3)
	v_ashrrev_i32_e32 v4, 31, v3
	v_add_nc_u32_e32 v0, 0x200, v0
	s_waitcnt lgkmcnt(0)
	v_add_nc_u32_e32 v1, s26, v1
	v_lshlrev_b64 v[3:4], 2, v[3:4]
	s_delay_alu instid0(VALU_DEP_3) | instskip(SKIP_1) | instid1(VALU_DEP_2)
	v_cmp_le_i32_e32 vcc_lo, s2, v0
	s_or_b32 s7, vcc_lo, s7
	v_add_co_u32 v5, s0, s28, v3
	s_delay_alu instid0(VALU_DEP_1) | instskip(SKIP_1) | instid1(VALU_DEP_1)
	v_add_co_ci_u32_e64 v6, s0, s29, v4, s0
	v_add_co_u32 v3, s0, s30, v3
	v_add_co_ci_u32_e64 v4, s0, s31, v4, s0
	global_store_b32 v[5:6], v1, off
	global_store_b32 v[3:4], v2, off
	s_and_not1_b32 exec_lo, exec_lo, s7
	s_cbranch_execz .LBB11_75
.LBB11_68:                              ; =>This Loop Header: Depth=1
                                        ;     Child Loop BB11_70 Depth 2
                                        ;     Child Loop BB11_74 Depth 2
	v_lshl_add_u32 v1, v0, 2, 0
	v_mov_b32_e32 v3, s3
	s_and_not1_b32 vcc_lo, exec_lo, s4
	s_mov_b32 s0, 0
	ds_load_2addr_stride64_b32 v[1:2], v1 offset1:16
	s_cbranch_vccnz .LBB11_72
; %bb.69:                               ;   in Loop: Header=BB11_68 Depth=1
	v_mov_b32_e32 v3, s3
	s_mov_b32 s8, 0
	s_set_inst_prefetch_distance 0x1
	.p2align	6
.LBB11_70:                              ;   Parent Loop BB11_68 Depth=1
                                        ; =>  This Inner Loop Header: Depth=2
	v_mov_b32_e32 v10, s8
	s_add_i32 s0, s0, 8
	s_add_i32 s8, s8, 32
	s_cmp_eq_u32 s5, s0
	ds_load_2addr_b32 v[4:5], v10 offset1:1
	ds_load_2addr_b32 v[6:7], v10 offset0:2 offset1:3
	ds_load_2addr_b32 v[8:9], v10 offset0:4 offset1:5
	;; [unrolled: 1-line block ×3, first 2 shown]
	s_waitcnt lgkmcnt(3)
	v_cmp_gt_i32_e32 vcc_lo, v1, v4
	v_cndmask_b32_e64 v4, 0, 1, vcc_lo
	s_waitcnt lgkmcnt(2)
	v_cmp_gt_i32_e32 vcc_lo, v1, v6
	v_cndmask_b32_e64 v6, 0, 1, vcc_lo
	v_cmp_gt_i32_e32 vcc_lo, v1, v5
	v_add_co_ci_u32_e32 v3, vcc_lo, v3, v4, vcc_lo
	s_waitcnt lgkmcnt(1)
	v_cmp_gt_i32_e32 vcc_lo, v1, v8
	v_cndmask_b32_e64 v4, 0, 1, vcc_lo
	v_cmp_gt_i32_e32 vcc_lo, v1, v7
	v_add_co_ci_u32_e32 v3, vcc_lo, v3, v6, vcc_lo
	s_waitcnt lgkmcnt(0)
	v_cmp_gt_i32_e32 vcc_lo, v1, v10
	v_cndmask_b32_e64 v5, 0, 1, vcc_lo
	v_cmp_gt_i32_e32 vcc_lo, v1, v9
	v_add_co_ci_u32_e32 v3, vcc_lo, v3, v4, vcc_lo
	v_cmp_gt_i32_e32 vcc_lo, v1, v11
	s_delay_alu instid0(VALU_DEP_2)
	v_add_co_ci_u32_e32 v3, vcc_lo, v3, v5, vcc_lo
	s_cbranch_scc0 .LBB11_70
; %bb.71:                               ;   in Loop: Header=BB11_68 Depth=1
	s_set_inst_prefetch_distance 0x2
	s_mov_b32 s0, s5
.LBB11_72:                              ;   in Loop: Header=BB11_68 Depth=1
	s_and_not1_b32 vcc_lo, exec_lo, s6
	s_cbranch_vccnz .LBB11_67
; %bb.73:                               ;   in Loop: Header=BB11_68 Depth=1
	s_lshl_b32 s0, s0, 2
	s_mov_b32 s8, s1
	s_add_i32 s0, s0, 0
.LBB11_74:                              ;   Parent Loop BB11_68 Depth=1
                                        ; =>  This Inner Loop Header: Depth=2
	s_delay_alu instid0(SALU_CYCLE_1)
	v_mov_b32_e32 v4, s0
	s_add_i32 s8, s8, -1
	s_add_i32 s0, s0, 4
	s_cmp_lg_u32 s8, 0
	ds_load_b32 v4, v4
	s_waitcnt lgkmcnt(0)
	v_cmp_gt_i32_e32 vcc_lo, v1, v4
	v_add_co_ci_u32_e32 v3, vcc_lo, 0, v3, vcc_lo
	s_cbranch_scc1 .LBB11_74
	s_branch .LBB11_67
.LBB11_75:
	s_nop 0
	s_sendmsg sendmsg(MSG_DEALLOC_VGPRS)
	s_endpgm
	.section	.rodata,"a",@progbits
	.p2align	6, 0x0
	.amdhsa_kernel _ZN9rocsparseL26csrgemm_fill_block_per_rowILj512ELj32ELj1024ELj137ELj64EiifEEvT5_PKS1_S3_NS_24const_host_device_scalarIT6_EEPKT4_S3_PKS5_S9_S3_SB_S6_S9_S3_SB_S9_PS1_PS5_21rocsparse_index_base_SE_SE_SE_bbb
		.amdhsa_group_segment_fixed_size 0
		.amdhsa_private_segment_fixed_size 0
		.amdhsa_kernarg_size 156
		.amdhsa_user_sgpr_count 15
		.amdhsa_user_sgpr_dispatch_ptr 0
		.amdhsa_user_sgpr_queue_ptr 0
		.amdhsa_user_sgpr_kernarg_segment_ptr 1
		.amdhsa_user_sgpr_dispatch_id 0
		.amdhsa_user_sgpr_private_segment_size 0
		.amdhsa_wavefront_size32 1
		.amdhsa_uses_dynamic_stack 0
		.amdhsa_enable_private_segment 0
		.amdhsa_system_sgpr_workgroup_id_x 1
		.amdhsa_system_sgpr_workgroup_id_y 0
		.amdhsa_system_sgpr_workgroup_id_z 0
		.amdhsa_system_sgpr_workgroup_info 0
		.amdhsa_system_vgpr_workitem_id 0
		.amdhsa_next_free_vgpr 15
		.amdhsa_next_free_sgpr 44
		.amdhsa_reserve_vcc 1
		.amdhsa_float_round_mode_32 0
		.amdhsa_float_round_mode_16_64 0
		.amdhsa_float_denorm_mode_32 3
		.amdhsa_float_denorm_mode_16_64 3
		.amdhsa_dx10_clamp 1
		.amdhsa_ieee_mode 1
		.amdhsa_fp16_overflow 0
		.amdhsa_workgroup_processor_mode 1
		.amdhsa_memory_ordered 1
		.amdhsa_forward_progress 0
		.amdhsa_shared_vgpr_count 0
		.amdhsa_exception_fp_ieee_invalid_op 0
		.amdhsa_exception_fp_denorm_src 0
		.amdhsa_exception_fp_ieee_div_zero 0
		.amdhsa_exception_fp_ieee_overflow 0
		.amdhsa_exception_fp_ieee_underflow 0
		.amdhsa_exception_fp_ieee_inexact 0
		.amdhsa_exception_int_div_zero 0
	.end_amdhsa_kernel
	.section	.text._ZN9rocsparseL26csrgemm_fill_block_per_rowILj512ELj32ELj1024ELj137ELj64EiifEEvT5_PKS1_S3_NS_24const_host_device_scalarIT6_EEPKT4_S3_PKS5_S9_S3_SB_S6_S9_S3_SB_S9_PS1_PS5_21rocsparse_index_base_SE_SE_SE_bbb,"axG",@progbits,_ZN9rocsparseL26csrgemm_fill_block_per_rowILj512ELj32ELj1024ELj137ELj64EiifEEvT5_PKS1_S3_NS_24const_host_device_scalarIT6_EEPKT4_S3_PKS5_S9_S3_SB_S6_S9_S3_SB_S9_PS1_PS5_21rocsparse_index_base_SE_SE_SE_bbb,comdat
.Lfunc_end11:
	.size	_ZN9rocsparseL26csrgemm_fill_block_per_rowILj512ELj32ELj1024ELj137ELj64EiifEEvT5_PKS1_S3_NS_24const_host_device_scalarIT6_EEPKT4_S3_PKS5_S9_S3_SB_S6_S9_S3_SB_S9_PS1_PS5_21rocsparse_index_base_SE_SE_SE_bbb, .Lfunc_end11-_ZN9rocsparseL26csrgemm_fill_block_per_rowILj512ELj32ELj1024ELj137ELj64EiifEEvT5_PKS1_S3_NS_24const_host_device_scalarIT6_EEPKT4_S3_PKS5_S9_S3_SB_S6_S9_S3_SB_S9_PS1_PS5_21rocsparse_index_base_SE_SE_SE_bbb
                                        ; -- End function
	.section	.AMDGPU.csdata,"",@progbits
; Kernel info:
; codeLenInByte = 2640
; NumSgprs: 46
; NumVgprs: 15
; ScratchSize: 0
; MemoryBound: 0
; FloatMode: 240
; IeeeMode: 1
; LDSByteSize: 0 bytes/workgroup (compile time only)
; SGPRBlocks: 5
; VGPRBlocks: 1
; NumSGPRsForWavesPerEU: 46
; NumVGPRsForWavesPerEU: 15
; Occupancy: 16
; WaveLimiterHint : 1
; COMPUTE_PGM_RSRC2:SCRATCH_EN: 0
; COMPUTE_PGM_RSRC2:USER_SGPR: 15
; COMPUTE_PGM_RSRC2:TRAP_HANDLER: 0
; COMPUTE_PGM_RSRC2:TGID_X_EN: 1
; COMPUTE_PGM_RSRC2:TGID_Y_EN: 0
; COMPUTE_PGM_RSRC2:TGID_Z_EN: 0
; COMPUTE_PGM_RSRC2:TIDIG_COMP_CNT: 0
	.section	.text._ZN9rocsparseL26csrgemm_fill_block_per_rowILj1024ELj32ELj2048ELj137ELj32EiifEEvT5_PKS1_S3_NS_24const_host_device_scalarIT6_EEPKT4_S3_PKS5_S9_S3_SB_S6_S9_S3_SB_S9_PS1_PS5_21rocsparse_index_base_SE_SE_SE_bbb,"axG",@progbits,_ZN9rocsparseL26csrgemm_fill_block_per_rowILj1024ELj32ELj2048ELj137ELj32EiifEEvT5_PKS1_S3_NS_24const_host_device_scalarIT6_EEPKT4_S3_PKS5_S9_S3_SB_S6_S9_S3_SB_S9_PS1_PS5_21rocsparse_index_base_SE_SE_SE_bbb,comdat
	.globl	_ZN9rocsparseL26csrgemm_fill_block_per_rowILj1024ELj32ELj2048ELj137ELj32EiifEEvT5_PKS1_S3_NS_24const_host_device_scalarIT6_EEPKT4_S3_PKS5_S9_S3_SB_S6_S9_S3_SB_S9_PS1_PS5_21rocsparse_index_base_SE_SE_SE_bbb ; -- Begin function _ZN9rocsparseL26csrgemm_fill_block_per_rowILj1024ELj32ELj2048ELj137ELj32EiifEEvT5_PKS1_S3_NS_24const_host_device_scalarIT6_EEPKT4_S3_PKS5_S9_S3_SB_S6_S9_S3_SB_S9_PS1_PS5_21rocsparse_index_base_SE_SE_SE_bbb
	.p2align	8
	.type	_ZN9rocsparseL26csrgemm_fill_block_per_rowILj1024ELj32ELj2048ELj137ELj32EiifEEvT5_PKS1_S3_NS_24const_host_device_scalarIT6_EEPKT4_S3_PKS5_S9_S3_SB_S6_S9_S3_SB_S9_PS1_PS5_21rocsparse_index_base_SE_SE_SE_bbb,@function
_ZN9rocsparseL26csrgemm_fill_block_per_rowILj1024ELj32ELj2048ELj137ELj32EiifEEvT5_PKS1_S3_NS_24const_host_device_scalarIT6_EEPKT4_S3_PKS5_S9_S3_SB_S6_S9_S3_SB_S9_PS1_PS5_21rocsparse_index_base_SE_SE_SE_bbb: ; @_ZN9rocsparseL26csrgemm_fill_block_per_rowILj1024ELj32ELj2048ELj137ELj32EiifEEvT5_PKS1_S3_NS_24const_host_device_scalarIT6_EEPKT4_S3_PKS5_S9_S3_SB_S6_S9_S3_SB_S9_PS1_PS5_21rocsparse_index_base_SE_SE_SE_bbb
; %bb.0:
	s_clause 0x3
	s_load_b32 s12, s[0:1], 0x98
	s_load_b128 s[44:47], s[0:1], 0x88
	s_load_b64 s[4:5], s[0:1], 0x18
	s_load_b64 s[2:3], s[0:1], 0x50
	s_waitcnt lgkmcnt(0)
	s_bitcmp1_b32 s12, 0
	s_cselect_b32 s13, -1, 0
	s_bitcmp1_b32 s12, 16
	s_cselect_b32 s14, -1, 0
	s_xor_b32 s6, s13, -1
	s_delay_alu instid0(SALU_CYCLE_1) | instskip(NEXT) | instid1(SALU_CYCLE_1)
	s_or_b32 s6, s6, s14
	s_and_b32 vcc_lo, exec_lo, s6
	s_cbranch_vccnz .LBB12_2
; %bb.1:
	s_load_b32 s4, s[4:5], 0x0
	s_waitcnt lgkmcnt(0)
	v_mov_b32_e32 v9, s4
	s_branch .LBB12_3
.LBB12_2:
	v_cndmask_b32_e64 v9, 0, s4, s13
.LBB12_3:
	s_clause 0x4
	s_load_b128 s[48:51], s[0:1], 0x78
	s_load_b256 s[36:43], s[0:1], 0x58
	s_load_b128 s[16:19], s[0:1], 0x40
	s_load_b128 s[20:23], s[0:1], 0x8
	s_load_b256 s[4:11], s[0:1], 0x20
	s_bitcmp1_b32 s12, 8
	s_cselect_b32 s12, -1, 0
	s_delay_alu instid0(SALU_CYCLE_1) | instskip(NEXT) | instid1(SALU_CYCLE_1)
	s_xor_b32 s24, s12, -1
	s_or_b32 s14, s24, s14
	s_delay_alu instid0(SALU_CYCLE_1)
	s_and_b32 vcc_lo, exec_lo, s14
	s_cbranch_vccnz .LBB12_5
; %bb.4:
	s_load_b32 s2, s[2:3], 0x0
	s_waitcnt lgkmcnt(0)
	v_mov_b32_e32 v7, s2
	s_branch .LBB12_6
.LBB12_5:
	v_cndmask_b32_e64 v7, 0, s2, s12
.LBB12_6:
	s_load_b32 s33, s[0:1], 0x0
	v_lshl_add_u32 v5, v0, 2, 0
	v_or_b32_e32 v6, 0xfffffc00, v0
	v_mov_b32_e32 v1, 0
	s_mov_b32 s0, 0
	s_delay_alu instid0(VALU_DEP_3)
	v_mov_b32_e32 v2, v5
	s_waitcnt lgkmcnt(0)
	v_dual_mov_b32 v4, v6 :: v_dual_mov_b32 v3, s33
.LBB12_7:                               ; =>This Inner Loop Header: Depth=1
	s_delay_alu instid0(VALU_DEP_1) | instskip(NEXT) | instid1(VALU_DEP_1)
	v_add_co_u32 v4, s1, 0x400, v4
	s_xor_b32 s1, s1, -1
	ds_store_2addr_stride64_b32 v2, v3, v1 offset1:32
	v_add_nc_u32_e32 v2, 0x1000, v2
	s_and_b32 s1, exec_lo, s1
	s_delay_alu instid0(SALU_CYCLE_1) | instskip(NEXT) | instid1(SALU_CYCLE_1)
	s_or_b32 s0, s1, s0
	s_and_not1_b32 exec_lo, exec_lo, s0
	s_cbranch_execnz .LBB12_7
; %bb.8:
	s_or_b32 exec_lo, exec_lo, s0
	s_waitcnt lgkmcnt(0)
	s_barrier
	buffer_gl0_inv
	s_load_b32 s0, s[20:21], 0x0
	s_mov_b32 s1, 0
	v_lshrrev_b32_e32 v8, 5, v0
	s_waitcnt lgkmcnt(0)
	s_add_i32 s0, s0, s15
	s_delay_alu instid0(SALU_CYCLE_1) | instskip(NEXT) | instid1(SALU_CYCLE_1)
	s_lshl_b64 s[0:1], s[0:1], 2
	s_add_u32 s0, s22, s0
	s_addc_u32 s1, s23, s1
	s_and_b32 vcc_lo, exec_lo, s13
	s_load_b32 s34, s[0:1], 0x0
	s_cbranch_vccz .LBB12_28
; %bb.9:
	s_waitcnt lgkmcnt(0)
	s_ashr_i32 s35, s34, 31
	v_subrev_nc_u32_e32 v1, s44, v8
	s_lshl_b64 s[0:1], s[34:35], 2
	s_delay_alu instid0(SALU_CYCLE_1)
	s_add_u32 s0, s4, s0
	s_addc_u32 s1, s5, s1
	s_load_b64 s[0:1], s[0:1], 0x0
	s_waitcnt lgkmcnt(0)
	v_add_nc_u32_e32 v1, s0, v1
	s_sub_i32 s0, s1, s44
	s_mov_b32 s1, exec_lo
	s_delay_alu instid0(VALU_DEP_1)
	v_cmpx_gt_i32_e64 s0, v1
	s_cbranch_execz .LBB12_27
; %bb.10:
	v_and_b32_e32 v2, 31, v0
	s_mov_b32 s2, 0
	s_delay_alu instid0(VALU_DEP_1)
	v_subrev_nc_u32_e32 v10, s45, v2
	s_branch .LBB12_12
.LBB12_11:                              ;   in Loop: Header=BB12_12 Depth=1
	s_or_b32 exec_lo, exec_lo, s3
	v_add_nc_u32_e32 v1, 32, v1
	s_delay_alu instid0(VALU_DEP_1) | instskip(SKIP_1) | instid1(SALU_CYCLE_1)
	v_cmp_le_i32_e32 vcc_lo, s0, v1
	s_or_b32 s2, vcc_lo, s2
	s_and_not1_b32 exec_lo, exec_lo, s2
	s_cbranch_execz .LBB12_27
.LBB12_12:                              ; =>This Loop Header: Depth=1
                                        ;     Child Loop BB12_15 Depth 2
                                        ;       Child Loop BB12_17 Depth 3
	v_ashrrev_i32_e32 v2, 31, v1
	s_mov_b32 s3, exec_lo
	s_delay_alu instid0(VALU_DEP_1) | instskip(NEXT) | instid1(VALU_DEP_1)
	v_lshlrev_b64 v[3:4], 2, v[1:2]
	v_add_co_u32 v11, vcc_lo, s6, v3
	s_delay_alu instid0(VALU_DEP_2) | instskip(SKIP_3) | instid1(VALU_DEP_1)
	v_add_co_ci_u32_e32 v12, vcc_lo, s7, v4, vcc_lo
	global_load_b32 v2, v[11:12], off
	s_waitcnt vmcnt(0)
	v_subrev_nc_u32_e32 v11, s44, v2
	v_ashrrev_i32_e32 v12, 31, v11
	s_delay_alu instid0(VALU_DEP_1) | instskip(NEXT) | instid1(VALU_DEP_1)
	v_lshlrev_b64 v[11:12], 2, v[11:12]
	v_add_co_u32 v11, vcc_lo, s10, v11
	s_delay_alu instid0(VALU_DEP_2) | instskip(SKIP_4) | instid1(VALU_DEP_1)
	v_add_co_ci_u32_e32 v12, vcc_lo, s11, v12, vcc_lo
	global_load_b64 v[12:13], v[11:12], off
	s_waitcnt vmcnt(0)
	v_subrev_nc_u32_e32 v11, s45, v13
	v_add_nc_u32_e32 v2, v12, v10
	v_cmpx_lt_i32_e64 v2, v11
	s_cbranch_execz .LBB12_11
; %bb.13:                               ;   in Loop: Header=BB12_12 Depth=1
	v_add_co_u32 v3, vcc_lo, s8, v3
	v_add_co_ci_u32_e32 v4, vcc_lo, s9, v4, vcc_lo
	s_mov_b32 s4, 0
	global_load_b32 v3, v[3:4], off
	s_waitcnt vmcnt(0)
	v_mul_f32_e32 v4, v9, v3
	s_branch .LBB12_15
.LBB12_14:                              ;   in Loop: Header=BB12_15 Depth=2
	s_or_b32 exec_lo, exec_lo, s5
	v_add_nc_u32_e32 v2, 32, v2
	s_delay_alu instid0(VALU_DEP_1) | instskip(SKIP_1) | instid1(SALU_CYCLE_1)
	v_cmp_ge_i32_e32 vcc_lo, v2, v11
	s_or_b32 s4, vcc_lo, s4
	s_and_not1_b32 exec_lo, exec_lo, s4
	s_cbranch_execz .LBB12_11
.LBB12_15:                              ;   Parent Loop BB12_12 Depth=1
                                        ; =>  This Loop Header: Depth=2
                                        ;       Child Loop BB12_17 Depth 3
	v_ashrrev_i32_e32 v3, 31, v2
	s_mov_b32 s5, 0
	s_delay_alu instid0(VALU_DEP_1) | instskip(NEXT) | instid1(VALU_DEP_1)
	v_lshlrev_b64 v[12:13], 2, v[2:3]
	v_add_co_u32 v14, vcc_lo, s16, v12
	s_delay_alu instid0(VALU_DEP_2)
	v_add_co_ci_u32_e32 v15, vcc_lo, s17, v13, vcc_lo
	v_add_co_u32 v12, vcc_lo, s18, v12
	v_add_co_ci_u32_e32 v13, vcc_lo, s19, v13, vcc_lo
	global_load_b32 v3, v[14:15], off
	global_load_b32 v12, v[12:13], off
	s_waitcnt vmcnt(1)
	v_subrev_nc_u32_e32 v3, s45, v3
	s_delay_alu instid0(VALU_DEP_1) | instskip(SKIP_1) | instid1(VALU_DEP_1)
	v_mul_lo_u32 v13, 0x89, v3
	s_waitcnt vmcnt(0)
	v_dual_mul_f32 v12, v4, v12 :: v_dual_and_b32 v13, 0x7ff, v13
	s_branch .LBB12_17
.LBB12_16:                              ;   in Loop: Header=BB12_17 Depth=3
	s_or_b32 exec_lo, exec_lo, s13
	s_xor_b32 s13, s14, -1
	s_delay_alu instid0(SALU_CYCLE_1) | instskip(NEXT) | instid1(SALU_CYCLE_1)
	s_and_b32 s13, exec_lo, s13
	s_or_b32 s5, s13, s5
	s_delay_alu instid0(SALU_CYCLE_1)
	s_and_not1_b32 exec_lo, exec_lo, s5
	s_cbranch_execz .LBB12_14
.LBB12_17:                              ;   Parent Loop BB12_12 Depth=1
                                        ;     Parent Loop BB12_15 Depth=2
                                        ; =>    This Inner Loop Header: Depth=3
	s_delay_alu instid0(VALU_DEP_1)
	v_lshl_add_u32 v14, v13, 2, 0
	s_mov_b32 s13, exec_lo
                                        ; implicit-def: $sgpr14
	ds_load_b32 v15, v14
	s_waitcnt lgkmcnt(0)
	v_cmpx_ne_u32_e64 v15, v3
	s_xor_b32 s13, exec_lo, s13
	s_cbranch_execz .LBB12_25
; %bb.18:                               ;   in Loop: Header=BB12_17 Depth=3
	s_mov_b32 s15, exec_lo
                                        ; implicit-def: $sgpr14
	v_cmpx_ne_u32_e64 s33, v15
	s_xor_b32 s15, exec_lo, s15
; %bb.19:                               ;   in Loop: Header=BB12_17 Depth=3
	v_add_nc_u32_e32 v13, 1, v13
	s_mov_b32 s14, -1
                                        ; implicit-def: $vgpr14
	s_delay_alu instid0(VALU_DEP_1)
	v_and_b32_e32 v13, 0x7ff, v13
; %bb.20:                               ;   in Loop: Header=BB12_17 Depth=3
	s_and_not1_saveexec_b32 s15, s15
	s_cbranch_execz .LBB12_24
; %bb.21:                               ;   in Loop: Header=BB12_17 Depth=3
	v_mov_b32_e32 v15, s33
	s_mov_b32 s20, -1
	s_mov_b32 s21, exec_lo
	ds_cmpstore_rtn_b32 v15, v14, v3, v15
	s_waitcnt lgkmcnt(0)
	v_cmpx_eq_u32_e64 s33, v15
	s_cbranch_execz .LBB12_23
; %bb.22:                               ;   in Loop: Header=BB12_17 Depth=3
	ds_add_f32 v14, v12 offset:8192
	s_xor_b32 s20, exec_lo, -1
.LBB12_23:                              ;   in Loop: Header=BB12_17 Depth=3
	s_or_b32 exec_lo, exec_lo, s21
	s_delay_alu instid0(SALU_CYCLE_1) | instskip(SKIP_1) | instid1(SALU_CYCLE_1)
	s_and_not1_b32 s14, s14, exec_lo
	s_and_b32 s20, s20, exec_lo
	s_or_b32 s14, s14, s20
.LBB12_24:                              ;   in Loop: Header=BB12_17 Depth=3
	s_or_b32 exec_lo, exec_lo, s15
	s_delay_alu instid0(SALU_CYCLE_1)
	s_and_b32 s14, s14, exec_lo
                                        ; implicit-def: $vgpr14
.LBB12_25:                              ;   in Loop: Header=BB12_17 Depth=3
	s_and_not1_saveexec_b32 s13, s13
	s_cbranch_execz .LBB12_16
; %bb.26:                               ;   in Loop: Header=BB12_17 Depth=3
	ds_add_f32 v14, v12 offset:8192
	s_and_not1_b32 s14, s14, exec_lo
	s_branch .LBB12_16
.LBB12_27:
	s_or_b32 exec_lo, exec_lo, s1
.LBB12_28:
	s_delay_alu instid0(SALU_CYCLE_1)
	s_and_not1_b32 vcc_lo, exec_lo, s12
	s_cbranch_vccnz .LBB12_45
; %bb.29:
	s_waitcnt lgkmcnt(0)
	s_ashr_i32 s35, s34, 31
	v_subrev_nc_u32_e32 v1, s47, v0
	s_lshl_b64 s[0:1], s[34:35], 2
	s_delay_alu instid0(SALU_CYCLE_1)
	s_add_u32 s0, s36, s0
	s_addc_u32 s1, s37, s1
	s_load_b64 s[0:1], s[0:1], 0x0
	s_waitcnt lgkmcnt(0)
	v_add_nc_u32_e32 v1, s0, v1
	s_sub_i32 s0, s1, s47
	s_mov_b32 s1, exec_lo
	s_delay_alu instid0(VALU_DEP_1)
	v_cmpx_gt_i32_e64 s0, v1
	s_cbranch_execz .LBB12_44
; %bb.30:
	s_mov_b32 s2, 0
	s_branch .LBB12_32
.LBB12_31:                              ;   in Loop: Header=BB12_32 Depth=1
	s_or_b32 exec_lo, exec_lo, s3
	v_add_nc_u32_e32 v1, 0x400, v1
	s_delay_alu instid0(VALU_DEP_1) | instskip(SKIP_1) | instid1(SALU_CYCLE_1)
	v_cmp_le_i32_e32 vcc_lo, s0, v1
	s_or_b32 s2, vcc_lo, s2
	s_and_not1_b32 exec_lo, exec_lo, s2
	s_cbranch_execz .LBB12_44
.LBB12_32:                              ; =>This Loop Header: Depth=1
                                        ;     Child Loop BB12_34 Depth 2
	v_ashrrev_i32_e32 v2, 31, v1
	s_mov_b32 s3, 0
	s_delay_alu instid0(VALU_DEP_1) | instskip(NEXT) | instid1(VALU_DEP_1)
	v_lshlrev_b64 v[2:3], 2, v[1:2]
	v_add_co_u32 v9, vcc_lo, s38, v2
	s_delay_alu instid0(VALU_DEP_2)
	v_add_co_ci_u32_e32 v10, vcc_lo, s39, v3, vcc_lo
	v_add_co_u32 v2, vcc_lo, s40, v2
	v_add_co_ci_u32_e32 v3, vcc_lo, s41, v3, vcc_lo
	global_load_b32 v4, v[9:10], off
	global_load_b32 v3, v[2:3], off
	s_waitcnt vmcnt(1)
	v_subrev_nc_u32_e32 v2, s47, v4
	s_delay_alu instid0(VALU_DEP_1) | instskip(SKIP_1) | instid1(VALU_DEP_1)
	v_mul_lo_u32 v4, 0x89, v2
	s_waitcnt vmcnt(0)
	v_dual_mul_f32 v3, v7, v3 :: v_dual_and_b32 v4, 0x7ff, v4
	s_branch .LBB12_34
.LBB12_33:                              ;   in Loop: Header=BB12_34 Depth=2
	s_or_b32 exec_lo, exec_lo, s4
	s_xor_b32 s4, s5, -1
	s_delay_alu instid0(SALU_CYCLE_1) | instskip(NEXT) | instid1(SALU_CYCLE_1)
	s_and_b32 s4, exec_lo, s4
	s_or_b32 s3, s4, s3
	s_delay_alu instid0(SALU_CYCLE_1)
	s_and_not1_b32 exec_lo, exec_lo, s3
	s_cbranch_execz .LBB12_31
.LBB12_34:                              ;   Parent Loop BB12_32 Depth=1
                                        ; =>  This Inner Loop Header: Depth=2
	s_delay_alu instid0(VALU_DEP_1)
	v_lshl_add_u32 v9, v4, 2, 0
	s_mov_b32 s4, exec_lo
                                        ; implicit-def: $sgpr5
	ds_load_b32 v10, v9
	s_waitcnt lgkmcnt(0)
	v_cmpx_ne_u32_e64 v10, v2
	s_xor_b32 s4, exec_lo, s4
	s_cbranch_execz .LBB12_42
; %bb.35:                               ;   in Loop: Header=BB12_34 Depth=2
	s_mov_b32 s6, exec_lo
                                        ; implicit-def: $sgpr5
	v_cmpx_ne_u32_e64 s33, v10
	s_xor_b32 s6, exec_lo, s6
; %bb.36:                               ;   in Loop: Header=BB12_34 Depth=2
	v_add_nc_u32_e32 v4, 1, v4
	s_mov_b32 s5, -1
                                        ; implicit-def: $vgpr9
	s_delay_alu instid0(VALU_DEP_1)
	v_and_b32_e32 v4, 0x7ff, v4
; %bb.37:                               ;   in Loop: Header=BB12_34 Depth=2
	s_and_not1_saveexec_b32 s6, s6
	s_cbranch_execz .LBB12_41
; %bb.38:                               ;   in Loop: Header=BB12_34 Depth=2
	v_mov_b32_e32 v10, s33
	s_mov_b32 s7, -1
	s_mov_b32 s8, exec_lo
	ds_cmpstore_rtn_b32 v10, v9, v2, v10
	s_waitcnt lgkmcnt(0)
	v_cmpx_eq_u32_e64 s33, v10
	s_cbranch_execz .LBB12_40
; %bb.39:                               ;   in Loop: Header=BB12_34 Depth=2
	ds_add_f32 v9, v3 offset:8192
	s_xor_b32 s7, exec_lo, -1
.LBB12_40:                              ;   in Loop: Header=BB12_34 Depth=2
	s_or_b32 exec_lo, exec_lo, s8
	s_delay_alu instid0(SALU_CYCLE_1) | instskip(SKIP_1) | instid1(SALU_CYCLE_1)
	s_and_not1_b32 s5, s5, exec_lo
	s_and_b32 s7, s7, exec_lo
	s_or_b32 s5, s5, s7
.LBB12_41:                              ;   in Loop: Header=BB12_34 Depth=2
	s_or_b32 exec_lo, exec_lo, s6
	s_delay_alu instid0(SALU_CYCLE_1)
	s_and_b32 s5, s5, exec_lo
                                        ; implicit-def: $vgpr9
.LBB12_42:                              ;   in Loop: Header=BB12_34 Depth=2
	s_and_not1_saveexec_b32 s4, s4
	s_cbranch_execz .LBB12_33
; %bb.43:                               ;   in Loop: Header=BB12_34 Depth=2
	ds_add_f32 v9, v3 offset:8192
	s_and_not1_b32 s5, s5, exec_lo
	s_branch .LBB12_33
.LBB12_44:
	s_or_b32 exec_lo, exec_lo, s1
.LBB12_45:
	v_mbcnt_lo_u32_b32 v1, -1, 0
	v_lshl_add_u32 v4, v8, 2, 0
	v_cmp_eq_u32_e32 vcc_lo, 0x3ff, v0
	v_cmp_lt_u32_e64 s0, 31, v0
	v_cmp_lt_u32_e64 s1, 63, v0
	v_xor_b32_e32 v1, 63, v1
	v_cmp_lt_u32_e64 s2, 0x5f, v0
	v_cmp_lt_u32_e64 s3, 0x7f, v0
	;; [unrolled: 1-line block ×4, first 2 shown]
	v_lshrrev_b64 v[1:2], v1, -1
	v_cmp_lt_u32_e64 s6, 0xdf, v0
	v_cmp_lt_u32_e64 s7, 0xff, v0
	;; [unrolled: 1-line block ×25, first 2 shown]
	v_dual_mov_b32 v7, 0 :: v_dual_mov_b32 v8, 0
	s_mov_b32 s35, 0
	s_waitcnt lgkmcnt(0)
	s_barrier
	buffer_gl0_inv
	s_branch .LBB12_47
.LBB12_46:                              ;   in Loop: Header=BB12_47 Depth=1
	s_or_b32 exec_lo, exec_lo, s31
	s_waitcnt lgkmcnt(0)
	s_barrier
	buffer_gl0_inv
	ds_load_b32 v2, v7 offset:16508
	v_add_co_u32 v6, s31, 0x400, v6
	s_delay_alu instid0(VALU_DEP_1) | instskip(SKIP_2) | instid1(SALU_CYCLE_1)
	s_xor_b32 s31, s31, -1
	v_add_nc_u32_e32 v5, 0x1000, v5
	s_and_b32 s31, exec_lo, s31
	s_or_b32 s35, s31, s35
	s_waitcnt lgkmcnt(0)
	v_add_nc_u32_e32 v8, v2, v8
	s_and_not1_b32 exec_lo, exec_lo, s35
	s_cbranch_execz .LBB12_113
.LBB12_47:                              ; =>This Inner Loop Header: Depth=1
	ds_load_2addr_stride64_b32 v[2:3], v5 offset1:32
	s_waitcnt lgkmcnt(0)
	s_barrier
	buffer_gl0_inv
	v_cmp_gt_i32_e64 s31, s33, v2
	s_delay_alu instid0(VALU_DEP_1) | instskip(NEXT) | instid1(SALU_CYCLE_1)
	s_bcnt1_i32_b32 s36, s31
	v_dual_mov_b32 v10, s36 :: v_dual_and_b32 v9, s31, v1
	s_delay_alu instid0(VALU_DEP_1)
	v_bcnt_u32_b32 v9, v9, 0
	ds_store_b32 v4, v10 offset:16384
	s_waitcnt lgkmcnt(0)
	s_barrier
	buffer_gl0_inv
	s_and_saveexec_b32 s36, s0
	s_cbranch_execnz .LBB12_80
; %bb.48:                               ;   in Loop: Header=BB12_47 Depth=1
	s_or_b32 exec_lo, exec_lo, s36
	s_and_saveexec_b32 s36, s1
	s_cbranch_execnz .LBB12_81
.LBB12_49:                              ;   in Loop: Header=BB12_47 Depth=1
	s_or_b32 exec_lo, exec_lo, s36
	s_and_saveexec_b32 s36, s2
	s_cbranch_execnz .LBB12_82
.LBB12_50:                              ;   in Loop: Header=BB12_47 Depth=1
	s_or_b32 exec_lo, exec_lo, s36
	s_and_saveexec_b32 s36, s3
	s_cbranch_execnz .LBB12_83
.LBB12_51:                              ;   in Loop: Header=BB12_47 Depth=1
	s_or_b32 exec_lo, exec_lo, s36
	s_and_saveexec_b32 s36, s4
	s_cbranch_execnz .LBB12_84
.LBB12_52:                              ;   in Loop: Header=BB12_47 Depth=1
	s_or_b32 exec_lo, exec_lo, s36
	s_and_saveexec_b32 s36, s5
	s_cbranch_execnz .LBB12_85
.LBB12_53:                              ;   in Loop: Header=BB12_47 Depth=1
	s_or_b32 exec_lo, exec_lo, s36
	s_and_saveexec_b32 s36, s6
	s_cbranch_execnz .LBB12_86
.LBB12_54:                              ;   in Loop: Header=BB12_47 Depth=1
	s_or_b32 exec_lo, exec_lo, s36
	s_and_saveexec_b32 s36, s7
	s_cbranch_execnz .LBB12_87
.LBB12_55:                              ;   in Loop: Header=BB12_47 Depth=1
	s_or_b32 exec_lo, exec_lo, s36
	s_and_saveexec_b32 s36, s8
	s_cbranch_execnz .LBB12_88
.LBB12_56:                              ;   in Loop: Header=BB12_47 Depth=1
	s_or_b32 exec_lo, exec_lo, s36
	s_and_saveexec_b32 s36, s9
	s_cbranch_execnz .LBB12_89
.LBB12_57:                              ;   in Loop: Header=BB12_47 Depth=1
	s_or_b32 exec_lo, exec_lo, s36
	s_and_saveexec_b32 s36, s10
	s_cbranch_execnz .LBB12_90
.LBB12_58:                              ;   in Loop: Header=BB12_47 Depth=1
	s_or_b32 exec_lo, exec_lo, s36
	s_and_saveexec_b32 s36, s11
	s_cbranch_execnz .LBB12_91
.LBB12_59:                              ;   in Loop: Header=BB12_47 Depth=1
	s_or_b32 exec_lo, exec_lo, s36
	s_and_saveexec_b32 s36, s12
	s_cbranch_execnz .LBB12_92
.LBB12_60:                              ;   in Loop: Header=BB12_47 Depth=1
	s_or_b32 exec_lo, exec_lo, s36
	s_and_saveexec_b32 s36, s13
	s_cbranch_execnz .LBB12_93
.LBB12_61:                              ;   in Loop: Header=BB12_47 Depth=1
	s_or_b32 exec_lo, exec_lo, s36
	s_and_saveexec_b32 s36, s14
	s_cbranch_execnz .LBB12_94
.LBB12_62:                              ;   in Loop: Header=BB12_47 Depth=1
	s_or_b32 exec_lo, exec_lo, s36
	s_and_saveexec_b32 s36, s15
	s_cbranch_execnz .LBB12_95
.LBB12_63:                              ;   in Loop: Header=BB12_47 Depth=1
	s_or_b32 exec_lo, exec_lo, s36
	s_and_saveexec_b32 s36, s16
	s_cbranch_execnz .LBB12_96
.LBB12_64:                              ;   in Loop: Header=BB12_47 Depth=1
	s_or_b32 exec_lo, exec_lo, s36
	s_and_saveexec_b32 s36, s17
	s_cbranch_execnz .LBB12_97
.LBB12_65:                              ;   in Loop: Header=BB12_47 Depth=1
	s_or_b32 exec_lo, exec_lo, s36
	s_and_saveexec_b32 s36, s18
	s_cbranch_execnz .LBB12_98
.LBB12_66:                              ;   in Loop: Header=BB12_47 Depth=1
	s_or_b32 exec_lo, exec_lo, s36
	s_and_saveexec_b32 s36, s19
	s_cbranch_execnz .LBB12_99
.LBB12_67:                              ;   in Loop: Header=BB12_47 Depth=1
	s_or_b32 exec_lo, exec_lo, s36
	s_and_saveexec_b32 s36, s20
	s_cbranch_execnz .LBB12_100
.LBB12_68:                              ;   in Loop: Header=BB12_47 Depth=1
	s_or_b32 exec_lo, exec_lo, s36
	s_and_saveexec_b32 s36, s21
	s_cbranch_execnz .LBB12_101
.LBB12_69:                              ;   in Loop: Header=BB12_47 Depth=1
	s_or_b32 exec_lo, exec_lo, s36
	s_and_saveexec_b32 s36, s22
	s_cbranch_execnz .LBB12_102
.LBB12_70:                              ;   in Loop: Header=BB12_47 Depth=1
	s_or_b32 exec_lo, exec_lo, s36
	s_and_saveexec_b32 s36, s23
	s_cbranch_execnz .LBB12_103
.LBB12_71:                              ;   in Loop: Header=BB12_47 Depth=1
	s_or_b32 exec_lo, exec_lo, s36
	s_and_saveexec_b32 s36, s24
	s_cbranch_execnz .LBB12_104
.LBB12_72:                              ;   in Loop: Header=BB12_47 Depth=1
	s_or_b32 exec_lo, exec_lo, s36
	s_and_saveexec_b32 s36, s25
	s_cbranch_execnz .LBB12_105
.LBB12_73:                              ;   in Loop: Header=BB12_47 Depth=1
	s_or_b32 exec_lo, exec_lo, s36
	s_and_saveexec_b32 s36, s26
	s_cbranch_execnz .LBB12_106
.LBB12_74:                              ;   in Loop: Header=BB12_47 Depth=1
	s_or_b32 exec_lo, exec_lo, s36
	s_and_saveexec_b32 s36, s27
	s_cbranch_execnz .LBB12_107
.LBB12_75:                              ;   in Loop: Header=BB12_47 Depth=1
	s_or_b32 exec_lo, exec_lo, s36
	s_and_saveexec_b32 s36, s28
	s_cbranch_execnz .LBB12_108
.LBB12_76:                              ;   in Loop: Header=BB12_47 Depth=1
	s_or_b32 exec_lo, exec_lo, s36
	s_and_saveexec_b32 s36, s29
	s_cbranch_execnz .LBB12_109
.LBB12_77:                              ;   in Loop: Header=BB12_47 Depth=1
	s_or_b32 exec_lo, exec_lo, s36
	s_and_saveexec_b32 s36, s30
	s_cbranch_execnz .LBB12_110
.LBB12_78:                              ;   in Loop: Header=BB12_47 Depth=1
	s_or_b32 exec_lo, exec_lo, s36
	s_and_saveexec_b32 s36, s31
	s_cbranch_execnz .LBB12_111
.LBB12_79:                              ;   in Loop: Header=BB12_47 Depth=1
	s_or_b32 exec_lo, exec_lo, s36
	s_and_saveexec_b32 s31, vcc_lo
	s_cbranch_execz .LBB12_46
	s_branch .LBB12_112
.LBB12_80:                              ;   in Loop: Header=BB12_47 Depth=1
	ds_load_b32 v10, v7 offset:16384
	s_waitcnt lgkmcnt(0)
	v_add_nc_u32_e32 v9, v10, v9
	s_or_b32 exec_lo, exec_lo, s36
	s_and_saveexec_b32 s36, s1
	s_cbranch_execz .LBB12_49
.LBB12_81:                              ;   in Loop: Header=BB12_47 Depth=1
	ds_load_b32 v10, v7 offset:16388
	s_waitcnt lgkmcnt(0)
	v_add_nc_u32_e32 v9, v10, v9
	s_or_b32 exec_lo, exec_lo, s36
	s_and_saveexec_b32 s36, s2
	s_cbranch_execz .LBB12_50
.LBB12_82:                              ;   in Loop: Header=BB12_47 Depth=1
	ds_load_b32 v10, v7 offset:16392
	s_waitcnt lgkmcnt(0)
	v_add_nc_u32_e32 v9, v10, v9
	s_or_b32 exec_lo, exec_lo, s36
	s_and_saveexec_b32 s36, s3
	s_cbranch_execz .LBB12_51
.LBB12_83:                              ;   in Loop: Header=BB12_47 Depth=1
	ds_load_b32 v10, v7 offset:16396
	s_waitcnt lgkmcnt(0)
	v_add_nc_u32_e32 v9, v10, v9
	s_or_b32 exec_lo, exec_lo, s36
	s_and_saveexec_b32 s36, s4
	s_cbranch_execz .LBB12_52
.LBB12_84:                              ;   in Loop: Header=BB12_47 Depth=1
	ds_load_b32 v10, v7 offset:16400
	s_waitcnt lgkmcnt(0)
	v_add_nc_u32_e32 v9, v10, v9
	s_or_b32 exec_lo, exec_lo, s36
	s_and_saveexec_b32 s36, s5
	s_cbranch_execz .LBB12_53
.LBB12_85:                              ;   in Loop: Header=BB12_47 Depth=1
	ds_load_b32 v10, v7 offset:16404
	s_waitcnt lgkmcnt(0)
	v_add_nc_u32_e32 v9, v10, v9
	s_or_b32 exec_lo, exec_lo, s36
	s_and_saveexec_b32 s36, s6
	s_cbranch_execz .LBB12_54
.LBB12_86:                              ;   in Loop: Header=BB12_47 Depth=1
	ds_load_b32 v10, v7 offset:16408
	s_waitcnt lgkmcnt(0)
	v_add_nc_u32_e32 v9, v10, v9
	s_or_b32 exec_lo, exec_lo, s36
	s_and_saveexec_b32 s36, s7
	s_cbranch_execz .LBB12_55
.LBB12_87:                              ;   in Loop: Header=BB12_47 Depth=1
	ds_load_b32 v10, v7 offset:16412
	s_waitcnt lgkmcnt(0)
	v_add_nc_u32_e32 v9, v10, v9
	s_or_b32 exec_lo, exec_lo, s36
	s_and_saveexec_b32 s36, s8
	s_cbranch_execz .LBB12_56
.LBB12_88:                              ;   in Loop: Header=BB12_47 Depth=1
	ds_load_b32 v10, v7 offset:16416
	s_waitcnt lgkmcnt(0)
	v_add_nc_u32_e32 v9, v10, v9
	s_or_b32 exec_lo, exec_lo, s36
	s_and_saveexec_b32 s36, s9
	s_cbranch_execz .LBB12_57
.LBB12_89:                              ;   in Loop: Header=BB12_47 Depth=1
	ds_load_b32 v10, v7 offset:16420
	s_waitcnt lgkmcnt(0)
	v_add_nc_u32_e32 v9, v10, v9
	s_or_b32 exec_lo, exec_lo, s36
	s_and_saveexec_b32 s36, s10
	s_cbranch_execz .LBB12_58
.LBB12_90:                              ;   in Loop: Header=BB12_47 Depth=1
	ds_load_b32 v10, v7 offset:16424
	s_waitcnt lgkmcnt(0)
	v_add_nc_u32_e32 v9, v10, v9
	s_or_b32 exec_lo, exec_lo, s36
	s_and_saveexec_b32 s36, s11
	s_cbranch_execz .LBB12_59
.LBB12_91:                              ;   in Loop: Header=BB12_47 Depth=1
	ds_load_b32 v10, v7 offset:16428
	s_waitcnt lgkmcnt(0)
	v_add_nc_u32_e32 v9, v10, v9
	s_or_b32 exec_lo, exec_lo, s36
	s_and_saveexec_b32 s36, s12
	s_cbranch_execz .LBB12_60
.LBB12_92:                              ;   in Loop: Header=BB12_47 Depth=1
	ds_load_b32 v10, v7 offset:16432
	s_waitcnt lgkmcnt(0)
	v_add_nc_u32_e32 v9, v10, v9
	s_or_b32 exec_lo, exec_lo, s36
	s_and_saveexec_b32 s36, s13
	s_cbranch_execz .LBB12_61
.LBB12_93:                              ;   in Loop: Header=BB12_47 Depth=1
	ds_load_b32 v10, v7 offset:16436
	s_waitcnt lgkmcnt(0)
	v_add_nc_u32_e32 v9, v10, v9
	s_or_b32 exec_lo, exec_lo, s36
	s_and_saveexec_b32 s36, s14
	s_cbranch_execz .LBB12_62
.LBB12_94:                              ;   in Loop: Header=BB12_47 Depth=1
	ds_load_b32 v10, v7 offset:16440
	s_waitcnt lgkmcnt(0)
	v_add_nc_u32_e32 v9, v10, v9
	s_or_b32 exec_lo, exec_lo, s36
	s_and_saveexec_b32 s36, s15
	s_cbranch_execz .LBB12_63
.LBB12_95:                              ;   in Loop: Header=BB12_47 Depth=1
	ds_load_b32 v10, v7 offset:16444
	s_waitcnt lgkmcnt(0)
	v_add_nc_u32_e32 v9, v10, v9
	s_or_b32 exec_lo, exec_lo, s36
	s_and_saveexec_b32 s36, s16
	s_cbranch_execz .LBB12_64
.LBB12_96:                              ;   in Loop: Header=BB12_47 Depth=1
	ds_load_b32 v10, v7 offset:16448
	s_waitcnt lgkmcnt(0)
	v_add_nc_u32_e32 v9, v10, v9
	s_or_b32 exec_lo, exec_lo, s36
	s_and_saveexec_b32 s36, s17
	s_cbranch_execz .LBB12_65
.LBB12_97:                              ;   in Loop: Header=BB12_47 Depth=1
	ds_load_b32 v10, v7 offset:16452
	s_waitcnt lgkmcnt(0)
	v_add_nc_u32_e32 v9, v10, v9
	s_or_b32 exec_lo, exec_lo, s36
	s_and_saveexec_b32 s36, s18
	s_cbranch_execz .LBB12_66
.LBB12_98:                              ;   in Loop: Header=BB12_47 Depth=1
	ds_load_b32 v10, v7 offset:16456
	s_waitcnt lgkmcnt(0)
	v_add_nc_u32_e32 v9, v10, v9
	s_or_b32 exec_lo, exec_lo, s36
	s_and_saveexec_b32 s36, s19
	s_cbranch_execz .LBB12_67
.LBB12_99:                              ;   in Loop: Header=BB12_47 Depth=1
	ds_load_b32 v10, v7 offset:16460
	s_waitcnt lgkmcnt(0)
	v_add_nc_u32_e32 v9, v10, v9
	s_or_b32 exec_lo, exec_lo, s36
	s_and_saveexec_b32 s36, s20
	s_cbranch_execz .LBB12_68
.LBB12_100:                             ;   in Loop: Header=BB12_47 Depth=1
	ds_load_b32 v10, v7 offset:16464
	s_waitcnt lgkmcnt(0)
	v_add_nc_u32_e32 v9, v10, v9
	s_or_b32 exec_lo, exec_lo, s36
	s_and_saveexec_b32 s36, s21
	s_cbranch_execz .LBB12_69
.LBB12_101:                             ;   in Loop: Header=BB12_47 Depth=1
	ds_load_b32 v10, v7 offset:16468
	s_waitcnt lgkmcnt(0)
	v_add_nc_u32_e32 v9, v10, v9
	s_or_b32 exec_lo, exec_lo, s36
	s_and_saveexec_b32 s36, s22
	s_cbranch_execz .LBB12_70
.LBB12_102:                             ;   in Loop: Header=BB12_47 Depth=1
	ds_load_b32 v10, v7 offset:16472
	s_waitcnt lgkmcnt(0)
	v_add_nc_u32_e32 v9, v10, v9
	s_or_b32 exec_lo, exec_lo, s36
	s_and_saveexec_b32 s36, s23
	s_cbranch_execz .LBB12_71
.LBB12_103:                             ;   in Loop: Header=BB12_47 Depth=1
	ds_load_b32 v10, v7 offset:16476
	s_waitcnt lgkmcnt(0)
	v_add_nc_u32_e32 v9, v10, v9
	s_or_b32 exec_lo, exec_lo, s36
	s_and_saveexec_b32 s36, s24
	s_cbranch_execz .LBB12_72
.LBB12_104:                             ;   in Loop: Header=BB12_47 Depth=1
	ds_load_b32 v10, v7 offset:16480
	s_waitcnt lgkmcnt(0)
	v_add_nc_u32_e32 v9, v10, v9
	s_or_b32 exec_lo, exec_lo, s36
	s_and_saveexec_b32 s36, s25
	s_cbranch_execz .LBB12_73
.LBB12_105:                             ;   in Loop: Header=BB12_47 Depth=1
	ds_load_b32 v10, v7 offset:16484
	s_waitcnt lgkmcnt(0)
	v_add_nc_u32_e32 v9, v10, v9
	s_or_b32 exec_lo, exec_lo, s36
	s_and_saveexec_b32 s36, s26
	s_cbranch_execz .LBB12_74
.LBB12_106:                             ;   in Loop: Header=BB12_47 Depth=1
	ds_load_b32 v10, v7 offset:16488
	s_waitcnt lgkmcnt(0)
	v_add_nc_u32_e32 v9, v10, v9
	s_or_b32 exec_lo, exec_lo, s36
	s_and_saveexec_b32 s36, s27
	s_cbranch_execz .LBB12_75
.LBB12_107:                             ;   in Loop: Header=BB12_47 Depth=1
	ds_load_b32 v10, v7 offset:16492
	s_waitcnt lgkmcnt(0)
	v_add_nc_u32_e32 v9, v10, v9
	s_or_b32 exec_lo, exec_lo, s36
	s_and_saveexec_b32 s36, s28
	s_cbranch_execz .LBB12_76
.LBB12_108:                             ;   in Loop: Header=BB12_47 Depth=1
	ds_load_b32 v10, v7 offset:16496
	s_waitcnt lgkmcnt(0)
	v_add_nc_u32_e32 v9, v10, v9
	s_or_b32 exec_lo, exec_lo, s36
	s_and_saveexec_b32 s36, s29
	s_cbranch_execz .LBB12_77
.LBB12_109:                             ;   in Loop: Header=BB12_47 Depth=1
	ds_load_b32 v10, v7 offset:16500
	s_waitcnt lgkmcnt(0)
	v_add_nc_u32_e32 v9, v10, v9
	s_or_b32 exec_lo, exec_lo, s36
	s_and_saveexec_b32 s36, s30
	s_cbranch_execz .LBB12_78
.LBB12_110:                             ;   in Loop: Header=BB12_47 Depth=1
	ds_load_b32 v10, v7 offset:16504
	s_waitcnt lgkmcnt(0)
	v_add_nc_u32_e32 v9, v10, v9
	s_or_b32 exec_lo, exec_lo, s36
	s_and_saveexec_b32 s36, s31
	s_cbranch_execz .LBB12_79
.LBB12_111:                             ;   in Loop: Header=BB12_47 Depth=1
	s_delay_alu instid0(VALU_DEP_1) | instskip(NEXT) | instid1(VALU_DEP_1)
	v_add3_u32 v10, v8, -1, v9
	v_lshl_add_u32 v10, v10, 2, 0
	ds_store_2addr_stride64_b32 v10, v2, v3 offset1:32
	s_or_b32 exec_lo, exec_lo, s36
	s_and_saveexec_b32 s31, vcc_lo
	s_cbranch_execz .LBB12_46
.LBB12_112:                             ;   in Loop: Header=BB12_47 Depth=1
	ds_store_b32 v7, v9 offset:16508
	s_branch .LBB12_46
.LBB12_113:
	s_or_b32 exec_lo, exec_lo, s35
	s_ashr_i32 s35, s34, 31
	s_mov_b32 s3, exec_lo
	s_lshl_b64 s[0:1], s[34:35], 2
	s_delay_alu instid0(SALU_CYCLE_1) | instskip(SKIP_4) | instid1(SALU_CYCLE_1)
	s_add_u32 s0, s42, s0
	s_addc_u32 s1, s43, s1
	s_load_b64 s[0:1], s[0:1], 0x0
	s_waitcnt lgkmcnt(0)
	s_sub_i32 s2, s1, s0
	v_cmpx_gt_i32_e64 s2, v0
	s_cbranch_execz .LBB12_123
; %bb.114:
	s_sub_i32 s3, s0, s46
	s_sub_i32 s0, s0, s1
	s_and_b32 s1, s2, 7
	s_cmp_lt_u32 s0, -7
	s_mov_b32 s7, 0
	s_cselect_b32 s4, -1, 0
	s_and_b32 s5, s2, -8
	s_cmp_lg_u32 s1, 0
	s_cselect_b32 s6, -1, 0
	s_branch .LBB12_116
.LBB12_115:                             ;   in Loop: Header=BB12_116 Depth=1
	s_delay_alu instid0(VALU_DEP_1) | instskip(SKIP_3) | instid1(VALU_DEP_3)
	v_ashrrev_i32_e32 v4, 31, v3
	v_add_nc_u32_e32 v0, 0x400, v0
	s_waitcnt lgkmcnt(0)
	v_add_nc_u32_e32 v1, s46, v1
	v_lshlrev_b64 v[3:4], 2, v[3:4]
	s_delay_alu instid0(VALU_DEP_3) | instskip(SKIP_1) | instid1(VALU_DEP_2)
	v_cmp_le_i32_e32 vcc_lo, s2, v0
	s_or_b32 s7, vcc_lo, s7
	v_add_co_u32 v5, s0, s48, v3
	s_delay_alu instid0(VALU_DEP_1) | instskip(SKIP_1) | instid1(VALU_DEP_1)
	v_add_co_ci_u32_e64 v6, s0, s49, v4, s0
	v_add_co_u32 v3, s0, s50, v3
	v_add_co_ci_u32_e64 v4, s0, s51, v4, s0
	global_store_b32 v[5:6], v1, off
	global_store_b32 v[3:4], v2, off
	s_and_not1_b32 exec_lo, exec_lo, s7
	s_cbranch_execz .LBB12_123
.LBB12_116:                             ; =>This Loop Header: Depth=1
                                        ;     Child Loop BB12_118 Depth 2
                                        ;     Child Loop BB12_122 Depth 2
	v_lshl_add_u32 v1, v0, 2, 0
	v_mov_b32_e32 v3, s3
	s_and_not1_b32 vcc_lo, exec_lo, s4
	s_mov_b32 s0, 0
	ds_load_2addr_stride64_b32 v[1:2], v1 offset1:32
	s_cbranch_vccnz .LBB12_120
; %bb.117:                              ;   in Loop: Header=BB12_116 Depth=1
	v_mov_b32_e32 v3, s3
	s_mov_b32 s8, 0
	s_set_inst_prefetch_distance 0x1
	.p2align	6
.LBB12_118:                             ;   Parent Loop BB12_116 Depth=1
                                        ; =>  This Inner Loop Header: Depth=2
	v_mov_b32_e32 v10, s8
	s_add_i32 s0, s0, 8
	s_add_i32 s8, s8, 32
	s_cmp_eq_u32 s5, s0
	ds_load_2addr_b32 v[4:5], v10 offset1:1
	ds_load_2addr_b32 v[6:7], v10 offset0:2 offset1:3
	ds_load_2addr_b32 v[8:9], v10 offset0:4 offset1:5
	;; [unrolled: 1-line block ×3, first 2 shown]
	s_waitcnt lgkmcnt(3)
	v_cmp_gt_i32_e32 vcc_lo, v1, v4
	v_cndmask_b32_e64 v4, 0, 1, vcc_lo
	s_waitcnt lgkmcnt(2)
	v_cmp_gt_i32_e32 vcc_lo, v1, v6
	v_cndmask_b32_e64 v6, 0, 1, vcc_lo
	v_cmp_gt_i32_e32 vcc_lo, v1, v5
	v_add_co_ci_u32_e32 v3, vcc_lo, v3, v4, vcc_lo
	s_waitcnt lgkmcnt(1)
	v_cmp_gt_i32_e32 vcc_lo, v1, v8
	v_cndmask_b32_e64 v4, 0, 1, vcc_lo
	v_cmp_gt_i32_e32 vcc_lo, v1, v7
	v_add_co_ci_u32_e32 v3, vcc_lo, v3, v6, vcc_lo
	;; [unrolled: 5-line block ×3, first 2 shown]
	v_cmp_gt_i32_e32 vcc_lo, v1, v11
	s_delay_alu instid0(VALU_DEP_2)
	v_add_co_ci_u32_e32 v3, vcc_lo, v3, v5, vcc_lo
	s_cbranch_scc0 .LBB12_118
; %bb.119:                              ;   in Loop: Header=BB12_116 Depth=1
	s_set_inst_prefetch_distance 0x2
	s_mov_b32 s0, s5
.LBB12_120:                             ;   in Loop: Header=BB12_116 Depth=1
	s_and_not1_b32 vcc_lo, exec_lo, s6
	s_cbranch_vccnz .LBB12_115
; %bb.121:                              ;   in Loop: Header=BB12_116 Depth=1
	s_lshl_b32 s0, s0, 2
	s_mov_b32 s8, s1
	s_add_i32 s0, s0, 0
.LBB12_122:                             ;   Parent Loop BB12_116 Depth=1
                                        ; =>  This Inner Loop Header: Depth=2
	s_delay_alu instid0(SALU_CYCLE_1)
	v_mov_b32_e32 v4, s0
	s_add_i32 s8, s8, -1
	s_add_i32 s0, s0, 4
	s_cmp_lg_u32 s8, 0
	ds_load_b32 v4, v4
	s_waitcnt lgkmcnt(0)
	v_cmp_gt_i32_e32 vcc_lo, v1, v4
	v_add_co_ci_u32_e32 v3, vcc_lo, 0, v3, vcc_lo
	s_cbranch_scc1 .LBB12_122
	s_branch .LBB12_115
.LBB12_123:
	s_nop 0
	s_sendmsg sendmsg(MSG_DEALLOC_VGPRS)
	s_endpgm
	.section	.rodata,"a",@progbits
	.p2align	6, 0x0
	.amdhsa_kernel _ZN9rocsparseL26csrgemm_fill_block_per_rowILj1024ELj32ELj2048ELj137ELj32EiifEEvT5_PKS1_S3_NS_24const_host_device_scalarIT6_EEPKT4_S3_PKS5_S9_S3_SB_S6_S9_S3_SB_S9_PS1_PS5_21rocsparse_index_base_SE_SE_SE_bbb
		.amdhsa_group_segment_fixed_size 0
		.amdhsa_private_segment_fixed_size 0
		.amdhsa_kernarg_size 156
		.amdhsa_user_sgpr_count 15
		.amdhsa_user_sgpr_dispatch_ptr 0
		.amdhsa_user_sgpr_queue_ptr 0
		.amdhsa_user_sgpr_kernarg_segment_ptr 1
		.amdhsa_user_sgpr_dispatch_id 0
		.amdhsa_user_sgpr_private_segment_size 0
		.amdhsa_wavefront_size32 1
		.amdhsa_uses_dynamic_stack 0
		.amdhsa_enable_private_segment 0
		.amdhsa_system_sgpr_workgroup_id_x 1
		.amdhsa_system_sgpr_workgroup_id_y 0
		.amdhsa_system_sgpr_workgroup_id_z 0
		.amdhsa_system_sgpr_workgroup_info 0
		.amdhsa_system_vgpr_workitem_id 0
		.amdhsa_next_free_vgpr 16
		.amdhsa_next_free_sgpr 52
		.amdhsa_reserve_vcc 1
		.amdhsa_float_round_mode_32 0
		.amdhsa_float_round_mode_16_64 0
		.amdhsa_float_denorm_mode_32 3
		.amdhsa_float_denorm_mode_16_64 3
		.amdhsa_dx10_clamp 1
		.amdhsa_ieee_mode 1
		.amdhsa_fp16_overflow 0
		.amdhsa_workgroup_processor_mode 1
		.amdhsa_memory_ordered 1
		.amdhsa_forward_progress 0
		.amdhsa_shared_vgpr_count 0
		.amdhsa_exception_fp_ieee_invalid_op 0
		.amdhsa_exception_fp_denorm_src 0
		.amdhsa_exception_fp_ieee_div_zero 0
		.amdhsa_exception_fp_ieee_overflow 0
		.amdhsa_exception_fp_ieee_underflow 0
		.amdhsa_exception_fp_ieee_inexact 0
		.amdhsa_exception_int_div_zero 0
	.end_amdhsa_kernel
	.section	.text._ZN9rocsparseL26csrgemm_fill_block_per_rowILj1024ELj32ELj2048ELj137ELj32EiifEEvT5_PKS1_S3_NS_24const_host_device_scalarIT6_EEPKT4_S3_PKS5_S9_S3_SB_S6_S9_S3_SB_S9_PS1_PS5_21rocsparse_index_base_SE_SE_SE_bbb,"axG",@progbits,_ZN9rocsparseL26csrgemm_fill_block_per_rowILj1024ELj32ELj2048ELj137ELj32EiifEEvT5_PKS1_S3_NS_24const_host_device_scalarIT6_EEPKT4_S3_PKS5_S9_S3_SB_S6_S9_S3_SB_S9_PS1_PS5_21rocsparse_index_base_SE_SE_SE_bbb,comdat
.Lfunc_end12:
	.size	_ZN9rocsparseL26csrgemm_fill_block_per_rowILj1024ELj32ELj2048ELj137ELj32EiifEEvT5_PKS1_S3_NS_24const_host_device_scalarIT6_EEPKT4_S3_PKS5_S9_S3_SB_S6_S9_S3_SB_S9_PS1_PS5_21rocsparse_index_base_SE_SE_SE_bbb, .Lfunc_end12-_ZN9rocsparseL26csrgemm_fill_block_per_rowILj1024ELj32ELj2048ELj137ELj32EiifEEvT5_PKS1_S3_NS_24const_host_device_scalarIT6_EEPKT4_S3_PKS5_S9_S3_SB_S6_S9_S3_SB_S9_PS1_PS5_21rocsparse_index_base_SE_SE_SE_bbb
                                        ; -- End function
	.section	.AMDGPU.csdata,"",@progbits
; Kernel info:
; codeLenInByte = 3876
; NumSgprs: 54
; NumVgprs: 16
; ScratchSize: 0
; MemoryBound: 0
; FloatMode: 240
; IeeeMode: 1
; LDSByteSize: 0 bytes/workgroup (compile time only)
; SGPRBlocks: 6
; VGPRBlocks: 1
; NumSGPRsForWavesPerEU: 54
; NumVGPRsForWavesPerEU: 16
; Occupancy: 16
; WaveLimiterHint : 1
; COMPUTE_PGM_RSRC2:SCRATCH_EN: 0
; COMPUTE_PGM_RSRC2:USER_SGPR: 15
; COMPUTE_PGM_RSRC2:TRAP_HANDLER: 0
; COMPUTE_PGM_RSRC2:TGID_X_EN: 1
; COMPUTE_PGM_RSRC2:TGID_Y_EN: 0
; COMPUTE_PGM_RSRC2:TGID_Z_EN: 0
; COMPUTE_PGM_RSRC2:TIDIG_COMP_CNT: 0
	.section	.text._ZN9rocsparseL26csrgemm_fill_block_per_rowILj1024ELj32ELj2048ELj137ELj64EiifEEvT5_PKS1_S3_NS_24const_host_device_scalarIT6_EEPKT4_S3_PKS5_S9_S3_SB_S6_S9_S3_SB_S9_PS1_PS5_21rocsparse_index_base_SE_SE_SE_bbb,"axG",@progbits,_ZN9rocsparseL26csrgemm_fill_block_per_rowILj1024ELj32ELj2048ELj137ELj64EiifEEvT5_PKS1_S3_NS_24const_host_device_scalarIT6_EEPKT4_S3_PKS5_S9_S3_SB_S6_S9_S3_SB_S9_PS1_PS5_21rocsparse_index_base_SE_SE_SE_bbb,comdat
	.globl	_ZN9rocsparseL26csrgemm_fill_block_per_rowILj1024ELj32ELj2048ELj137ELj64EiifEEvT5_PKS1_S3_NS_24const_host_device_scalarIT6_EEPKT4_S3_PKS5_S9_S3_SB_S6_S9_S3_SB_S9_PS1_PS5_21rocsparse_index_base_SE_SE_SE_bbb ; -- Begin function _ZN9rocsparseL26csrgemm_fill_block_per_rowILj1024ELj32ELj2048ELj137ELj64EiifEEvT5_PKS1_S3_NS_24const_host_device_scalarIT6_EEPKT4_S3_PKS5_S9_S3_SB_S6_S9_S3_SB_S9_PS1_PS5_21rocsparse_index_base_SE_SE_SE_bbb
	.p2align	8
	.type	_ZN9rocsparseL26csrgemm_fill_block_per_rowILj1024ELj32ELj2048ELj137ELj64EiifEEvT5_PKS1_S3_NS_24const_host_device_scalarIT6_EEPKT4_S3_PKS5_S9_S3_SB_S6_S9_S3_SB_S9_PS1_PS5_21rocsparse_index_base_SE_SE_SE_bbb,@function
_ZN9rocsparseL26csrgemm_fill_block_per_rowILj1024ELj32ELj2048ELj137ELj64EiifEEvT5_PKS1_S3_NS_24const_host_device_scalarIT6_EEPKT4_S3_PKS5_S9_S3_SB_S6_S9_S3_SB_S9_PS1_PS5_21rocsparse_index_base_SE_SE_SE_bbb: ; @_ZN9rocsparseL26csrgemm_fill_block_per_rowILj1024ELj32ELj2048ELj137ELj64EiifEEvT5_PKS1_S3_NS_24const_host_device_scalarIT6_EEPKT4_S3_PKS5_S9_S3_SB_S6_S9_S3_SB_S9_PS1_PS5_21rocsparse_index_base_SE_SE_SE_bbb
; %bb.0:
	s_clause 0x3
	s_load_b32 s12, s[0:1], 0x98
	s_load_b128 s[24:27], s[0:1], 0x88
	s_load_b64 s[4:5], s[0:1], 0x18
	s_load_b64 s[2:3], s[0:1], 0x50
	s_waitcnt lgkmcnt(0)
	s_bitcmp1_b32 s12, 0
	s_cselect_b32 s13, -1, 0
	s_bitcmp1_b32 s12, 16
	s_cselect_b32 s14, -1, 0
	s_xor_b32 s6, s13, -1
	s_delay_alu instid0(SALU_CYCLE_1) | instskip(NEXT) | instid1(SALU_CYCLE_1)
	s_or_b32 s6, s6, s14
	s_and_b32 vcc_lo, exec_lo, s6
	s_cbranch_vccnz .LBB13_2
; %bb.1:
	s_load_b32 s4, s[4:5], 0x0
	s_waitcnt lgkmcnt(0)
	v_mov_b32_e32 v8, s4
	s_branch .LBB13_3
.LBB13_2:
	v_cndmask_b32_e64 v8, 0, s4, s13
.LBB13_3:
	s_clause 0x4
	s_load_b128 s[28:31], s[0:1], 0x78
	s_load_b256 s[16:23], s[0:1], 0x58
	s_load_b128 s[36:39], s[0:1], 0x40
	s_load_b128 s[40:43], s[0:1], 0x8
	s_load_b256 s[4:11], s[0:1], 0x20
	s_bitcmp1_b32 s12, 8
	s_cselect_b32 s12, -1, 0
	s_delay_alu instid0(SALU_CYCLE_1) | instskip(NEXT) | instid1(SALU_CYCLE_1)
	s_xor_b32 s33, s12, -1
	s_or_b32 s14, s33, s14
	s_delay_alu instid0(SALU_CYCLE_1)
	s_and_b32 vcc_lo, exec_lo, s14
	s_cbranch_vccnz .LBB13_5
; %bb.4:
	s_load_b32 s2, s[2:3], 0x0
	s_waitcnt lgkmcnt(0)
	v_mov_b32_e32 v7, s2
	s_branch .LBB13_6
.LBB13_5:
	v_cndmask_b32_e64 v7, 0, s2, s12
.LBB13_6:
	s_load_b32 s33, s[0:1], 0x0
	v_lshl_add_u32 v5, v0, 2, 0
	v_or_b32_e32 v6, 0xfffffc00, v0
	v_mov_b32_e32 v1, 0
	s_mov_b32 s0, 0
	s_delay_alu instid0(VALU_DEP_3)
	v_mov_b32_e32 v2, v5
	s_waitcnt lgkmcnt(0)
	v_dual_mov_b32 v4, v6 :: v_dual_mov_b32 v3, s33
.LBB13_7:                               ; =>This Inner Loop Header: Depth=1
	s_delay_alu instid0(VALU_DEP_1) | instskip(NEXT) | instid1(VALU_DEP_1)
	v_add_co_u32 v4, s1, 0x400, v4
	s_xor_b32 s1, s1, -1
	ds_store_2addr_stride64_b32 v2, v3, v1 offset1:32
	v_add_nc_u32_e32 v2, 0x1000, v2
	s_and_b32 s1, exec_lo, s1
	s_delay_alu instid0(SALU_CYCLE_1) | instskip(NEXT) | instid1(SALU_CYCLE_1)
	s_or_b32 s0, s1, s0
	s_and_not1_b32 exec_lo, exec_lo, s0
	s_cbranch_execnz .LBB13_7
; %bb.8:
	s_or_b32 exec_lo, exec_lo, s0
	s_waitcnt lgkmcnt(0)
	s_barrier
	buffer_gl0_inv
	s_load_b32 s0, s[40:41], 0x0
	s_mov_b32 s1, 0
	s_waitcnt lgkmcnt(0)
	s_add_i32 s0, s0, s15
	s_delay_alu instid0(SALU_CYCLE_1) | instskip(NEXT) | instid1(SALU_CYCLE_1)
	s_lshl_b64 s[0:1], s[0:1], 2
	s_add_u32 s0, s42, s0
	s_addc_u32 s1, s43, s1
	s_and_b32 vcc_lo, exec_lo, s13
	s_load_b32 s34, s[0:1], 0x0
	s_cbranch_vccz .LBB13_28
; %bb.9:
	s_waitcnt lgkmcnt(0)
	s_ashr_i32 s35, s34, 31
	v_lshrrev_b32_e32 v1, 5, v0
	s_lshl_b64 s[0:1], s[34:35], 2
	s_delay_alu instid0(SALU_CYCLE_1) | instskip(SKIP_1) | instid1(VALU_DEP_1)
	s_add_u32 s0, s4, s0
	s_addc_u32 s1, s5, s1
	v_subrev_nc_u32_e32 v1, s24, v1
	s_load_b64 s[0:1], s[0:1], 0x0
	s_waitcnt lgkmcnt(0)
	s_delay_alu instid0(VALU_DEP_1) | instskip(SKIP_2) | instid1(VALU_DEP_1)
	v_add_nc_u32_e32 v1, s0, v1
	s_sub_i32 s0, s1, s24
	s_mov_b32 s1, exec_lo
	v_cmpx_gt_i32_e64 s0, v1
	s_cbranch_execz .LBB13_27
; %bb.10:
	v_and_b32_e32 v2, 31, v0
	s_mov_b32 s2, 0
	s_delay_alu instid0(VALU_DEP_1)
	v_subrev_nc_u32_e32 v9, s25, v2
	s_branch .LBB13_12
.LBB13_11:                              ;   in Loop: Header=BB13_12 Depth=1
	s_or_b32 exec_lo, exec_lo, s3
	v_add_nc_u32_e32 v1, 32, v1
	s_delay_alu instid0(VALU_DEP_1) | instskip(SKIP_1) | instid1(SALU_CYCLE_1)
	v_cmp_le_i32_e32 vcc_lo, s0, v1
	s_or_b32 s2, vcc_lo, s2
	s_and_not1_b32 exec_lo, exec_lo, s2
	s_cbranch_execz .LBB13_27
.LBB13_12:                              ; =>This Loop Header: Depth=1
                                        ;     Child Loop BB13_15 Depth 2
                                        ;       Child Loop BB13_17 Depth 3
	v_ashrrev_i32_e32 v2, 31, v1
	s_mov_b32 s3, exec_lo
	s_delay_alu instid0(VALU_DEP_1) | instskip(NEXT) | instid1(VALU_DEP_1)
	v_lshlrev_b64 v[3:4], 2, v[1:2]
	v_add_co_u32 v10, vcc_lo, s6, v3
	s_delay_alu instid0(VALU_DEP_2) | instskip(SKIP_3) | instid1(VALU_DEP_1)
	v_add_co_ci_u32_e32 v11, vcc_lo, s7, v4, vcc_lo
	global_load_b32 v2, v[10:11], off
	s_waitcnt vmcnt(0)
	v_subrev_nc_u32_e32 v10, s24, v2
	v_ashrrev_i32_e32 v11, 31, v10
	s_delay_alu instid0(VALU_DEP_1) | instskip(NEXT) | instid1(VALU_DEP_1)
	v_lshlrev_b64 v[10:11], 2, v[10:11]
	v_add_co_u32 v10, vcc_lo, s10, v10
	s_delay_alu instid0(VALU_DEP_2) | instskip(SKIP_4) | instid1(VALU_DEP_1)
	v_add_co_ci_u32_e32 v11, vcc_lo, s11, v11, vcc_lo
	global_load_b64 v[11:12], v[10:11], off
	s_waitcnt vmcnt(0)
	v_subrev_nc_u32_e32 v10, s25, v12
	v_add_nc_u32_e32 v2, v11, v9
	v_cmpx_lt_i32_e64 v2, v10
	s_cbranch_execz .LBB13_11
; %bb.13:                               ;   in Loop: Header=BB13_12 Depth=1
	v_add_co_u32 v3, vcc_lo, s8, v3
	v_add_co_ci_u32_e32 v4, vcc_lo, s9, v4, vcc_lo
	s_mov_b32 s4, 0
	global_load_b32 v3, v[3:4], off
	s_waitcnt vmcnt(0)
	v_mul_f32_e32 v4, v8, v3
	s_branch .LBB13_15
.LBB13_14:                              ;   in Loop: Header=BB13_15 Depth=2
	s_or_b32 exec_lo, exec_lo, s5
	v_add_nc_u32_e32 v2, 32, v2
	s_delay_alu instid0(VALU_DEP_1) | instskip(SKIP_1) | instid1(SALU_CYCLE_1)
	v_cmp_ge_i32_e32 vcc_lo, v2, v10
	s_or_b32 s4, vcc_lo, s4
	s_and_not1_b32 exec_lo, exec_lo, s4
	s_cbranch_execz .LBB13_11
.LBB13_15:                              ;   Parent Loop BB13_12 Depth=1
                                        ; =>  This Loop Header: Depth=2
                                        ;       Child Loop BB13_17 Depth 3
	v_ashrrev_i32_e32 v3, 31, v2
	s_mov_b32 s5, 0
	s_delay_alu instid0(VALU_DEP_1) | instskip(NEXT) | instid1(VALU_DEP_1)
	v_lshlrev_b64 v[11:12], 2, v[2:3]
	v_add_co_u32 v13, vcc_lo, s36, v11
	s_delay_alu instid0(VALU_DEP_2)
	v_add_co_ci_u32_e32 v14, vcc_lo, s37, v12, vcc_lo
	v_add_co_u32 v11, vcc_lo, s38, v11
	v_add_co_ci_u32_e32 v12, vcc_lo, s39, v12, vcc_lo
	global_load_b32 v3, v[13:14], off
	global_load_b32 v11, v[11:12], off
	s_waitcnt vmcnt(1)
	v_subrev_nc_u32_e32 v3, s25, v3
	s_delay_alu instid0(VALU_DEP_1) | instskip(SKIP_1) | instid1(VALU_DEP_1)
	v_mul_lo_u32 v12, 0x89, v3
	s_waitcnt vmcnt(0)
	v_dual_mul_f32 v11, v4, v11 :: v_dual_and_b32 v12, 0x7ff, v12
	s_branch .LBB13_17
.LBB13_16:                              ;   in Loop: Header=BB13_17 Depth=3
	s_or_b32 exec_lo, exec_lo, s13
	s_xor_b32 s13, s14, -1
	s_delay_alu instid0(SALU_CYCLE_1) | instskip(NEXT) | instid1(SALU_CYCLE_1)
	s_and_b32 s13, exec_lo, s13
	s_or_b32 s5, s13, s5
	s_delay_alu instid0(SALU_CYCLE_1)
	s_and_not1_b32 exec_lo, exec_lo, s5
	s_cbranch_execz .LBB13_14
.LBB13_17:                              ;   Parent Loop BB13_12 Depth=1
                                        ;     Parent Loop BB13_15 Depth=2
                                        ; =>    This Inner Loop Header: Depth=3
	s_delay_alu instid0(VALU_DEP_1)
	v_lshl_add_u32 v13, v12, 2, 0
	s_mov_b32 s13, exec_lo
                                        ; implicit-def: $sgpr14
	ds_load_b32 v14, v13
	s_waitcnt lgkmcnt(0)
	v_cmpx_ne_u32_e64 v14, v3
	s_xor_b32 s13, exec_lo, s13
	s_cbranch_execz .LBB13_25
; %bb.18:                               ;   in Loop: Header=BB13_17 Depth=3
	s_mov_b32 s15, exec_lo
                                        ; implicit-def: $sgpr14
	v_cmpx_ne_u32_e64 s33, v14
	s_xor_b32 s15, exec_lo, s15
; %bb.19:                               ;   in Loop: Header=BB13_17 Depth=3
	v_add_nc_u32_e32 v12, 1, v12
	s_mov_b32 s14, -1
                                        ; implicit-def: $vgpr13
	s_delay_alu instid0(VALU_DEP_1)
	v_and_b32_e32 v12, 0x7ff, v12
; %bb.20:                               ;   in Loop: Header=BB13_17 Depth=3
	s_and_not1_saveexec_b32 s15, s15
	s_cbranch_execz .LBB13_24
; %bb.21:                               ;   in Loop: Header=BB13_17 Depth=3
	v_mov_b32_e32 v14, s33
	s_mov_b32 s35, -1
	s_mov_b32 s40, exec_lo
	ds_cmpstore_rtn_b32 v14, v13, v3, v14
	s_waitcnt lgkmcnt(0)
	v_cmpx_eq_u32_e64 s33, v14
	s_cbranch_execz .LBB13_23
; %bb.22:                               ;   in Loop: Header=BB13_17 Depth=3
	ds_add_f32 v13, v11 offset:8192
	s_xor_b32 s35, exec_lo, -1
.LBB13_23:                              ;   in Loop: Header=BB13_17 Depth=3
	s_or_b32 exec_lo, exec_lo, s40
	s_delay_alu instid0(SALU_CYCLE_1) | instskip(SKIP_1) | instid1(SALU_CYCLE_1)
	s_and_not1_b32 s14, s14, exec_lo
	s_and_b32 s35, s35, exec_lo
	s_or_b32 s14, s14, s35
.LBB13_24:                              ;   in Loop: Header=BB13_17 Depth=3
	s_or_b32 exec_lo, exec_lo, s15
	s_delay_alu instid0(SALU_CYCLE_1)
	s_and_b32 s14, s14, exec_lo
                                        ; implicit-def: $vgpr13
.LBB13_25:                              ;   in Loop: Header=BB13_17 Depth=3
	s_and_not1_saveexec_b32 s13, s13
	s_cbranch_execz .LBB13_16
; %bb.26:                               ;   in Loop: Header=BB13_17 Depth=3
	ds_add_f32 v13, v11 offset:8192
	s_and_not1_b32 s14, s14, exec_lo
	s_branch .LBB13_16
.LBB13_27:
	s_or_b32 exec_lo, exec_lo, s1
.LBB13_28:
	s_delay_alu instid0(SALU_CYCLE_1)
	s_and_not1_b32 vcc_lo, exec_lo, s12
	s_cbranch_vccnz .LBB13_45
; %bb.29:
	s_waitcnt lgkmcnt(0)
	s_ashr_i32 s35, s34, 31
	v_subrev_nc_u32_e32 v1, s27, v0
	s_lshl_b64 s[0:1], s[34:35], 2
	s_delay_alu instid0(SALU_CYCLE_1)
	s_add_u32 s0, s16, s0
	s_addc_u32 s1, s17, s1
	s_load_b64 s[0:1], s[0:1], 0x0
	s_waitcnt lgkmcnt(0)
	v_add_nc_u32_e32 v1, s0, v1
	s_sub_i32 s0, s1, s27
	s_mov_b32 s1, exec_lo
	s_delay_alu instid0(VALU_DEP_1)
	v_cmpx_gt_i32_e64 s0, v1
	s_cbranch_execz .LBB13_44
; %bb.30:
	s_mov_b32 s2, 0
	s_branch .LBB13_32
.LBB13_31:                              ;   in Loop: Header=BB13_32 Depth=1
	s_or_b32 exec_lo, exec_lo, s3
	v_add_nc_u32_e32 v1, 0x400, v1
	s_delay_alu instid0(VALU_DEP_1) | instskip(SKIP_1) | instid1(SALU_CYCLE_1)
	v_cmp_le_i32_e32 vcc_lo, s0, v1
	s_or_b32 s2, vcc_lo, s2
	s_and_not1_b32 exec_lo, exec_lo, s2
	s_cbranch_execz .LBB13_44
.LBB13_32:                              ; =>This Loop Header: Depth=1
                                        ;     Child Loop BB13_34 Depth 2
	v_ashrrev_i32_e32 v2, 31, v1
	s_mov_b32 s3, 0
	s_delay_alu instid0(VALU_DEP_1) | instskip(NEXT) | instid1(VALU_DEP_1)
	v_lshlrev_b64 v[2:3], 2, v[1:2]
	v_add_co_u32 v8, vcc_lo, s18, v2
	s_delay_alu instid0(VALU_DEP_2)
	v_add_co_ci_u32_e32 v9, vcc_lo, s19, v3, vcc_lo
	v_add_co_u32 v2, vcc_lo, s20, v2
	v_add_co_ci_u32_e32 v3, vcc_lo, s21, v3, vcc_lo
	global_load_b32 v4, v[8:9], off
	global_load_b32 v3, v[2:3], off
	s_waitcnt vmcnt(1)
	v_subrev_nc_u32_e32 v2, s27, v4
	s_delay_alu instid0(VALU_DEP_1) | instskip(SKIP_1) | instid1(VALU_DEP_1)
	v_mul_lo_u32 v4, 0x89, v2
	s_waitcnt vmcnt(0)
	v_dual_mul_f32 v3, v7, v3 :: v_dual_and_b32 v4, 0x7ff, v4
	s_branch .LBB13_34
.LBB13_33:                              ;   in Loop: Header=BB13_34 Depth=2
	s_or_b32 exec_lo, exec_lo, s4
	s_xor_b32 s4, s5, -1
	s_delay_alu instid0(SALU_CYCLE_1) | instskip(NEXT) | instid1(SALU_CYCLE_1)
	s_and_b32 s4, exec_lo, s4
	s_or_b32 s3, s4, s3
	s_delay_alu instid0(SALU_CYCLE_1)
	s_and_not1_b32 exec_lo, exec_lo, s3
	s_cbranch_execz .LBB13_31
.LBB13_34:                              ;   Parent Loop BB13_32 Depth=1
                                        ; =>  This Inner Loop Header: Depth=2
	s_delay_alu instid0(VALU_DEP_1)
	v_lshl_add_u32 v8, v4, 2, 0
	s_mov_b32 s4, exec_lo
                                        ; implicit-def: $sgpr5
	ds_load_b32 v9, v8
	s_waitcnt lgkmcnt(0)
	v_cmpx_ne_u32_e64 v9, v2
	s_xor_b32 s4, exec_lo, s4
	s_cbranch_execz .LBB13_42
; %bb.35:                               ;   in Loop: Header=BB13_34 Depth=2
	s_mov_b32 s6, exec_lo
                                        ; implicit-def: $sgpr5
	v_cmpx_ne_u32_e64 s33, v9
	s_xor_b32 s6, exec_lo, s6
; %bb.36:                               ;   in Loop: Header=BB13_34 Depth=2
	v_add_nc_u32_e32 v4, 1, v4
	s_mov_b32 s5, -1
                                        ; implicit-def: $vgpr8
	s_delay_alu instid0(VALU_DEP_1)
	v_and_b32_e32 v4, 0x7ff, v4
; %bb.37:                               ;   in Loop: Header=BB13_34 Depth=2
	s_and_not1_saveexec_b32 s6, s6
	s_cbranch_execz .LBB13_41
; %bb.38:                               ;   in Loop: Header=BB13_34 Depth=2
	v_mov_b32_e32 v9, s33
	s_mov_b32 s7, -1
	s_mov_b32 s8, exec_lo
	ds_cmpstore_rtn_b32 v9, v8, v2, v9
	s_waitcnt lgkmcnt(0)
	v_cmpx_eq_u32_e64 s33, v9
	s_cbranch_execz .LBB13_40
; %bb.39:                               ;   in Loop: Header=BB13_34 Depth=2
	ds_add_f32 v8, v3 offset:8192
	s_xor_b32 s7, exec_lo, -1
.LBB13_40:                              ;   in Loop: Header=BB13_34 Depth=2
	s_or_b32 exec_lo, exec_lo, s8
	s_delay_alu instid0(SALU_CYCLE_1) | instskip(SKIP_1) | instid1(SALU_CYCLE_1)
	s_and_not1_b32 s5, s5, exec_lo
	s_and_b32 s7, s7, exec_lo
	s_or_b32 s5, s5, s7
.LBB13_41:                              ;   in Loop: Header=BB13_34 Depth=2
	s_or_b32 exec_lo, exec_lo, s6
	s_delay_alu instid0(SALU_CYCLE_1)
	s_and_b32 s5, s5, exec_lo
                                        ; implicit-def: $vgpr8
.LBB13_42:                              ;   in Loop: Header=BB13_34 Depth=2
	s_and_not1_saveexec_b32 s4, s4
	s_cbranch_execz .LBB13_33
; %bb.43:                               ;   in Loop: Header=BB13_34 Depth=2
	ds_add_f32 v8, v3 offset:8192
	s_and_not1_b32 s5, s5, exec_lo
	s_branch .LBB13_33
.LBB13_44:
	s_or_b32 exec_lo, exec_lo, s1
.LBB13_45:
	v_mbcnt_lo_u32_b32 v1, -1, 0
	v_lshrrev_b32_e32 v2, 4, v0
	v_cmp_eq_u32_e32 vcc_lo, 0x3ff, v0
	v_cmp_lt_u32_e64 s0, 63, v0
	v_cmp_lt_u32_e64 s1, 0x7f, v0
	v_xor_b32_e32 v1, 63, v1
	v_dual_mov_b32 v8, 0 :: v_dual_and_b32 v3, 60, v2
	v_cmp_lt_u32_e64 s2, 0xbf, v0
	v_cmp_lt_u32_e64 s3, 0xff, v0
	s_delay_alu instid0(VALU_DEP_4) | instskip(NEXT) | instid1(VALU_DEP_4)
	v_lshrrev_b64 v[1:2], v1, -1
	v_dual_mov_b32 v7, 0 :: v_dual_add_nc_u32 v4, 0, v3
	v_cmp_lt_u32_e64 s4, 0x13f, v0
	v_cmp_lt_u32_e64 s5, 0x17f, v0
	v_cmp_lt_u32_e64 s6, 0x1bf, v0
	v_cmp_lt_u32_e64 s7, 0x1ff, v0
	v_cmp_lt_u32_e64 s8, 0x23f, v0
	v_cmp_lt_u32_e64 s9, 0x27f, v0
	v_cmp_lt_u32_e64 s10, 0x2bf, v0
	v_cmp_lt_u32_e64 s11, 0x2ff, v0
	v_cmp_lt_u32_e64 s12, 0x33f, v0
	v_cmp_lt_u32_e64 s13, 0x37f, v0
	v_cmp_lt_u32_e64 s14, 0x3bf, v0
	s_mov_b32 s16, 0
	s_waitcnt lgkmcnt(0)
	s_barrier
	buffer_gl0_inv
	s_branch .LBB13_47
.LBB13_46:                              ;   in Loop: Header=BB13_47 Depth=1
	s_or_b32 exec_lo, exec_lo, s15
	s_waitcnt lgkmcnt(0)
	s_barrier
	buffer_gl0_inv
	ds_load_b32 v2, v7 offset:16444
	v_add_co_u32 v6, s15, 0x400, v6
	s_delay_alu instid0(VALU_DEP_1) | instskip(SKIP_2) | instid1(SALU_CYCLE_1)
	s_xor_b32 s15, s15, -1
	v_add_nc_u32_e32 v5, 0x1000, v5
	s_and_b32 s15, exec_lo, s15
	s_or_b32 s16, s15, s16
	s_waitcnt lgkmcnt(0)
	v_add_nc_u32_e32 v8, v2, v8
	s_and_not1_b32 exec_lo, exec_lo, s16
	s_cbranch_execz .LBB13_81
.LBB13_47:                              ; =>This Inner Loop Header: Depth=1
	ds_load_2addr_stride64_b32 v[2:3], v5 offset1:32
	s_waitcnt lgkmcnt(0)
	s_barrier
	buffer_gl0_inv
	v_cmp_gt_i32_e64 s15, s33, v2
	s_delay_alu instid0(VALU_DEP_1) | instskip(NEXT) | instid1(SALU_CYCLE_1)
	s_bcnt1_i32_b32 s17, s15
	v_dual_mov_b32 v10, s17 :: v_dual_and_b32 v9, s15, v1
	s_delay_alu instid0(VALU_DEP_1)
	v_bcnt_u32_b32 v9, v9, 0
	ds_store_b32 v4, v10 offset:16384
	s_waitcnt lgkmcnt(0)
	s_barrier
	buffer_gl0_inv
	s_and_saveexec_b32 s17, s0
	s_cbranch_execnz .LBB13_64
; %bb.48:                               ;   in Loop: Header=BB13_47 Depth=1
	s_or_b32 exec_lo, exec_lo, s17
	s_and_saveexec_b32 s17, s1
	s_cbranch_execnz .LBB13_65
.LBB13_49:                              ;   in Loop: Header=BB13_47 Depth=1
	s_or_b32 exec_lo, exec_lo, s17
	s_and_saveexec_b32 s17, s2
	s_cbranch_execnz .LBB13_66
.LBB13_50:                              ;   in Loop: Header=BB13_47 Depth=1
	s_or_b32 exec_lo, exec_lo, s17
	s_and_saveexec_b32 s17, s3
	s_cbranch_execnz .LBB13_67
.LBB13_51:                              ;   in Loop: Header=BB13_47 Depth=1
	s_or_b32 exec_lo, exec_lo, s17
	s_and_saveexec_b32 s17, s4
	s_cbranch_execnz .LBB13_68
.LBB13_52:                              ;   in Loop: Header=BB13_47 Depth=1
	s_or_b32 exec_lo, exec_lo, s17
	s_and_saveexec_b32 s17, s5
	s_cbranch_execnz .LBB13_69
.LBB13_53:                              ;   in Loop: Header=BB13_47 Depth=1
	s_or_b32 exec_lo, exec_lo, s17
	s_and_saveexec_b32 s17, s6
	s_cbranch_execnz .LBB13_70
.LBB13_54:                              ;   in Loop: Header=BB13_47 Depth=1
	s_or_b32 exec_lo, exec_lo, s17
	s_and_saveexec_b32 s17, s7
	s_cbranch_execnz .LBB13_71
.LBB13_55:                              ;   in Loop: Header=BB13_47 Depth=1
	s_or_b32 exec_lo, exec_lo, s17
	s_and_saveexec_b32 s17, s8
	s_cbranch_execnz .LBB13_72
.LBB13_56:                              ;   in Loop: Header=BB13_47 Depth=1
	s_or_b32 exec_lo, exec_lo, s17
	s_and_saveexec_b32 s17, s9
	s_cbranch_execnz .LBB13_73
.LBB13_57:                              ;   in Loop: Header=BB13_47 Depth=1
	s_or_b32 exec_lo, exec_lo, s17
	s_and_saveexec_b32 s17, s10
	s_cbranch_execnz .LBB13_74
.LBB13_58:                              ;   in Loop: Header=BB13_47 Depth=1
	s_or_b32 exec_lo, exec_lo, s17
	s_and_saveexec_b32 s17, s11
	s_cbranch_execnz .LBB13_75
.LBB13_59:                              ;   in Loop: Header=BB13_47 Depth=1
	s_or_b32 exec_lo, exec_lo, s17
	s_and_saveexec_b32 s17, s12
	s_cbranch_execnz .LBB13_76
.LBB13_60:                              ;   in Loop: Header=BB13_47 Depth=1
	s_or_b32 exec_lo, exec_lo, s17
	s_and_saveexec_b32 s17, s13
	s_cbranch_execnz .LBB13_77
.LBB13_61:                              ;   in Loop: Header=BB13_47 Depth=1
	s_or_b32 exec_lo, exec_lo, s17
	s_and_saveexec_b32 s17, s14
	s_cbranch_execnz .LBB13_78
.LBB13_62:                              ;   in Loop: Header=BB13_47 Depth=1
	s_or_b32 exec_lo, exec_lo, s17
	s_and_saveexec_b32 s17, s15
	s_cbranch_execnz .LBB13_79
.LBB13_63:                              ;   in Loop: Header=BB13_47 Depth=1
	s_or_b32 exec_lo, exec_lo, s17
	s_and_saveexec_b32 s15, vcc_lo
	s_cbranch_execz .LBB13_46
	s_branch .LBB13_80
.LBB13_64:                              ;   in Loop: Header=BB13_47 Depth=1
	ds_load_b32 v10, v7 offset:16384
	s_waitcnt lgkmcnt(0)
	v_add_nc_u32_e32 v9, v10, v9
	s_or_b32 exec_lo, exec_lo, s17
	s_and_saveexec_b32 s17, s1
	s_cbranch_execz .LBB13_49
.LBB13_65:                              ;   in Loop: Header=BB13_47 Depth=1
	ds_load_b32 v10, v7 offset:16388
	s_waitcnt lgkmcnt(0)
	v_add_nc_u32_e32 v9, v10, v9
	s_or_b32 exec_lo, exec_lo, s17
	s_and_saveexec_b32 s17, s2
	s_cbranch_execz .LBB13_50
.LBB13_66:                              ;   in Loop: Header=BB13_47 Depth=1
	ds_load_b32 v10, v7 offset:16392
	s_waitcnt lgkmcnt(0)
	v_add_nc_u32_e32 v9, v10, v9
	s_or_b32 exec_lo, exec_lo, s17
	s_and_saveexec_b32 s17, s3
	s_cbranch_execz .LBB13_51
.LBB13_67:                              ;   in Loop: Header=BB13_47 Depth=1
	ds_load_b32 v10, v7 offset:16396
	s_waitcnt lgkmcnt(0)
	v_add_nc_u32_e32 v9, v10, v9
	s_or_b32 exec_lo, exec_lo, s17
	s_and_saveexec_b32 s17, s4
	s_cbranch_execz .LBB13_52
.LBB13_68:                              ;   in Loop: Header=BB13_47 Depth=1
	ds_load_b32 v10, v7 offset:16400
	s_waitcnt lgkmcnt(0)
	v_add_nc_u32_e32 v9, v10, v9
	s_or_b32 exec_lo, exec_lo, s17
	s_and_saveexec_b32 s17, s5
	s_cbranch_execz .LBB13_53
.LBB13_69:                              ;   in Loop: Header=BB13_47 Depth=1
	ds_load_b32 v10, v7 offset:16404
	s_waitcnt lgkmcnt(0)
	v_add_nc_u32_e32 v9, v10, v9
	s_or_b32 exec_lo, exec_lo, s17
	s_and_saveexec_b32 s17, s6
	s_cbranch_execz .LBB13_54
.LBB13_70:                              ;   in Loop: Header=BB13_47 Depth=1
	ds_load_b32 v10, v7 offset:16408
	s_waitcnt lgkmcnt(0)
	v_add_nc_u32_e32 v9, v10, v9
	s_or_b32 exec_lo, exec_lo, s17
	s_and_saveexec_b32 s17, s7
	s_cbranch_execz .LBB13_55
.LBB13_71:                              ;   in Loop: Header=BB13_47 Depth=1
	ds_load_b32 v10, v7 offset:16412
	s_waitcnt lgkmcnt(0)
	v_add_nc_u32_e32 v9, v10, v9
	s_or_b32 exec_lo, exec_lo, s17
	s_and_saveexec_b32 s17, s8
	s_cbranch_execz .LBB13_56
.LBB13_72:                              ;   in Loop: Header=BB13_47 Depth=1
	ds_load_b32 v10, v7 offset:16416
	s_waitcnt lgkmcnt(0)
	v_add_nc_u32_e32 v9, v10, v9
	s_or_b32 exec_lo, exec_lo, s17
	s_and_saveexec_b32 s17, s9
	s_cbranch_execz .LBB13_57
.LBB13_73:                              ;   in Loop: Header=BB13_47 Depth=1
	ds_load_b32 v10, v7 offset:16420
	s_waitcnt lgkmcnt(0)
	v_add_nc_u32_e32 v9, v10, v9
	s_or_b32 exec_lo, exec_lo, s17
	s_and_saveexec_b32 s17, s10
	s_cbranch_execz .LBB13_58
.LBB13_74:                              ;   in Loop: Header=BB13_47 Depth=1
	ds_load_b32 v10, v7 offset:16424
	s_waitcnt lgkmcnt(0)
	v_add_nc_u32_e32 v9, v10, v9
	s_or_b32 exec_lo, exec_lo, s17
	s_and_saveexec_b32 s17, s11
	s_cbranch_execz .LBB13_59
.LBB13_75:                              ;   in Loop: Header=BB13_47 Depth=1
	ds_load_b32 v10, v7 offset:16428
	s_waitcnt lgkmcnt(0)
	v_add_nc_u32_e32 v9, v10, v9
	s_or_b32 exec_lo, exec_lo, s17
	s_and_saveexec_b32 s17, s12
	s_cbranch_execz .LBB13_60
.LBB13_76:                              ;   in Loop: Header=BB13_47 Depth=1
	ds_load_b32 v10, v7 offset:16432
	s_waitcnt lgkmcnt(0)
	v_add_nc_u32_e32 v9, v10, v9
	s_or_b32 exec_lo, exec_lo, s17
	s_and_saveexec_b32 s17, s13
	s_cbranch_execz .LBB13_61
.LBB13_77:                              ;   in Loop: Header=BB13_47 Depth=1
	ds_load_b32 v10, v7 offset:16436
	s_waitcnt lgkmcnt(0)
	v_add_nc_u32_e32 v9, v10, v9
	s_or_b32 exec_lo, exec_lo, s17
	s_and_saveexec_b32 s17, s14
	s_cbranch_execz .LBB13_62
.LBB13_78:                              ;   in Loop: Header=BB13_47 Depth=1
	ds_load_b32 v10, v7 offset:16440
	s_waitcnt lgkmcnt(0)
	v_add_nc_u32_e32 v9, v10, v9
	s_or_b32 exec_lo, exec_lo, s17
	s_and_saveexec_b32 s17, s15
	s_cbranch_execz .LBB13_63
.LBB13_79:                              ;   in Loop: Header=BB13_47 Depth=1
	s_delay_alu instid0(VALU_DEP_1) | instskip(NEXT) | instid1(VALU_DEP_1)
	v_add3_u32 v10, v8, -1, v9
	v_lshl_add_u32 v10, v10, 2, 0
	ds_store_2addr_stride64_b32 v10, v2, v3 offset1:32
	s_or_b32 exec_lo, exec_lo, s17
	s_and_saveexec_b32 s15, vcc_lo
	s_cbranch_execz .LBB13_46
.LBB13_80:                              ;   in Loop: Header=BB13_47 Depth=1
	ds_store_b32 v7, v9 offset:16444
	s_branch .LBB13_46
.LBB13_81:
	s_or_b32 exec_lo, exec_lo, s16
	s_ashr_i32 s35, s34, 31
	s_mov_b32 s3, exec_lo
	s_lshl_b64 s[0:1], s[34:35], 2
	s_delay_alu instid0(SALU_CYCLE_1) | instskip(SKIP_4) | instid1(SALU_CYCLE_1)
	s_add_u32 s0, s22, s0
	s_addc_u32 s1, s23, s1
	s_load_b64 s[0:1], s[0:1], 0x0
	s_waitcnt lgkmcnt(0)
	s_sub_i32 s2, s1, s0
	v_cmpx_gt_i32_e64 s2, v0
	s_cbranch_execz .LBB13_91
; %bb.82:
	s_sub_i32 s3, s0, s26
	s_sub_i32 s0, s0, s1
	s_and_b32 s1, s2, 7
	s_cmp_lt_u32 s0, -7
	s_mov_b32 s7, 0
	s_cselect_b32 s4, -1, 0
	s_and_b32 s5, s2, -8
	s_cmp_lg_u32 s1, 0
	s_cselect_b32 s6, -1, 0
	s_branch .LBB13_84
.LBB13_83:                              ;   in Loop: Header=BB13_84 Depth=1
	s_delay_alu instid0(VALU_DEP_1) | instskip(SKIP_3) | instid1(VALU_DEP_3)
	v_ashrrev_i32_e32 v4, 31, v3
	v_add_nc_u32_e32 v0, 0x400, v0
	s_waitcnt lgkmcnt(0)
	v_add_nc_u32_e32 v1, s26, v1
	v_lshlrev_b64 v[3:4], 2, v[3:4]
	s_delay_alu instid0(VALU_DEP_3) | instskip(SKIP_1) | instid1(VALU_DEP_2)
	v_cmp_le_i32_e32 vcc_lo, s2, v0
	s_or_b32 s7, vcc_lo, s7
	v_add_co_u32 v5, s0, s28, v3
	s_delay_alu instid0(VALU_DEP_1) | instskip(SKIP_1) | instid1(VALU_DEP_1)
	v_add_co_ci_u32_e64 v6, s0, s29, v4, s0
	v_add_co_u32 v3, s0, s30, v3
	v_add_co_ci_u32_e64 v4, s0, s31, v4, s0
	global_store_b32 v[5:6], v1, off
	global_store_b32 v[3:4], v2, off
	s_and_not1_b32 exec_lo, exec_lo, s7
	s_cbranch_execz .LBB13_91
.LBB13_84:                              ; =>This Loop Header: Depth=1
                                        ;     Child Loop BB13_86 Depth 2
                                        ;     Child Loop BB13_90 Depth 2
	v_lshl_add_u32 v1, v0, 2, 0
	v_mov_b32_e32 v3, s3
	s_and_not1_b32 vcc_lo, exec_lo, s4
	s_mov_b32 s0, 0
	ds_load_2addr_stride64_b32 v[1:2], v1 offset1:32
	s_cbranch_vccnz .LBB13_88
; %bb.85:                               ;   in Loop: Header=BB13_84 Depth=1
	v_mov_b32_e32 v3, s3
	s_mov_b32 s8, 0
	s_set_inst_prefetch_distance 0x1
	.p2align	6
.LBB13_86:                              ;   Parent Loop BB13_84 Depth=1
                                        ; =>  This Inner Loop Header: Depth=2
	v_mov_b32_e32 v10, s8
	s_add_i32 s0, s0, 8
	s_add_i32 s8, s8, 32
	s_cmp_eq_u32 s5, s0
	ds_load_2addr_b32 v[4:5], v10 offset1:1
	ds_load_2addr_b32 v[6:7], v10 offset0:2 offset1:3
	ds_load_2addr_b32 v[8:9], v10 offset0:4 offset1:5
	;; [unrolled: 1-line block ×3, first 2 shown]
	s_waitcnt lgkmcnt(3)
	v_cmp_gt_i32_e32 vcc_lo, v1, v4
	v_cndmask_b32_e64 v4, 0, 1, vcc_lo
	s_waitcnt lgkmcnt(2)
	v_cmp_gt_i32_e32 vcc_lo, v1, v6
	v_cndmask_b32_e64 v6, 0, 1, vcc_lo
	v_cmp_gt_i32_e32 vcc_lo, v1, v5
	v_add_co_ci_u32_e32 v3, vcc_lo, v3, v4, vcc_lo
	s_waitcnt lgkmcnt(1)
	v_cmp_gt_i32_e32 vcc_lo, v1, v8
	v_cndmask_b32_e64 v4, 0, 1, vcc_lo
	v_cmp_gt_i32_e32 vcc_lo, v1, v7
	v_add_co_ci_u32_e32 v3, vcc_lo, v3, v6, vcc_lo
	s_waitcnt lgkmcnt(0)
	v_cmp_gt_i32_e32 vcc_lo, v1, v10
	v_cndmask_b32_e64 v5, 0, 1, vcc_lo
	v_cmp_gt_i32_e32 vcc_lo, v1, v9
	v_add_co_ci_u32_e32 v3, vcc_lo, v3, v4, vcc_lo
	v_cmp_gt_i32_e32 vcc_lo, v1, v11
	s_delay_alu instid0(VALU_DEP_2)
	v_add_co_ci_u32_e32 v3, vcc_lo, v3, v5, vcc_lo
	s_cbranch_scc0 .LBB13_86
; %bb.87:                               ;   in Loop: Header=BB13_84 Depth=1
	s_set_inst_prefetch_distance 0x2
	s_mov_b32 s0, s5
.LBB13_88:                              ;   in Loop: Header=BB13_84 Depth=1
	s_and_not1_b32 vcc_lo, exec_lo, s6
	s_cbranch_vccnz .LBB13_83
; %bb.89:                               ;   in Loop: Header=BB13_84 Depth=1
	s_lshl_b32 s0, s0, 2
	s_mov_b32 s8, s1
	s_add_i32 s0, s0, 0
.LBB13_90:                              ;   Parent Loop BB13_84 Depth=1
                                        ; =>  This Inner Loop Header: Depth=2
	s_delay_alu instid0(SALU_CYCLE_1)
	v_mov_b32_e32 v4, s0
	s_add_i32 s8, s8, -1
	s_add_i32 s0, s0, 4
	s_cmp_lg_u32 s8, 0
	ds_load_b32 v4, v4
	s_waitcnt lgkmcnt(0)
	v_cmp_gt_i32_e32 vcc_lo, v1, v4
	v_add_co_ci_u32_e32 v3, vcc_lo, 0, v3, vcc_lo
	s_cbranch_scc1 .LBB13_90
	s_branch .LBB13_83
.LBB13_91:
	s_nop 0
	s_sendmsg sendmsg(MSG_DEALLOC_VGPRS)
	s_endpgm
	.section	.rodata,"a",@progbits
	.p2align	6, 0x0
	.amdhsa_kernel _ZN9rocsparseL26csrgemm_fill_block_per_rowILj1024ELj32ELj2048ELj137ELj64EiifEEvT5_PKS1_S3_NS_24const_host_device_scalarIT6_EEPKT4_S3_PKS5_S9_S3_SB_S6_S9_S3_SB_S9_PS1_PS5_21rocsparse_index_base_SE_SE_SE_bbb
		.amdhsa_group_segment_fixed_size 0
		.amdhsa_private_segment_fixed_size 0
		.amdhsa_kernarg_size 156
		.amdhsa_user_sgpr_count 15
		.amdhsa_user_sgpr_dispatch_ptr 0
		.amdhsa_user_sgpr_queue_ptr 0
		.amdhsa_user_sgpr_kernarg_segment_ptr 1
		.amdhsa_user_sgpr_dispatch_id 0
		.amdhsa_user_sgpr_private_segment_size 0
		.amdhsa_wavefront_size32 1
		.amdhsa_uses_dynamic_stack 0
		.amdhsa_enable_private_segment 0
		.amdhsa_system_sgpr_workgroup_id_x 1
		.amdhsa_system_sgpr_workgroup_id_y 0
		.amdhsa_system_sgpr_workgroup_id_z 0
		.amdhsa_system_sgpr_workgroup_info 0
		.amdhsa_system_vgpr_workitem_id 0
		.amdhsa_next_free_vgpr 15
		.amdhsa_next_free_sgpr 44
		.amdhsa_reserve_vcc 1
		.amdhsa_float_round_mode_32 0
		.amdhsa_float_round_mode_16_64 0
		.amdhsa_float_denorm_mode_32 3
		.amdhsa_float_denorm_mode_16_64 3
		.amdhsa_dx10_clamp 1
		.amdhsa_ieee_mode 1
		.amdhsa_fp16_overflow 0
		.amdhsa_workgroup_processor_mode 1
		.amdhsa_memory_ordered 1
		.amdhsa_forward_progress 0
		.amdhsa_shared_vgpr_count 0
		.amdhsa_exception_fp_ieee_invalid_op 0
		.amdhsa_exception_fp_denorm_src 0
		.amdhsa_exception_fp_ieee_div_zero 0
		.amdhsa_exception_fp_ieee_overflow 0
		.amdhsa_exception_fp_ieee_underflow 0
		.amdhsa_exception_fp_ieee_inexact 0
		.amdhsa_exception_int_div_zero 0
	.end_amdhsa_kernel
	.section	.text._ZN9rocsparseL26csrgemm_fill_block_per_rowILj1024ELj32ELj2048ELj137ELj64EiifEEvT5_PKS1_S3_NS_24const_host_device_scalarIT6_EEPKT4_S3_PKS5_S9_S3_SB_S6_S9_S3_SB_S9_PS1_PS5_21rocsparse_index_base_SE_SE_SE_bbb,"axG",@progbits,_ZN9rocsparseL26csrgemm_fill_block_per_rowILj1024ELj32ELj2048ELj137ELj64EiifEEvT5_PKS1_S3_NS_24const_host_device_scalarIT6_EEPKT4_S3_PKS5_S9_S3_SB_S6_S9_S3_SB_S9_PS1_PS5_21rocsparse_index_base_SE_SE_SE_bbb,comdat
.Lfunc_end13:
	.size	_ZN9rocsparseL26csrgemm_fill_block_per_rowILj1024ELj32ELj2048ELj137ELj64EiifEEvT5_PKS1_S3_NS_24const_host_device_scalarIT6_EEPKT4_S3_PKS5_S9_S3_SB_S6_S9_S3_SB_S9_PS1_PS5_21rocsparse_index_base_SE_SE_SE_bbb, .Lfunc_end13-_ZN9rocsparseL26csrgemm_fill_block_per_rowILj1024ELj32ELj2048ELj137ELj64EiifEEvT5_PKS1_S3_NS_24const_host_device_scalarIT6_EEPKT4_S3_PKS5_S9_S3_SB_S6_S9_S3_SB_S9_PS1_PS5_21rocsparse_index_base_SE_SE_SE_bbb
                                        ; -- End function
	.section	.AMDGPU.csdata,"",@progbits
; Kernel info:
; codeLenInByte = 3056
; NumSgprs: 46
; NumVgprs: 15
; ScratchSize: 0
; MemoryBound: 0
; FloatMode: 240
; IeeeMode: 1
; LDSByteSize: 0 bytes/workgroup (compile time only)
; SGPRBlocks: 5
; VGPRBlocks: 1
; NumSGPRsForWavesPerEU: 46
; NumVGPRsForWavesPerEU: 15
; Occupancy: 16
; WaveLimiterHint : 1
; COMPUTE_PGM_RSRC2:SCRATCH_EN: 0
; COMPUTE_PGM_RSRC2:USER_SGPR: 15
; COMPUTE_PGM_RSRC2:TRAP_HANDLER: 0
; COMPUTE_PGM_RSRC2:TGID_X_EN: 1
; COMPUTE_PGM_RSRC2:TGID_Y_EN: 0
; COMPUTE_PGM_RSRC2:TGID_Z_EN: 0
; COMPUTE_PGM_RSRC2:TIDIG_COMP_CNT: 0
	.section	.text._ZN9rocsparseL26csrgemm_fill_block_per_rowILj1024ELj64ELj4096ELj137ELj32EiifEEvT5_PKS1_S3_NS_24const_host_device_scalarIT6_EEPKT4_S3_PKS5_S9_S3_SB_S6_S9_S3_SB_S9_PS1_PS5_21rocsparse_index_base_SE_SE_SE_bbb,"axG",@progbits,_ZN9rocsparseL26csrgemm_fill_block_per_rowILj1024ELj64ELj4096ELj137ELj32EiifEEvT5_PKS1_S3_NS_24const_host_device_scalarIT6_EEPKT4_S3_PKS5_S9_S3_SB_S6_S9_S3_SB_S9_PS1_PS5_21rocsparse_index_base_SE_SE_SE_bbb,comdat
	.globl	_ZN9rocsparseL26csrgemm_fill_block_per_rowILj1024ELj64ELj4096ELj137ELj32EiifEEvT5_PKS1_S3_NS_24const_host_device_scalarIT6_EEPKT4_S3_PKS5_S9_S3_SB_S6_S9_S3_SB_S9_PS1_PS5_21rocsparse_index_base_SE_SE_SE_bbb ; -- Begin function _ZN9rocsparseL26csrgemm_fill_block_per_rowILj1024ELj64ELj4096ELj137ELj32EiifEEvT5_PKS1_S3_NS_24const_host_device_scalarIT6_EEPKT4_S3_PKS5_S9_S3_SB_S6_S9_S3_SB_S9_PS1_PS5_21rocsparse_index_base_SE_SE_SE_bbb
	.p2align	8
	.type	_ZN9rocsparseL26csrgemm_fill_block_per_rowILj1024ELj64ELj4096ELj137ELj32EiifEEvT5_PKS1_S3_NS_24const_host_device_scalarIT6_EEPKT4_S3_PKS5_S9_S3_SB_S6_S9_S3_SB_S9_PS1_PS5_21rocsparse_index_base_SE_SE_SE_bbb,@function
_ZN9rocsparseL26csrgemm_fill_block_per_rowILj1024ELj64ELj4096ELj137ELj32EiifEEvT5_PKS1_S3_NS_24const_host_device_scalarIT6_EEPKT4_S3_PKS5_S9_S3_SB_S6_S9_S3_SB_S9_PS1_PS5_21rocsparse_index_base_SE_SE_SE_bbb: ; @_ZN9rocsparseL26csrgemm_fill_block_per_rowILj1024ELj64ELj4096ELj137ELj32EiifEEvT5_PKS1_S3_NS_24const_host_device_scalarIT6_EEPKT4_S3_PKS5_S9_S3_SB_S6_S9_S3_SB_S9_PS1_PS5_21rocsparse_index_base_SE_SE_SE_bbb
; %bb.0:
	s_clause 0x3
	s_load_b32 s12, s[0:1], 0x98
	s_load_b128 s[44:47], s[0:1], 0x88
	s_load_b64 s[4:5], s[0:1], 0x18
	s_load_b64 s[2:3], s[0:1], 0x50
	s_waitcnt lgkmcnt(0)
	s_bitcmp1_b32 s12, 0
	s_cselect_b32 s13, -1, 0
	s_bitcmp1_b32 s12, 16
	s_cselect_b32 s14, -1, 0
	s_xor_b32 s6, s13, -1
	s_delay_alu instid0(SALU_CYCLE_1) | instskip(NEXT) | instid1(SALU_CYCLE_1)
	s_or_b32 s6, s6, s14
	s_and_b32 vcc_lo, exec_lo, s6
	s_cbranch_vccnz .LBB14_2
; %bb.1:
	s_load_b32 s4, s[4:5], 0x0
	s_waitcnt lgkmcnt(0)
	v_mov_b32_e32 v8, s4
	s_branch .LBB14_3
.LBB14_2:
	v_cndmask_b32_e64 v8, 0, s4, s13
.LBB14_3:
	s_clause 0x4
	s_load_b128 s[48:51], s[0:1], 0x78
	s_load_b256 s[36:43], s[0:1], 0x58
	s_load_b128 s[16:19], s[0:1], 0x40
	s_load_b128 s[20:23], s[0:1], 0x8
	s_load_b256 s[4:11], s[0:1], 0x20
	s_bitcmp1_b32 s12, 8
	s_cselect_b32 s12, -1, 0
	s_delay_alu instid0(SALU_CYCLE_1) | instskip(NEXT) | instid1(SALU_CYCLE_1)
	s_xor_b32 s24, s12, -1
	s_or_b32 s14, s24, s14
	s_delay_alu instid0(SALU_CYCLE_1)
	s_and_b32 vcc_lo, exec_lo, s14
	s_cbranch_vccnz .LBB14_5
; %bb.4:
	s_load_b32 s2, s[2:3], 0x0
	s_waitcnt lgkmcnt(0)
	v_mov_b32_e32 v7, s2
	s_branch .LBB14_6
.LBB14_5:
	v_cndmask_b32_e64 v7, 0, s2, s12
.LBB14_6:
	s_load_b32 s33, s[0:1], 0x0
	v_lshl_add_u32 v5, v0, 2, 0
	v_or_b32_e32 v6, 0xfffffc00, v0
	v_mov_b32_e32 v1, 0
	s_mov_b32 s0, 0
	s_delay_alu instid0(VALU_DEP_3)
	v_mov_b32_e32 v2, v5
	s_waitcnt lgkmcnt(0)
	v_dual_mov_b32 v4, v6 :: v_dual_mov_b32 v3, s33
.LBB14_7:                               ; =>This Inner Loop Header: Depth=1
	s_delay_alu instid0(VALU_DEP_1) | instskip(SKIP_4) | instid1(SALU_CYCLE_1)
	v_add_nc_u32_e32 v4, 0x400, v4
	ds_store_2addr_stride64_b32 v2, v3, v1 offset1:64
	v_add_nc_u32_e32 v2, 0x1000, v2
	v_cmp_lt_u32_e32 vcc_lo, 0xbff, v4
	s_or_b32 s0, vcc_lo, s0
	s_and_not1_b32 exec_lo, exec_lo, s0
	s_cbranch_execnz .LBB14_7
; %bb.8:
	s_or_b32 exec_lo, exec_lo, s0
	s_waitcnt lgkmcnt(0)
	s_barrier
	buffer_gl0_inv
	s_load_b32 s0, s[20:21], 0x0
	s_mov_b32 s1, 0
	s_waitcnt lgkmcnt(0)
	s_add_i32 s0, s0, s15
	s_delay_alu instid0(SALU_CYCLE_1) | instskip(NEXT) | instid1(SALU_CYCLE_1)
	s_lshl_b64 s[0:1], s[0:1], 2
	s_add_u32 s0, s22, s0
	s_addc_u32 s1, s23, s1
	s_and_b32 vcc_lo, exec_lo, s13
	s_load_b32 s34, s[0:1], 0x0
	s_cbranch_vccz .LBB14_28
; %bb.9:
	s_waitcnt lgkmcnt(0)
	s_ashr_i32 s35, s34, 31
	v_lshrrev_b32_e32 v1, 6, v0
	s_lshl_b64 s[0:1], s[34:35], 2
	s_delay_alu instid0(SALU_CYCLE_1) | instskip(SKIP_1) | instid1(VALU_DEP_1)
	s_add_u32 s0, s4, s0
	s_addc_u32 s1, s5, s1
	v_subrev_nc_u32_e32 v1, s44, v1
	s_load_b64 s[0:1], s[0:1], 0x0
	s_waitcnt lgkmcnt(0)
	s_delay_alu instid0(VALU_DEP_1) | instskip(SKIP_2) | instid1(VALU_DEP_1)
	v_add_nc_u32_e32 v1, s0, v1
	s_sub_i32 s0, s1, s44
	s_mov_b32 s1, exec_lo
	v_cmpx_gt_i32_e64 s0, v1
	s_cbranch_execz .LBB14_27
; %bb.10:
	v_and_b32_e32 v2, 63, v0
	s_mov_b32 s2, 0
	s_delay_alu instid0(VALU_DEP_1)
	v_subrev_nc_u32_e32 v9, s45, v2
	s_branch .LBB14_12
.LBB14_11:                              ;   in Loop: Header=BB14_12 Depth=1
	s_or_b32 exec_lo, exec_lo, s3
	v_add_nc_u32_e32 v1, 16, v1
	s_delay_alu instid0(VALU_DEP_1) | instskip(SKIP_1) | instid1(SALU_CYCLE_1)
	v_cmp_le_i32_e32 vcc_lo, s0, v1
	s_or_b32 s2, vcc_lo, s2
	s_and_not1_b32 exec_lo, exec_lo, s2
	s_cbranch_execz .LBB14_27
.LBB14_12:                              ; =>This Loop Header: Depth=1
                                        ;     Child Loop BB14_15 Depth 2
                                        ;       Child Loop BB14_17 Depth 3
	v_ashrrev_i32_e32 v2, 31, v1
	s_mov_b32 s3, exec_lo
	s_delay_alu instid0(VALU_DEP_1) | instskip(NEXT) | instid1(VALU_DEP_1)
	v_lshlrev_b64 v[3:4], 2, v[1:2]
	v_add_co_u32 v10, vcc_lo, s6, v3
	s_delay_alu instid0(VALU_DEP_2) | instskip(SKIP_3) | instid1(VALU_DEP_1)
	v_add_co_ci_u32_e32 v11, vcc_lo, s7, v4, vcc_lo
	global_load_b32 v2, v[10:11], off
	s_waitcnt vmcnt(0)
	v_subrev_nc_u32_e32 v10, s44, v2
	v_ashrrev_i32_e32 v11, 31, v10
	s_delay_alu instid0(VALU_DEP_1) | instskip(NEXT) | instid1(VALU_DEP_1)
	v_lshlrev_b64 v[10:11], 2, v[10:11]
	v_add_co_u32 v10, vcc_lo, s10, v10
	s_delay_alu instid0(VALU_DEP_2) | instskip(SKIP_4) | instid1(VALU_DEP_1)
	v_add_co_ci_u32_e32 v11, vcc_lo, s11, v11, vcc_lo
	global_load_b64 v[11:12], v[10:11], off
	s_waitcnt vmcnt(0)
	v_subrev_nc_u32_e32 v10, s45, v12
	v_add_nc_u32_e32 v2, v11, v9
	v_cmpx_lt_i32_e64 v2, v10
	s_cbranch_execz .LBB14_11
; %bb.13:                               ;   in Loop: Header=BB14_12 Depth=1
	v_add_co_u32 v3, vcc_lo, s8, v3
	v_add_co_ci_u32_e32 v4, vcc_lo, s9, v4, vcc_lo
	s_mov_b32 s4, 0
	global_load_b32 v3, v[3:4], off
	s_waitcnt vmcnt(0)
	v_mul_f32_e32 v4, v8, v3
	s_branch .LBB14_15
.LBB14_14:                              ;   in Loop: Header=BB14_15 Depth=2
	s_or_b32 exec_lo, exec_lo, s5
	v_add_nc_u32_e32 v2, 64, v2
	s_delay_alu instid0(VALU_DEP_1) | instskip(SKIP_1) | instid1(SALU_CYCLE_1)
	v_cmp_ge_i32_e32 vcc_lo, v2, v10
	s_or_b32 s4, vcc_lo, s4
	s_and_not1_b32 exec_lo, exec_lo, s4
	s_cbranch_execz .LBB14_11
.LBB14_15:                              ;   Parent Loop BB14_12 Depth=1
                                        ; =>  This Loop Header: Depth=2
                                        ;       Child Loop BB14_17 Depth 3
	v_ashrrev_i32_e32 v3, 31, v2
	s_mov_b32 s5, 0
	s_delay_alu instid0(VALU_DEP_1) | instskip(NEXT) | instid1(VALU_DEP_1)
	v_lshlrev_b64 v[11:12], 2, v[2:3]
	v_add_co_u32 v13, vcc_lo, s16, v11
	s_delay_alu instid0(VALU_DEP_2)
	v_add_co_ci_u32_e32 v14, vcc_lo, s17, v12, vcc_lo
	v_add_co_u32 v11, vcc_lo, s18, v11
	v_add_co_ci_u32_e32 v12, vcc_lo, s19, v12, vcc_lo
	global_load_b32 v3, v[13:14], off
	global_load_b32 v11, v[11:12], off
	s_waitcnt vmcnt(1)
	v_subrev_nc_u32_e32 v3, s45, v3
	s_delay_alu instid0(VALU_DEP_1) | instskip(SKIP_1) | instid1(VALU_DEP_1)
	v_mul_lo_u32 v12, 0x89, v3
	s_waitcnt vmcnt(0)
	v_dual_mul_f32 v11, v4, v11 :: v_dual_and_b32 v12, 0xfff, v12
	s_branch .LBB14_17
.LBB14_16:                              ;   in Loop: Header=BB14_17 Depth=3
	s_or_b32 exec_lo, exec_lo, s13
	s_xor_b32 s13, s14, -1
	s_delay_alu instid0(SALU_CYCLE_1) | instskip(NEXT) | instid1(SALU_CYCLE_1)
	s_and_b32 s13, exec_lo, s13
	s_or_b32 s5, s13, s5
	s_delay_alu instid0(SALU_CYCLE_1)
	s_and_not1_b32 exec_lo, exec_lo, s5
	s_cbranch_execz .LBB14_14
.LBB14_17:                              ;   Parent Loop BB14_12 Depth=1
                                        ;     Parent Loop BB14_15 Depth=2
                                        ; =>    This Inner Loop Header: Depth=3
	s_delay_alu instid0(VALU_DEP_1)
	v_lshl_add_u32 v13, v12, 2, 0
	s_mov_b32 s13, exec_lo
                                        ; implicit-def: $sgpr14
	ds_load_b32 v14, v13
	s_waitcnt lgkmcnt(0)
	v_cmpx_ne_u32_e64 v14, v3
	s_xor_b32 s13, exec_lo, s13
	s_cbranch_execz .LBB14_25
; %bb.18:                               ;   in Loop: Header=BB14_17 Depth=3
	s_mov_b32 s15, exec_lo
                                        ; implicit-def: $sgpr14
	v_cmpx_ne_u32_e64 s33, v14
	s_xor_b32 s15, exec_lo, s15
; %bb.19:                               ;   in Loop: Header=BB14_17 Depth=3
	v_add_nc_u32_e32 v12, 1, v12
	s_mov_b32 s14, -1
                                        ; implicit-def: $vgpr13
	s_delay_alu instid0(VALU_DEP_1)
	v_and_b32_e32 v12, 0xfff, v12
; %bb.20:                               ;   in Loop: Header=BB14_17 Depth=3
	s_and_not1_saveexec_b32 s15, s15
	s_cbranch_execz .LBB14_24
; %bb.21:                               ;   in Loop: Header=BB14_17 Depth=3
	v_mov_b32_e32 v14, s33
	s_mov_b32 s20, -1
	s_mov_b32 s21, exec_lo
	ds_cmpstore_rtn_b32 v14, v13, v3, v14
	s_waitcnt lgkmcnt(0)
	v_cmpx_eq_u32_e64 s33, v14
	s_cbranch_execz .LBB14_23
; %bb.22:                               ;   in Loop: Header=BB14_17 Depth=3
	ds_add_f32 v13, v11 offset:16384
	s_xor_b32 s20, exec_lo, -1
.LBB14_23:                              ;   in Loop: Header=BB14_17 Depth=3
	s_or_b32 exec_lo, exec_lo, s21
	s_delay_alu instid0(SALU_CYCLE_1) | instskip(SKIP_1) | instid1(SALU_CYCLE_1)
	s_and_not1_b32 s14, s14, exec_lo
	s_and_b32 s20, s20, exec_lo
	s_or_b32 s14, s14, s20
.LBB14_24:                              ;   in Loop: Header=BB14_17 Depth=3
	s_or_b32 exec_lo, exec_lo, s15
	s_delay_alu instid0(SALU_CYCLE_1)
	s_and_b32 s14, s14, exec_lo
                                        ; implicit-def: $vgpr13
.LBB14_25:                              ;   in Loop: Header=BB14_17 Depth=3
	s_and_not1_saveexec_b32 s13, s13
	s_cbranch_execz .LBB14_16
; %bb.26:                               ;   in Loop: Header=BB14_17 Depth=3
	ds_add_f32 v13, v11 offset:16384
	s_and_not1_b32 s14, s14, exec_lo
	s_branch .LBB14_16
.LBB14_27:
	s_or_b32 exec_lo, exec_lo, s1
.LBB14_28:
	s_delay_alu instid0(SALU_CYCLE_1)
	s_and_not1_b32 vcc_lo, exec_lo, s12
	s_cbranch_vccnz .LBB14_45
; %bb.29:
	s_waitcnt lgkmcnt(0)
	s_ashr_i32 s35, s34, 31
	v_subrev_nc_u32_e32 v1, s47, v0
	s_lshl_b64 s[0:1], s[34:35], 2
	s_delay_alu instid0(SALU_CYCLE_1)
	s_add_u32 s0, s36, s0
	s_addc_u32 s1, s37, s1
	s_load_b64 s[0:1], s[0:1], 0x0
	s_waitcnt lgkmcnt(0)
	v_add_nc_u32_e32 v1, s0, v1
	s_sub_i32 s0, s1, s47
	s_mov_b32 s1, exec_lo
	s_delay_alu instid0(VALU_DEP_1)
	v_cmpx_gt_i32_e64 s0, v1
	s_cbranch_execz .LBB14_44
; %bb.30:
	s_mov_b32 s2, 0
	s_branch .LBB14_32
.LBB14_31:                              ;   in Loop: Header=BB14_32 Depth=1
	s_or_b32 exec_lo, exec_lo, s3
	v_add_nc_u32_e32 v1, 0x400, v1
	s_delay_alu instid0(VALU_DEP_1) | instskip(SKIP_1) | instid1(SALU_CYCLE_1)
	v_cmp_le_i32_e32 vcc_lo, s0, v1
	s_or_b32 s2, vcc_lo, s2
	s_and_not1_b32 exec_lo, exec_lo, s2
	s_cbranch_execz .LBB14_44
.LBB14_32:                              ; =>This Loop Header: Depth=1
                                        ;     Child Loop BB14_34 Depth 2
	v_ashrrev_i32_e32 v2, 31, v1
	s_mov_b32 s3, 0
	s_delay_alu instid0(VALU_DEP_1) | instskip(NEXT) | instid1(VALU_DEP_1)
	v_lshlrev_b64 v[2:3], 2, v[1:2]
	v_add_co_u32 v8, vcc_lo, s38, v2
	s_delay_alu instid0(VALU_DEP_2)
	v_add_co_ci_u32_e32 v9, vcc_lo, s39, v3, vcc_lo
	v_add_co_u32 v2, vcc_lo, s40, v2
	v_add_co_ci_u32_e32 v3, vcc_lo, s41, v3, vcc_lo
	global_load_b32 v4, v[8:9], off
	global_load_b32 v3, v[2:3], off
	s_waitcnt vmcnt(1)
	v_subrev_nc_u32_e32 v2, s47, v4
	s_delay_alu instid0(VALU_DEP_1) | instskip(SKIP_1) | instid1(VALU_DEP_1)
	v_mul_lo_u32 v4, 0x89, v2
	s_waitcnt vmcnt(0)
	v_dual_mul_f32 v3, v7, v3 :: v_dual_and_b32 v4, 0xfff, v4
	s_branch .LBB14_34
.LBB14_33:                              ;   in Loop: Header=BB14_34 Depth=2
	s_or_b32 exec_lo, exec_lo, s4
	s_xor_b32 s4, s5, -1
	s_delay_alu instid0(SALU_CYCLE_1) | instskip(NEXT) | instid1(SALU_CYCLE_1)
	s_and_b32 s4, exec_lo, s4
	s_or_b32 s3, s4, s3
	s_delay_alu instid0(SALU_CYCLE_1)
	s_and_not1_b32 exec_lo, exec_lo, s3
	s_cbranch_execz .LBB14_31
.LBB14_34:                              ;   Parent Loop BB14_32 Depth=1
                                        ; =>  This Inner Loop Header: Depth=2
	s_delay_alu instid0(VALU_DEP_1)
	v_lshl_add_u32 v8, v4, 2, 0
	s_mov_b32 s4, exec_lo
                                        ; implicit-def: $sgpr5
	ds_load_b32 v9, v8
	s_waitcnt lgkmcnt(0)
	v_cmpx_ne_u32_e64 v9, v2
	s_xor_b32 s4, exec_lo, s4
	s_cbranch_execz .LBB14_42
; %bb.35:                               ;   in Loop: Header=BB14_34 Depth=2
	s_mov_b32 s6, exec_lo
                                        ; implicit-def: $sgpr5
	v_cmpx_ne_u32_e64 s33, v9
	s_xor_b32 s6, exec_lo, s6
; %bb.36:                               ;   in Loop: Header=BB14_34 Depth=2
	v_add_nc_u32_e32 v4, 1, v4
	s_mov_b32 s5, -1
                                        ; implicit-def: $vgpr8
	s_delay_alu instid0(VALU_DEP_1)
	v_and_b32_e32 v4, 0xfff, v4
; %bb.37:                               ;   in Loop: Header=BB14_34 Depth=2
	s_and_not1_saveexec_b32 s6, s6
	s_cbranch_execz .LBB14_41
; %bb.38:                               ;   in Loop: Header=BB14_34 Depth=2
	v_mov_b32_e32 v9, s33
	s_mov_b32 s7, -1
	s_mov_b32 s8, exec_lo
	ds_cmpstore_rtn_b32 v9, v8, v2, v9
	s_waitcnt lgkmcnt(0)
	v_cmpx_eq_u32_e64 s33, v9
	s_cbranch_execz .LBB14_40
; %bb.39:                               ;   in Loop: Header=BB14_34 Depth=2
	ds_add_f32 v8, v3 offset:16384
	s_xor_b32 s7, exec_lo, -1
.LBB14_40:                              ;   in Loop: Header=BB14_34 Depth=2
	s_or_b32 exec_lo, exec_lo, s8
	s_delay_alu instid0(SALU_CYCLE_1) | instskip(SKIP_1) | instid1(SALU_CYCLE_1)
	s_and_not1_b32 s5, s5, exec_lo
	s_and_b32 s7, s7, exec_lo
	s_or_b32 s5, s5, s7
.LBB14_41:                              ;   in Loop: Header=BB14_34 Depth=2
	s_or_b32 exec_lo, exec_lo, s6
	s_delay_alu instid0(SALU_CYCLE_1)
	s_and_b32 s5, s5, exec_lo
                                        ; implicit-def: $vgpr8
.LBB14_42:                              ;   in Loop: Header=BB14_34 Depth=2
	s_and_not1_saveexec_b32 s4, s4
	s_cbranch_execz .LBB14_33
; %bb.43:                               ;   in Loop: Header=BB14_34 Depth=2
	ds_add_f32 v8, v3 offset:16384
	s_and_not1_b32 s5, s5, exec_lo
	s_branch .LBB14_33
.LBB14_44:
	s_or_b32 exec_lo, exec_lo, s1
.LBB14_45:
	v_mbcnt_lo_u32_b32 v1, -1, 0
	v_lshrrev_b32_e32 v2, 3, v0
	v_cmp_eq_u32_e32 vcc_lo, 0x3ff, v0
	v_cmp_lt_u32_e64 s0, 31, v0
	v_cmp_lt_u32_e64 s1, 63, v0
	v_xor_b32_e32 v1, 63, v1
	v_dual_mov_b32 v8, 0 :: v_dual_and_b32 v3, 0x7c, v2
	v_cmp_lt_u32_e64 s2, 0x5f, v0
	v_cmp_lt_u32_e64 s3, 0x7f, v0
	s_delay_alu instid0(VALU_DEP_4) | instskip(NEXT) | instid1(VALU_DEP_4)
	v_lshrrev_b64 v[1:2], v1, -1
	v_dual_mov_b32 v7, 0 :: v_dual_add_nc_u32 v4, 0, v3
	v_cmp_lt_u32_e64 s4, 0x9f, v0
	v_cmp_lt_u32_e64 s5, 0xbf, v0
	;; [unrolled: 1-line block ×27, first 2 shown]
	s_mov_b32 s35, 0
	s_waitcnt lgkmcnt(0)
	s_barrier
	buffer_gl0_inv
	s_branch .LBB14_47
.LBB14_46:                              ;   in Loop: Header=BB14_47 Depth=1
	s_or_b32 exec_lo, exec_lo, s31
	s_waitcnt lgkmcnt(0)
	s_barrier
	buffer_gl0_inv
	ds_load_b32 v2, v7 offset:32892
	v_add_nc_u32_e32 v6, 0x400, v6
	v_add_nc_u32_e32 v5, 0x1000, v5
	s_delay_alu instid0(VALU_DEP_2) | instskip(NEXT) | instid1(VALU_DEP_1)
	v_cmp_lt_u32_e64 s31, 0xbff, v6
	s_or_b32 s35, s31, s35
	s_waitcnt lgkmcnt(0)
	v_add_nc_u32_e32 v8, v2, v8
	s_and_not1_b32 exec_lo, exec_lo, s35
	s_cbranch_execz .LBB14_113
.LBB14_47:                              ; =>This Inner Loop Header: Depth=1
	ds_load_2addr_stride64_b32 v[2:3], v5 offset1:64
	s_waitcnt lgkmcnt(0)
	s_barrier
	buffer_gl0_inv
	v_cmp_gt_i32_e64 s31, s33, v2
	s_delay_alu instid0(VALU_DEP_1) | instskip(NEXT) | instid1(SALU_CYCLE_1)
	s_bcnt1_i32_b32 s36, s31
	v_dual_mov_b32 v10, s36 :: v_dual_and_b32 v9, s31, v1
	s_delay_alu instid0(VALU_DEP_1)
	v_bcnt_u32_b32 v9, v9, 0
	ds_store_b32 v4, v10 offset:32768
	s_waitcnt lgkmcnt(0)
	s_barrier
	buffer_gl0_inv
	s_and_saveexec_b32 s36, s0
	s_cbranch_execnz .LBB14_80
; %bb.48:                               ;   in Loop: Header=BB14_47 Depth=1
	s_or_b32 exec_lo, exec_lo, s36
	s_and_saveexec_b32 s36, s1
	s_cbranch_execnz .LBB14_81
.LBB14_49:                              ;   in Loop: Header=BB14_47 Depth=1
	s_or_b32 exec_lo, exec_lo, s36
	s_and_saveexec_b32 s36, s2
	s_cbranch_execnz .LBB14_82
.LBB14_50:                              ;   in Loop: Header=BB14_47 Depth=1
	s_or_b32 exec_lo, exec_lo, s36
	s_and_saveexec_b32 s36, s3
	s_cbranch_execnz .LBB14_83
.LBB14_51:                              ;   in Loop: Header=BB14_47 Depth=1
	s_or_b32 exec_lo, exec_lo, s36
	s_and_saveexec_b32 s36, s4
	s_cbranch_execnz .LBB14_84
.LBB14_52:                              ;   in Loop: Header=BB14_47 Depth=1
	s_or_b32 exec_lo, exec_lo, s36
	s_and_saveexec_b32 s36, s5
	s_cbranch_execnz .LBB14_85
.LBB14_53:                              ;   in Loop: Header=BB14_47 Depth=1
	s_or_b32 exec_lo, exec_lo, s36
	s_and_saveexec_b32 s36, s6
	s_cbranch_execnz .LBB14_86
.LBB14_54:                              ;   in Loop: Header=BB14_47 Depth=1
	s_or_b32 exec_lo, exec_lo, s36
	s_and_saveexec_b32 s36, s7
	s_cbranch_execnz .LBB14_87
.LBB14_55:                              ;   in Loop: Header=BB14_47 Depth=1
	s_or_b32 exec_lo, exec_lo, s36
	s_and_saveexec_b32 s36, s8
	s_cbranch_execnz .LBB14_88
.LBB14_56:                              ;   in Loop: Header=BB14_47 Depth=1
	s_or_b32 exec_lo, exec_lo, s36
	s_and_saveexec_b32 s36, s9
	s_cbranch_execnz .LBB14_89
.LBB14_57:                              ;   in Loop: Header=BB14_47 Depth=1
	s_or_b32 exec_lo, exec_lo, s36
	s_and_saveexec_b32 s36, s10
	s_cbranch_execnz .LBB14_90
.LBB14_58:                              ;   in Loop: Header=BB14_47 Depth=1
	s_or_b32 exec_lo, exec_lo, s36
	s_and_saveexec_b32 s36, s11
	s_cbranch_execnz .LBB14_91
.LBB14_59:                              ;   in Loop: Header=BB14_47 Depth=1
	s_or_b32 exec_lo, exec_lo, s36
	s_and_saveexec_b32 s36, s12
	s_cbranch_execnz .LBB14_92
.LBB14_60:                              ;   in Loop: Header=BB14_47 Depth=1
	s_or_b32 exec_lo, exec_lo, s36
	s_and_saveexec_b32 s36, s13
	s_cbranch_execnz .LBB14_93
.LBB14_61:                              ;   in Loop: Header=BB14_47 Depth=1
	s_or_b32 exec_lo, exec_lo, s36
	s_and_saveexec_b32 s36, s14
	s_cbranch_execnz .LBB14_94
.LBB14_62:                              ;   in Loop: Header=BB14_47 Depth=1
	s_or_b32 exec_lo, exec_lo, s36
	s_and_saveexec_b32 s36, s15
	s_cbranch_execnz .LBB14_95
.LBB14_63:                              ;   in Loop: Header=BB14_47 Depth=1
	s_or_b32 exec_lo, exec_lo, s36
	s_and_saveexec_b32 s36, s16
	s_cbranch_execnz .LBB14_96
.LBB14_64:                              ;   in Loop: Header=BB14_47 Depth=1
	s_or_b32 exec_lo, exec_lo, s36
	s_and_saveexec_b32 s36, s17
	s_cbranch_execnz .LBB14_97
.LBB14_65:                              ;   in Loop: Header=BB14_47 Depth=1
	s_or_b32 exec_lo, exec_lo, s36
	s_and_saveexec_b32 s36, s18
	s_cbranch_execnz .LBB14_98
.LBB14_66:                              ;   in Loop: Header=BB14_47 Depth=1
	s_or_b32 exec_lo, exec_lo, s36
	s_and_saveexec_b32 s36, s19
	s_cbranch_execnz .LBB14_99
.LBB14_67:                              ;   in Loop: Header=BB14_47 Depth=1
	s_or_b32 exec_lo, exec_lo, s36
	s_and_saveexec_b32 s36, s20
	s_cbranch_execnz .LBB14_100
.LBB14_68:                              ;   in Loop: Header=BB14_47 Depth=1
	s_or_b32 exec_lo, exec_lo, s36
	s_and_saveexec_b32 s36, s21
	s_cbranch_execnz .LBB14_101
.LBB14_69:                              ;   in Loop: Header=BB14_47 Depth=1
	s_or_b32 exec_lo, exec_lo, s36
	s_and_saveexec_b32 s36, s22
	s_cbranch_execnz .LBB14_102
.LBB14_70:                              ;   in Loop: Header=BB14_47 Depth=1
	s_or_b32 exec_lo, exec_lo, s36
	s_and_saveexec_b32 s36, s23
	s_cbranch_execnz .LBB14_103
.LBB14_71:                              ;   in Loop: Header=BB14_47 Depth=1
	s_or_b32 exec_lo, exec_lo, s36
	s_and_saveexec_b32 s36, s24
	s_cbranch_execnz .LBB14_104
.LBB14_72:                              ;   in Loop: Header=BB14_47 Depth=1
	s_or_b32 exec_lo, exec_lo, s36
	s_and_saveexec_b32 s36, s25
	s_cbranch_execnz .LBB14_105
.LBB14_73:                              ;   in Loop: Header=BB14_47 Depth=1
	s_or_b32 exec_lo, exec_lo, s36
	s_and_saveexec_b32 s36, s26
	s_cbranch_execnz .LBB14_106
.LBB14_74:                              ;   in Loop: Header=BB14_47 Depth=1
	s_or_b32 exec_lo, exec_lo, s36
	s_and_saveexec_b32 s36, s27
	s_cbranch_execnz .LBB14_107
.LBB14_75:                              ;   in Loop: Header=BB14_47 Depth=1
	s_or_b32 exec_lo, exec_lo, s36
	s_and_saveexec_b32 s36, s28
	s_cbranch_execnz .LBB14_108
.LBB14_76:                              ;   in Loop: Header=BB14_47 Depth=1
	s_or_b32 exec_lo, exec_lo, s36
	s_and_saveexec_b32 s36, s29
	s_cbranch_execnz .LBB14_109
.LBB14_77:                              ;   in Loop: Header=BB14_47 Depth=1
	s_or_b32 exec_lo, exec_lo, s36
	s_and_saveexec_b32 s36, s30
	s_cbranch_execnz .LBB14_110
.LBB14_78:                              ;   in Loop: Header=BB14_47 Depth=1
	s_or_b32 exec_lo, exec_lo, s36
	s_and_saveexec_b32 s36, s31
	s_cbranch_execnz .LBB14_111
.LBB14_79:                              ;   in Loop: Header=BB14_47 Depth=1
	s_or_b32 exec_lo, exec_lo, s36
	s_and_saveexec_b32 s31, vcc_lo
	s_cbranch_execz .LBB14_46
	s_branch .LBB14_112
.LBB14_80:                              ;   in Loop: Header=BB14_47 Depth=1
	ds_load_b32 v10, v7 offset:32768
	s_waitcnt lgkmcnt(0)
	v_add_nc_u32_e32 v9, v10, v9
	s_or_b32 exec_lo, exec_lo, s36
	s_and_saveexec_b32 s36, s1
	s_cbranch_execz .LBB14_49
.LBB14_81:                              ;   in Loop: Header=BB14_47 Depth=1
	ds_load_b32 v10, v7 offset:32772
	s_waitcnt lgkmcnt(0)
	v_add_nc_u32_e32 v9, v10, v9
	s_or_b32 exec_lo, exec_lo, s36
	s_and_saveexec_b32 s36, s2
	s_cbranch_execz .LBB14_50
.LBB14_82:                              ;   in Loop: Header=BB14_47 Depth=1
	ds_load_b32 v10, v7 offset:32776
	s_waitcnt lgkmcnt(0)
	v_add_nc_u32_e32 v9, v10, v9
	s_or_b32 exec_lo, exec_lo, s36
	s_and_saveexec_b32 s36, s3
	s_cbranch_execz .LBB14_51
.LBB14_83:                              ;   in Loop: Header=BB14_47 Depth=1
	ds_load_b32 v10, v7 offset:32780
	s_waitcnt lgkmcnt(0)
	v_add_nc_u32_e32 v9, v10, v9
	s_or_b32 exec_lo, exec_lo, s36
	s_and_saveexec_b32 s36, s4
	s_cbranch_execz .LBB14_52
.LBB14_84:                              ;   in Loop: Header=BB14_47 Depth=1
	ds_load_b32 v10, v7 offset:32784
	s_waitcnt lgkmcnt(0)
	v_add_nc_u32_e32 v9, v10, v9
	s_or_b32 exec_lo, exec_lo, s36
	s_and_saveexec_b32 s36, s5
	s_cbranch_execz .LBB14_53
.LBB14_85:                              ;   in Loop: Header=BB14_47 Depth=1
	ds_load_b32 v10, v7 offset:32788
	s_waitcnt lgkmcnt(0)
	v_add_nc_u32_e32 v9, v10, v9
	s_or_b32 exec_lo, exec_lo, s36
	s_and_saveexec_b32 s36, s6
	s_cbranch_execz .LBB14_54
.LBB14_86:                              ;   in Loop: Header=BB14_47 Depth=1
	ds_load_b32 v10, v7 offset:32792
	s_waitcnt lgkmcnt(0)
	v_add_nc_u32_e32 v9, v10, v9
	s_or_b32 exec_lo, exec_lo, s36
	s_and_saveexec_b32 s36, s7
	s_cbranch_execz .LBB14_55
.LBB14_87:                              ;   in Loop: Header=BB14_47 Depth=1
	ds_load_b32 v10, v7 offset:32796
	s_waitcnt lgkmcnt(0)
	v_add_nc_u32_e32 v9, v10, v9
	s_or_b32 exec_lo, exec_lo, s36
	s_and_saveexec_b32 s36, s8
	s_cbranch_execz .LBB14_56
.LBB14_88:                              ;   in Loop: Header=BB14_47 Depth=1
	ds_load_b32 v10, v7 offset:32800
	s_waitcnt lgkmcnt(0)
	v_add_nc_u32_e32 v9, v10, v9
	s_or_b32 exec_lo, exec_lo, s36
	s_and_saveexec_b32 s36, s9
	s_cbranch_execz .LBB14_57
.LBB14_89:                              ;   in Loop: Header=BB14_47 Depth=1
	ds_load_b32 v10, v7 offset:32804
	s_waitcnt lgkmcnt(0)
	v_add_nc_u32_e32 v9, v10, v9
	s_or_b32 exec_lo, exec_lo, s36
	s_and_saveexec_b32 s36, s10
	s_cbranch_execz .LBB14_58
.LBB14_90:                              ;   in Loop: Header=BB14_47 Depth=1
	ds_load_b32 v10, v7 offset:32808
	s_waitcnt lgkmcnt(0)
	v_add_nc_u32_e32 v9, v10, v9
	s_or_b32 exec_lo, exec_lo, s36
	s_and_saveexec_b32 s36, s11
	s_cbranch_execz .LBB14_59
.LBB14_91:                              ;   in Loop: Header=BB14_47 Depth=1
	ds_load_b32 v10, v7 offset:32812
	s_waitcnt lgkmcnt(0)
	v_add_nc_u32_e32 v9, v10, v9
	s_or_b32 exec_lo, exec_lo, s36
	s_and_saveexec_b32 s36, s12
	s_cbranch_execz .LBB14_60
.LBB14_92:                              ;   in Loop: Header=BB14_47 Depth=1
	ds_load_b32 v10, v7 offset:32816
	s_waitcnt lgkmcnt(0)
	v_add_nc_u32_e32 v9, v10, v9
	s_or_b32 exec_lo, exec_lo, s36
	s_and_saveexec_b32 s36, s13
	s_cbranch_execz .LBB14_61
.LBB14_93:                              ;   in Loop: Header=BB14_47 Depth=1
	ds_load_b32 v10, v7 offset:32820
	s_waitcnt lgkmcnt(0)
	v_add_nc_u32_e32 v9, v10, v9
	s_or_b32 exec_lo, exec_lo, s36
	s_and_saveexec_b32 s36, s14
	s_cbranch_execz .LBB14_62
.LBB14_94:                              ;   in Loop: Header=BB14_47 Depth=1
	ds_load_b32 v10, v7 offset:32824
	s_waitcnt lgkmcnt(0)
	v_add_nc_u32_e32 v9, v10, v9
	s_or_b32 exec_lo, exec_lo, s36
	s_and_saveexec_b32 s36, s15
	s_cbranch_execz .LBB14_63
.LBB14_95:                              ;   in Loop: Header=BB14_47 Depth=1
	ds_load_b32 v10, v7 offset:32828
	s_waitcnt lgkmcnt(0)
	v_add_nc_u32_e32 v9, v10, v9
	s_or_b32 exec_lo, exec_lo, s36
	s_and_saveexec_b32 s36, s16
	s_cbranch_execz .LBB14_64
.LBB14_96:                              ;   in Loop: Header=BB14_47 Depth=1
	ds_load_b32 v10, v7 offset:32832
	s_waitcnt lgkmcnt(0)
	v_add_nc_u32_e32 v9, v10, v9
	s_or_b32 exec_lo, exec_lo, s36
	s_and_saveexec_b32 s36, s17
	s_cbranch_execz .LBB14_65
.LBB14_97:                              ;   in Loop: Header=BB14_47 Depth=1
	ds_load_b32 v10, v7 offset:32836
	s_waitcnt lgkmcnt(0)
	v_add_nc_u32_e32 v9, v10, v9
	s_or_b32 exec_lo, exec_lo, s36
	s_and_saveexec_b32 s36, s18
	s_cbranch_execz .LBB14_66
.LBB14_98:                              ;   in Loop: Header=BB14_47 Depth=1
	ds_load_b32 v10, v7 offset:32840
	s_waitcnt lgkmcnt(0)
	v_add_nc_u32_e32 v9, v10, v9
	s_or_b32 exec_lo, exec_lo, s36
	s_and_saveexec_b32 s36, s19
	s_cbranch_execz .LBB14_67
.LBB14_99:                              ;   in Loop: Header=BB14_47 Depth=1
	ds_load_b32 v10, v7 offset:32844
	s_waitcnt lgkmcnt(0)
	v_add_nc_u32_e32 v9, v10, v9
	s_or_b32 exec_lo, exec_lo, s36
	s_and_saveexec_b32 s36, s20
	s_cbranch_execz .LBB14_68
.LBB14_100:                             ;   in Loop: Header=BB14_47 Depth=1
	ds_load_b32 v10, v7 offset:32848
	s_waitcnt lgkmcnt(0)
	v_add_nc_u32_e32 v9, v10, v9
	s_or_b32 exec_lo, exec_lo, s36
	s_and_saveexec_b32 s36, s21
	s_cbranch_execz .LBB14_69
.LBB14_101:                             ;   in Loop: Header=BB14_47 Depth=1
	ds_load_b32 v10, v7 offset:32852
	s_waitcnt lgkmcnt(0)
	v_add_nc_u32_e32 v9, v10, v9
	s_or_b32 exec_lo, exec_lo, s36
	s_and_saveexec_b32 s36, s22
	s_cbranch_execz .LBB14_70
.LBB14_102:                             ;   in Loop: Header=BB14_47 Depth=1
	ds_load_b32 v10, v7 offset:32856
	s_waitcnt lgkmcnt(0)
	v_add_nc_u32_e32 v9, v10, v9
	s_or_b32 exec_lo, exec_lo, s36
	s_and_saveexec_b32 s36, s23
	s_cbranch_execz .LBB14_71
.LBB14_103:                             ;   in Loop: Header=BB14_47 Depth=1
	ds_load_b32 v10, v7 offset:32860
	s_waitcnt lgkmcnt(0)
	v_add_nc_u32_e32 v9, v10, v9
	s_or_b32 exec_lo, exec_lo, s36
	s_and_saveexec_b32 s36, s24
	s_cbranch_execz .LBB14_72
.LBB14_104:                             ;   in Loop: Header=BB14_47 Depth=1
	ds_load_b32 v10, v7 offset:32864
	s_waitcnt lgkmcnt(0)
	v_add_nc_u32_e32 v9, v10, v9
	s_or_b32 exec_lo, exec_lo, s36
	s_and_saveexec_b32 s36, s25
	s_cbranch_execz .LBB14_73
.LBB14_105:                             ;   in Loop: Header=BB14_47 Depth=1
	ds_load_b32 v10, v7 offset:32868
	s_waitcnt lgkmcnt(0)
	v_add_nc_u32_e32 v9, v10, v9
	s_or_b32 exec_lo, exec_lo, s36
	s_and_saveexec_b32 s36, s26
	s_cbranch_execz .LBB14_74
.LBB14_106:                             ;   in Loop: Header=BB14_47 Depth=1
	ds_load_b32 v10, v7 offset:32872
	s_waitcnt lgkmcnt(0)
	v_add_nc_u32_e32 v9, v10, v9
	s_or_b32 exec_lo, exec_lo, s36
	s_and_saveexec_b32 s36, s27
	s_cbranch_execz .LBB14_75
.LBB14_107:                             ;   in Loop: Header=BB14_47 Depth=1
	ds_load_b32 v10, v7 offset:32876
	s_waitcnt lgkmcnt(0)
	v_add_nc_u32_e32 v9, v10, v9
	s_or_b32 exec_lo, exec_lo, s36
	s_and_saveexec_b32 s36, s28
	s_cbranch_execz .LBB14_76
.LBB14_108:                             ;   in Loop: Header=BB14_47 Depth=1
	ds_load_b32 v10, v7 offset:32880
	s_waitcnt lgkmcnt(0)
	v_add_nc_u32_e32 v9, v10, v9
	s_or_b32 exec_lo, exec_lo, s36
	s_and_saveexec_b32 s36, s29
	s_cbranch_execz .LBB14_77
.LBB14_109:                             ;   in Loop: Header=BB14_47 Depth=1
	ds_load_b32 v10, v7 offset:32884
	s_waitcnt lgkmcnt(0)
	v_add_nc_u32_e32 v9, v10, v9
	s_or_b32 exec_lo, exec_lo, s36
	s_and_saveexec_b32 s36, s30
	s_cbranch_execz .LBB14_78
.LBB14_110:                             ;   in Loop: Header=BB14_47 Depth=1
	ds_load_b32 v10, v7 offset:32888
	s_waitcnt lgkmcnt(0)
	v_add_nc_u32_e32 v9, v10, v9
	s_or_b32 exec_lo, exec_lo, s36
	s_and_saveexec_b32 s36, s31
	s_cbranch_execz .LBB14_79
.LBB14_111:                             ;   in Loop: Header=BB14_47 Depth=1
	s_delay_alu instid0(VALU_DEP_1) | instskip(NEXT) | instid1(VALU_DEP_1)
	v_add3_u32 v10, v8, -1, v9
	v_lshl_add_u32 v10, v10, 2, 0
	ds_store_2addr_stride64_b32 v10, v2, v3 offset1:64
	s_or_b32 exec_lo, exec_lo, s36
	s_and_saveexec_b32 s31, vcc_lo
	s_cbranch_execz .LBB14_46
.LBB14_112:                             ;   in Loop: Header=BB14_47 Depth=1
	ds_store_b32 v7, v9 offset:32892
	s_branch .LBB14_46
.LBB14_113:
	s_or_b32 exec_lo, exec_lo, s35
	s_ashr_i32 s35, s34, 31
	s_mov_b32 s3, exec_lo
	s_lshl_b64 s[0:1], s[34:35], 2
	s_delay_alu instid0(SALU_CYCLE_1) | instskip(SKIP_4) | instid1(SALU_CYCLE_1)
	s_add_u32 s0, s42, s0
	s_addc_u32 s1, s43, s1
	s_load_b64 s[0:1], s[0:1], 0x0
	s_waitcnt lgkmcnt(0)
	s_sub_i32 s2, s1, s0
	v_cmpx_gt_i32_e64 s2, v0
	s_cbranch_execz .LBB14_123
; %bb.114:
	s_sub_i32 s3, s0, s46
	s_sub_i32 s0, s0, s1
	s_and_b32 s1, s2, 7
	s_cmp_lt_u32 s0, -7
	s_mov_b32 s7, 0
	s_cselect_b32 s4, -1, 0
	s_and_b32 s5, s2, -8
	s_cmp_lg_u32 s1, 0
	s_cselect_b32 s6, -1, 0
	s_branch .LBB14_116
.LBB14_115:                             ;   in Loop: Header=BB14_116 Depth=1
	s_delay_alu instid0(VALU_DEP_1) | instskip(SKIP_3) | instid1(VALU_DEP_3)
	v_ashrrev_i32_e32 v4, 31, v3
	v_add_nc_u32_e32 v0, 0x400, v0
	s_waitcnt lgkmcnt(0)
	v_add_nc_u32_e32 v1, s46, v1
	v_lshlrev_b64 v[3:4], 2, v[3:4]
	s_delay_alu instid0(VALU_DEP_3) | instskip(SKIP_1) | instid1(VALU_DEP_2)
	v_cmp_le_i32_e32 vcc_lo, s2, v0
	s_or_b32 s7, vcc_lo, s7
	v_add_co_u32 v5, s0, s48, v3
	s_delay_alu instid0(VALU_DEP_1) | instskip(SKIP_1) | instid1(VALU_DEP_1)
	v_add_co_ci_u32_e64 v6, s0, s49, v4, s0
	v_add_co_u32 v3, s0, s50, v3
	v_add_co_ci_u32_e64 v4, s0, s51, v4, s0
	global_store_b32 v[5:6], v1, off
	global_store_b32 v[3:4], v2, off
	s_and_not1_b32 exec_lo, exec_lo, s7
	s_cbranch_execz .LBB14_123
.LBB14_116:                             ; =>This Loop Header: Depth=1
                                        ;     Child Loop BB14_118 Depth 2
                                        ;     Child Loop BB14_122 Depth 2
	v_lshl_add_u32 v1, v0, 2, 0
	v_mov_b32_e32 v3, s3
	s_and_not1_b32 vcc_lo, exec_lo, s4
	s_mov_b32 s0, 0
	ds_load_2addr_stride64_b32 v[1:2], v1 offset1:64
	s_cbranch_vccnz .LBB14_120
; %bb.117:                              ;   in Loop: Header=BB14_116 Depth=1
	v_mov_b32_e32 v3, s3
	s_mov_b32 s8, 0
	s_set_inst_prefetch_distance 0x1
	.p2align	6
.LBB14_118:                             ;   Parent Loop BB14_116 Depth=1
                                        ; =>  This Inner Loop Header: Depth=2
	v_mov_b32_e32 v10, s8
	s_add_i32 s0, s0, 8
	s_add_i32 s8, s8, 32
	s_cmp_eq_u32 s5, s0
	ds_load_2addr_b32 v[4:5], v10 offset1:1
	ds_load_2addr_b32 v[6:7], v10 offset0:2 offset1:3
	ds_load_2addr_b32 v[8:9], v10 offset0:4 offset1:5
	;; [unrolled: 1-line block ×3, first 2 shown]
	s_waitcnt lgkmcnt(3)
	v_cmp_gt_i32_e32 vcc_lo, v1, v4
	v_cndmask_b32_e64 v4, 0, 1, vcc_lo
	s_waitcnt lgkmcnt(2)
	v_cmp_gt_i32_e32 vcc_lo, v1, v6
	v_cndmask_b32_e64 v6, 0, 1, vcc_lo
	v_cmp_gt_i32_e32 vcc_lo, v1, v5
	v_add_co_ci_u32_e32 v3, vcc_lo, v3, v4, vcc_lo
	s_waitcnt lgkmcnt(1)
	v_cmp_gt_i32_e32 vcc_lo, v1, v8
	v_cndmask_b32_e64 v4, 0, 1, vcc_lo
	v_cmp_gt_i32_e32 vcc_lo, v1, v7
	v_add_co_ci_u32_e32 v3, vcc_lo, v3, v6, vcc_lo
	;; [unrolled: 5-line block ×3, first 2 shown]
	v_cmp_gt_i32_e32 vcc_lo, v1, v11
	s_delay_alu instid0(VALU_DEP_2)
	v_add_co_ci_u32_e32 v3, vcc_lo, v3, v5, vcc_lo
	s_cbranch_scc0 .LBB14_118
; %bb.119:                              ;   in Loop: Header=BB14_116 Depth=1
	s_set_inst_prefetch_distance 0x2
	s_mov_b32 s0, s5
.LBB14_120:                             ;   in Loop: Header=BB14_116 Depth=1
	s_and_not1_b32 vcc_lo, exec_lo, s6
	s_cbranch_vccnz .LBB14_115
; %bb.121:                              ;   in Loop: Header=BB14_116 Depth=1
	s_lshl_b32 s0, s0, 2
	s_mov_b32 s8, s1
	s_add_i32 s0, s0, 0
.LBB14_122:                             ;   Parent Loop BB14_116 Depth=1
                                        ; =>  This Inner Loop Header: Depth=2
	s_delay_alu instid0(SALU_CYCLE_1)
	v_mov_b32_e32 v4, s0
	s_add_i32 s8, s8, -1
	s_add_i32 s0, s0, 4
	s_cmp_lg_u32 s8, 0
	ds_load_b32 v4, v4
	s_waitcnt lgkmcnt(0)
	v_cmp_gt_i32_e32 vcc_lo, v1, v4
	v_add_co_ci_u32_e32 v3, vcc_lo, 0, v3, vcc_lo
	s_cbranch_scc1 .LBB14_122
	s_branch .LBB14_115
.LBB14_123:
	s_nop 0
	s_sendmsg sendmsg(MSG_DEALLOC_VGPRS)
	s_endpgm
	.section	.rodata,"a",@progbits
	.p2align	6, 0x0
	.amdhsa_kernel _ZN9rocsparseL26csrgemm_fill_block_per_rowILj1024ELj64ELj4096ELj137ELj32EiifEEvT5_PKS1_S3_NS_24const_host_device_scalarIT6_EEPKT4_S3_PKS5_S9_S3_SB_S6_S9_S3_SB_S9_PS1_PS5_21rocsparse_index_base_SE_SE_SE_bbb
		.amdhsa_group_segment_fixed_size 0
		.amdhsa_private_segment_fixed_size 0
		.amdhsa_kernarg_size 156
		.amdhsa_user_sgpr_count 15
		.amdhsa_user_sgpr_dispatch_ptr 0
		.amdhsa_user_sgpr_queue_ptr 0
		.amdhsa_user_sgpr_kernarg_segment_ptr 1
		.amdhsa_user_sgpr_dispatch_id 0
		.amdhsa_user_sgpr_private_segment_size 0
		.amdhsa_wavefront_size32 1
		.amdhsa_uses_dynamic_stack 0
		.amdhsa_enable_private_segment 0
		.amdhsa_system_sgpr_workgroup_id_x 1
		.amdhsa_system_sgpr_workgroup_id_y 0
		.amdhsa_system_sgpr_workgroup_id_z 0
		.amdhsa_system_sgpr_workgroup_info 0
		.amdhsa_system_vgpr_workitem_id 0
		.amdhsa_next_free_vgpr 15
		.amdhsa_next_free_sgpr 52
		.amdhsa_reserve_vcc 1
		.amdhsa_float_round_mode_32 0
		.amdhsa_float_round_mode_16_64 0
		.amdhsa_float_denorm_mode_32 3
		.amdhsa_float_denorm_mode_16_64 3
		.amdhsa_dx10_clamp 1
		.amdhsa_ieee_mode 1
		.amdhsa_fp16_overflow 0
		.amdhsa_workgroup_processor_mode 1
		.amdhsa_memory_ordered 1
		.amdhsa_forward_progress 0
		.amdhsa_shared_vgpr_count 0
		.amdhsa_exception_fp_ieee_invalid_op 0
		.amdhsa_exception_fp_denorm_src 0
		.amdhsa_exception_fp_ieee_div_zero 0
		.amdhsa_exception_fp_ieee_overflow 0
		.amdhsa_exception_fp_ieee_underflow 0
		.amdhsa_exception_fp_ieee_inexact 0
		.amdhsa_exception_int_div_zero 0
	.end_amdhsa_kernel
	.section	.text._ZN9rocsparseL26csrgemm_fill_block_per_rowILj1024ELj64ELj4096ELj137ELj32EiifEEvT5_PKS1_S3_NS_24const_host_device_scalarIT6_EEPKT4_S3_PKS5_S9_S3_SB_S6_S9_S3_SB_S9_PS1_PS5_21rocsparse_index_base_SE_SE_SE_bbb,"axG",@progbits,_ZN9rocsparseL26csrgemm_fill_block_per_rowILj1024ELj64ELj4096ELj137ELj32EiifEEvT5_PKS1_S3_NS_24const_host_device_scalarIT6_EEPKT4_S3_PKS5_S9_S3_SB_S6_S9_S3_SB_S9_PS1_PS5_21rocsparse_index_base_SE_SE_SE_bbb,comdat
.Lfunc_end14:
	.size	_ZN9rocsparseL26csrgemm_fill_block_per_rowILj1024ELj64ELj4096ELj137ELj32EiifEEvT5_PKS1_S3_NS_24const_host_device_scalarIT6_EEPKT4_S3_PKS5_S9_S3_SB_S6_S9_S3_SB_S9_PS1_PS5_21rocsparse_index_base_SE_SE_SE_bbb, .Lfunc_end14-_ZN9rocsparseL26csrgemm_fill_block_per_rowILj1024ELj64ELj4096ELj137ELj32EiifEEvT5_PKS1_S3_NS_24const_host_device_scalarIT6_EEPKT4_S3_PKS5_S9_S3_SB_S6_S9_S3_SB_S9_PS1_PS5_21rocsparse_index_base_SE_SE_SE_bbb
                                        ; -- End function
	.section	.AMDGPU.csdata,"",@progbits
; Kernel info:
; codeLenInByte = 3880
; NumSgprs: 54
; NumVgprs: 15
; ScratchSize: 0
; MemoryBound: 0
; FloatMode: 240
; IeeeMode: 1
; LDSByteSize: 0 bytes/workgroup (compile time only)
; SGPRBlocks: 6
; VGPRBlocks: 1
; NumSGPRsForWavesPerEU: 54
; NumVGPRsForWavesPerEU: 15
; Occupancy: 16
; WaveLimiterHint : 1
; COMPUTE_PGM_RSRC2:SCRATCH_EN: 0
; COMPUTE_PGM_RSRC2:USER_SGPR: 15
; COMPUTE_PGM_RSRC2:TRAP_HANDLER: 0
; COMPUTE_PGM_RSRC2:TGID_X_EN: 1
; COMPUTE_PGM_RSRC2:TGID_Y_EN: 0
; COMPUTE_PGM_RSRC2:TGID_Z_EN: 0
; COMPUTE_PGM_RSRC2:TIDIG_COMP_CNT: 0
	.section	.text._ZN9rocsparseL26csrgemm_fill_block_per_rowILj1024ELj64ELj4096ELj137ELj64EiifEEvT5_PKS1_S3_NS_24const_host_device_scalarIT6_EEPKT4_S3_PKS5_S9_S3_SB_S6_S9_S3_SB_S9_PS1_PS5_21rocsparse_index_base_SE_SE_SE_bbb,"axG",@progbits,_ZN9rocsparseL26csrgemm_fill_block_per_rowILj1024ELj64ELj4096ELj137ELj64EiifEEvT5_PKS1_S3_NS_24const_host_device_scalarIT6_EEPKT4_S3_PKS5_S9_S3_SB_S6_S9_S3_SB_S9_PS1_PS5_21rocsparse_index_base_SE_SE_SE_bbb,comdat
	.globl	_ZN9rocsparseL26csrgemm_fill_block_per_rowILj1024ELj64ELj4096ELj137ELj64EiifEEvT5_PKS1_S3_NS_24const_host_device_scalarIT6_EEPKT4_S3_PKS5_S9_S3_SB_S6_S9_S3_SB_S9_PS1_PS5_21rocsparse_index_base_SE_SE_SE_bbb ; -- Begin function _ZN9rocsparseL26csrgemm_fill_block_per_rowILj1024ELj64ELj4096ELj137ELj64EiifEEvT5_PKS1_S3_NS_24const_host_device_scalarIT6_EEPKT4_S3_PKS5_S9_S3_SB_S6_S9_S3_SB_S9_PS1_PS5_21rocsparse_index_base_SE_SE_SE_bbb
	.p2align	8
	.type	_ZN9rocsparseL26csrgemm_fill_block_per_rowILj1024ELj64ELj4096ELj137ELj64EiifEEvT5_PKS1_S3_NS_24const_host_device_scalarIT6_EEPKT4_S3_PKS5_S9_S3_SB_S6_S9_S3_SB_S9_PS1_PS5_21rocsparse_index_base_SE_SE_SE_bbb,@function
_ZN9rocsparseL26csrgemm_fill_block_per_rowILj1024ELj64ELj4096ELj137ELj64EiifEEvT5_PKS1_S3_NS_24const_host_device_scalarIT6_EEPKT4_S3_PKS5_S9_S3_SB_S6_S9_S3_SB_S9_PS1_PS5_21rocsparse_index_base_SE_SE_SE_bbb: ; @_ZN9rocsparseL26csrgemm_fill_block_per_rowILj1024ELj64ELj4096ELj137ELj64EiifEEvT5_PKS1_S3_NS_24const_host_device_scalarIT6_EEPKT4_S3_PKS5_S9_S3_SB_S6_S9_S3_SB_S9_PS1_PS5_21rocsparse_index_base_SE_SE_SE_bbb
; %bb.0:
	s_clause 0x3
	s_load_b32 s12, s[0:1], 0x98
	s_load_b128 s[24:27], s[0:1], 0x88
	s_load_b64 s[4:5], s[0:1], 0x18
	s_load_b64 s[2:3], s[0:1], 0x50
	s_waitcnt lgkmcnt(0)
	s_bitcmp1_b32 s12, 0
	s_cselect_b32 s13, -1, 0
	s_bitcmp1_b32 s12, 16
	s_cselect_b32 s14, -1, 0
	s_xor_b32 s6, s13, -1
	s_delay_alu instid0(SALU_CYCLE_1) | instskip(NEXT) | instid1(SALU_CYCLE_1)
	s_or_b32 s6, s6, s14
	s_and_b32 vcc_lo, exec_lo, s6
	s_cbranch_vccnz .LBB15_2
; %bb.1:
	s_load_b32 s4, s[4:5], 0x0
	s_waitcnt lgkmcnt(0)
	v_mov_b32_e32 v9, s4
	s_branch .LBB15_3
.LBB15_2:
	v_cndmask_b32_e64 v9, 0, s4, s13
.LBB15_3:
	s_clause 0x4
	s_load_b128 s[28:31], s[0:1], 0x78
	s_load_b256 s[16:23], s[0:1], 0x58
	s_load_b128 s[36:39], s[0:1], 0x40
	s_load_b128 s[40:43], s[0:1], 0x8
	s_load_b256 s[4:11], s[0:1], 0x20
	s_bitcmp1_b32 s12, 8
	s_cselect_b32 s12, -1, 0
	s_delay_alu instid0(SALU_CYCLE_1) | instskip(NEXT) | instid1(SALU_CYCLE_1)
	s_xor_b32 s33, s12, -1
	s_or_b32 s14, s33, s14
	s_delay_alu instid0(SALU_CYCLE_1)
	s_and_b32 vcc_lo, exec_lo, s14
	s_cbranch_vccnz .LBB15_5
; %bb.4:
	s_load_b32 s2, s[2:3], 0x0
	s_waitcnt lgkmcnt(0)
	v_mov_b32_e32 v7, s2
	s_branch .LBB15_6
.LBB15_5:
	v_cndmask_b32_e64 v7, 0, s2, s12
.LBB15_6:
	s_load_b32 s33, s[0:1], 0x0
	v_lshl_add_u32 v5, v0, 2, 0
	v_or_b32_e32 v6, 0xfffffc00, v0
	v_mov_b32_e32 v1, 0
	s_mov_b32 s0, 0
	s_delay_alu instid0(VALU_DEP_3)
	v_mov_b32_e32 v2, v5
	s_waitcnt lgkmcnt(0)
	v_dual_mov_b32 v4, v6 :: v_dual_mov_b32 v3, s33
.LBB15_7:                               ; =>This Inner Loop Header: Depth=1
	s_delay_alu instid0(VALU_DEP_1) | instskip(SKIP_4) | instid1(SALU_CYCLE_1)
	v_add_nc_u32_e32 v4, 0x400, v4
	ds_store_2addr_stride64_b32 v2, v3, v1 offset1:64
	v_add_nc_u32_e32 v2, 0x1000, v2
	v_cmp_lt_u32_e32 vcc_lo, 0xbff, v4
	s_or_b32 s0, vcc_lo, s0
	s_and_not1_b32 exec_lo, exec_lo, s0
	s_cbranch_execnz .LBB15_7
; %bb.8:
	s_or_b32 exec_lo, exec_lo, s0
	s_waitcnt lgkmcnt(0)
	s_barrier
	buffer_gl0_inv
	s_load_b32 s0, s[40:41], 0x0
	s_mov_b32 s1, 0
	v_lshrrev_b32_e32 v8, 6, v0
	s_waitcnt lgkmcnt(0)
	s_add_i32 s0, s0, s15
	s_delay_alu instid0(SALU_CYCLE_1) | instskip(NEXT) | instid1(SALU_CYCLE_1)
	s_lshl_b64 s[0:1], s[0:1], 2
	s_add_u32 s0, s42, s0
	s_addc_u32 s1, s43, s1
	s_and_b32 vcc_lo, exec_lo, s13
	s_load_b32 s34, s[0:1], 0x0
	s_cbranch_vccz .LBB15_28
; %bb.9:
	s_waitcnt lgkmcnt(0)
	s_ashr_i32 s35, s34, 31
	v_subrev_nc_u32_e32 v1, s24, v8
	s_lshl_b64 s[0:1], s[34:35], 2
	s_delay_alu instid0(SALU_CYCLE_1)
	s_add_u32 s0, s4, s0
	s_addc_u32 s1, s5, s1
	s_load_b64 s[0:1], s[0:1], 0x0
	s_waitcnt lgkmcnt(0)
	v_add_nc_u32_e32 v1, s0, v1
	s_sub_i32 s0, s1, s24
	s_mov_b32 s1, exec_lo
	s_delay_alu instid0(VALU_DEP_1)
	v_cmpx_gt_i32_e64 s0, v1
	s_cbranch_execz .LBB15_27
; %bb.10:
	v_and_b32_e32 v2, 63, v0
	s_mov_b32 s2, 0
	s_delay_alu instid0(VALU_DEP_1)
	v_subrev_nc_u32_e32 v10, s25, v2
	s_branch .LBB15_12
.LBB15_11:                              ;   in Loop: Header=BB15_12 Depth=1
	s_or_b32 exec_lo, exec_lo, s3
	v_add_nc_u32_e32 v1, 16, v1
	s_delay_alu instid0(VALU_DEP_1) | instskip(SKIP_1) | instid1(SALU_CYCLE_1)
	v_cmp_le_i32_e32 vcc_lo, s0, v1
	s_or_b32 s2, vcc_lo, s2
	s_and_not1_b32 exec_lo, exec_lo, s2
	s_cbranch_execz .LBB15_27
.LBB15_12:                              ; =>This Loop Header: Depth=1
                                        ;     Child Loop BB15_15 Depth 2
                                        ;       Child Loop BB15_17 Depth 3
	v_ashrrev_i32_e32 v2, 31, v1
	s_mov_b32 s3, exec_lo
	s_delay_alu instid0(VALU_DEP_1) | instskip(NEXT) | instid1(VALU_DEP_1)
	v_lshlrev_b64 v[3:4], 2, v[1:2]
	v_add_co_u32 v11, vcc_lo, s6, v3
	s_delay_alu instid0(VALU_DEP_2) | instskip(SKIP_3) | instid1(VALU_DEP_1)
	v_add_co_ci_u32_e32 v12, vcc_lo, s7, v4, vcc_lo
	global_load_b32 v2, v[11:12], off
	s_waitcnt vmcnt(0)
	v_subrev_nc_u32_e32 v11, s24, v2
	v_ashrrev_i32_e32 v12, 31, v11
	s_delay_alu instid0(VALU_DEP_1) | instskip(NEXT) | instid1(VALU_DEP_1)
	v_lshlrev_b64 v[11:12], 2, v[11:12]
	v_add_co_u32 v11, vcc_lo, s10, v11
	s_delay_alu instid0(VALU_DEP_2) | instskip(SKIP_4) | instid1(VALU_DEP_1)
	v_add_co_ci_u32_e32 v12, vcc_lo, s11, v12, vcc_lo
	global_load_b64 v[12:13], v[11:12], off
	s_waitcnt vmcnt(0)
	v_subrev_nc_u32_e32 v11, s25, v13
	v_add_nc_u32_e32 v2, v12, v10
	v_cmpx_lt_i32_e64 v2, v11
	s_cbranch_execz .LBB15_11
; %bb.13:                               ;   in Loop: Header=BB15_12 Depth=1
	v_add_co_u32 v3, vcc_lo, s8, v3
	v_add_co_ci_u32_e32 v4, vcc_lo, s9, v4, vcc_lo
	s_mov_b32 s4, 0
	global_load_b32 v3, v[3:4], off
	s_waitcnt vmcnt(0)
	v_mul_f32_e32 v4, v9, v3
	s_branch .LBB15_15
.LBB15_14:                              ;   in Loop: Header=BB15_15 Depth=2
	s_or_b32 exec_lo, exec_lo, s5
	v_add_nc_u32_e32 v2, 64, v2
	s_delay_alu instid0(VALU_DEP_1) | instskip(SKIP_1) | instid1(SALU_CYCLE_1)
	v_cmp_ge_i32_e32 vcc_lo, v2, v11
	s_or_b32 s4, vcc_lo, s4
	s_and_not1_b32 exec_lo, exec_lo, s4
	s_cbranch_execz .LBB15_11
.LBB15_15:                              ;   Parent Loop BB15_12 Depth=1
                                        ; =>  This Loop Header: Depth=2
                                        ;       Child Loop BB15_17 Depth 3
	v_ashrrev_i32_e32 v3, 31, v2
	s_mov_b32 s5, 0
	s_delay_alu instid0(VALU_DEP_1) | instskip(NEXT) | instid1(VALU_DEP_1)
	v_lshlrev_b64 v[12:13], 2, v[2:3]
	v_add_co_u32 v14, vcc_lo, s36, v12
	s_delay_alu instid0(VALU_DEP_2)
	v_add_co_ci_u32_e32 v15, vcc_lo, s37, v13, vcc_lo
	v_add_co_u32 v12, vcc_lo, s38, v12
	v_add_co_ci_u32_e32 v13, vcc_lo, s39, v13, vcc_lo
	global_load_b32 v3, v[14:15], off
	global_load_b32 v12, v[12:13], off
	s_waitcnt vmcnt(1)
	v_subrev_nc_u32_e32 v3, s25, v3
	s_delay_alu instid0(VALU_DEP_1) | instskip(SKIP_1) | instid1(VALU_DEP_1)
	v_mul_lo_u32 v13, 0x89, v3
	s_waitcnt vmcnt(0)
	v_dual_mul_f32 v12, v4, v12 :: v_dual_and_b32 v13, 0xfff, v13
	s_branch .LBB15_17
.LBB15_16:                              ;   in Loop: Header=BB15_17 Depth=3
	s_or_b32 exec_lo, exec_lo, s13
	s_xor_b32 s13, s14, -1
	s_delay_alu instid0(SALU_CYCLE_1) | instskip(NEXT) | instid1(SALU_CYCLE_1)
	s_and_b32 s13, exec_lo, s13
	s_or_b32 s5, s13, s5
	s_delay_alu instid0(SALU_CYCLE_1)
	s_and_not1_b32 exec_lo, exec_lo, s5
	s_cbranch_execz .LBB15_14
.LBB15_17:                              ;   Parent Loop BB15_12 Depth=1
                                        ;     Parent Loop BB15_15 Depth=2
                                        ; =>    This Inner Loop Header: Depth=3
	s_delay_alu instid0(VALU_DEP_1)
	v_lshl_add_u32 v14, v13, 2, 0
	s_mov_b32 s13, exec_lo
                                        ; implicit-def: $sgpr14
	ds_load_b32 v15, v14
	s_waitcnt lgkmcnt(0)
	v_cmpx_ne_u32_e64 v15, v3
	s_xor_b32 s13, exec_lo, s13
	s_cbranch_execz .LBB15_25
; %bb.18:                               ;   in Loop: Header=BB15_17 Depth=3
	s_mov_b32 s15, exec_lo
                                        ; implicit-def: $sgpr14
	v_cmpx_ne_u32_e64 s33, v15
	s_xor_b32 s15, exec_lo, s15
; %bb.19:                               ;   in Loop: Header=BB15_17 Depth=3
	v_add_nc_u32_e32 v13, 1, v13
	s_mov_b32 s14, -1
                                        ; implicit-def: $vgpr14
	s_delay_alu instid0(VALU_DEP_1)
	v_and_b32_e32 v13, 0xfff, v13
; %bb.20:                               ;   in Loop: Header=BB15_17 Depth=3
	s_and_not1_saveexec_b32 s15, s15
	s_cbranch_execz .LBB15_24
; %bb.21:                               ;   in Loop: Header=BB15_17 Depth=3
	v_mov_b32_e32 v15, s33
	s_mov_b32 s35, -1
	s_mov_b32 s40, exec_lo
	ds_cmpstore_rtn_b32 v15, v14, v3, v15
	s_waitcnt lgkmcnt(0)
	v_cmpx_eq_u32_e64 s33, v15
	s_cbranch_execz .LBB15_23
; %bb.22:                               ;   in Loop: Header=BB15_17 Depth=3
	ds_add_f32 v14, v12 offset:16384
	s_xor_b32 s35, exec_lo, -1
.LBB15_23:                              ;   in Loop: Header=BB15_17 Depth=3
	s_or_b32 exec_lo, exec_lo, s40
	s_delay_alu instid0(SALU_CYCLE_1) | instskip(SKIP_1) | instid1(SALU_CYCLE_1)
	s_and_not1_b32 s14, s14, exec_lo
	s_and_b32 s35, s35, exec_lo
	s_or_b32 s14, s14, s35
.LBB15_24:                              ;   in Loop: Header=BB15_17 Depth=3
	s_or_b32 exec_lo, exec_lo, s15
	s_delay_alu instid0(SALU_CYCLE_1)
	s_and_b32 s14, s14, exec_lo
                                        ; implicit-def: $vgpr14
.LBB15_25:                              ;   in Loop: Header=BB15_17 Depth=3
	s_and_not1_saveexec_b32 s13, s13
	s_cbranch_execz .LBB15_16
; %bb.26:                               ;   in Loop: Header=BB15_17 Depth=3
	ds_add_f32 v14, v12 offset:16384
	s_and_not1_b32 s14, s14, exec_lo
	s_branch .LBB15_16
.LBB15_27:
	s_or_b32 exec_lo, exec_lo, s1
.LBB15_28:
	s_delay_alu instid0(SALU_CYCLE_1)
	s_and_not1_b32 vcc_lo, exec_lo, s12
	s_cbranch_vccnz .LBB15_45
; %bb.29:
	s_waitcnt lgkmcnt(0)
	s_ashr_i32 s35, s34, 31
	v_subrev_nc_u32_e32 v1, s27, v0
	s_lshl_b64 s[0:1], s[34:35], 2
	s_delay_alu instid0(SALU_CYCLE_1)
	s_add_u32 s0, s16, s0
	s_addc_u32 s1, s17, s1
	s_load_b64 s[0:1], s[0:1], 0x0
	s_waitcnt lgkmcnt(0)
	v_add_nc_u32_e32 v1, s0, v1
	s_sub_i32 s0, s1, s27
	s_mov_b32 s1, exec_lo
	s_delay_alu instid0(VALU_DEP_1)
	v_cmpx_gt_i32_e64 s0, v1
	s_cbranch_execz .LBB15_44
; %bb.30:
	s_mov_b32 s2, 0
	s_branch .LBB15_32
.LBB15_31:                              ;   in Loop: Header=BB15_32 Depth=1
	s_or_b32 exec_lo, exec_lo, s3
	v_add_nc_u32_e32 v1, 0x400, v1
	s_delay_alu instid0(VALU_DEP_1) | instskip(SKIP_1) | instid1(SALU_CYCLE_1)
	v_cmp_le_i32_e32 vcc_lo, s0, v1
	s_or_b32 s2, vcc_lo, s2
	s_and_not1_b32 exec_lo, exec_lo, s2
	s_cbranch_execz .LBB15_44
.LBB15_32:                              ; =>This Loop Header: Depth=1
                                        ;     Child Loop BB15_34 Depth 2
	v_ashrrev_i32_e32 v2, 31, v1
	s_mov_b32 s3, 0
	s_delay_alu instid0(VALU_DEP_1) | instskip(NEXT) | instid1(VALU_DEP_1)
	v_lshlrev_b64 v[2:3], 2, v[1:2]
	v_add_co_u32 v9, vcc_lo, s18, v2
	s_delay_alu instid0(VALU_DEP_2)
	v_add_co_ci_u32_e32 v10, vcc_lo, s19, v3, vcc_lo
	v_add_co_u32 v2, vcc_lo, s20, v2
	v_add_co_ci_u32_e32 v3, vcc_lo, s21, v3, vcc_lo
	global_load_b32 v4, v[9:10], off
	global_load_b32 v3, v[2:3], off
	s_waitcnt vmcnt(1)
	v_subrev_nc_u32_e32 v2, s27, v4
	s_delay_alu instid0(VALU_DEP_1) | instskip(SKIP_1) | instid1(VALU_DEP_1)
	v_mul_lo_u32 v4, 0x89, v2
	s_waitcnt vmcnt(0)
	v_dual_mul_f32 v3, v7, v3 :: v_dual_and_b32 v4, 0xfff, v4
	s_branch .LBB15_34
.LBB15_33:                              ;   in Loop: Header=BB15_34 Depth=2
	s_or_b32 exec_lo, exec_lo, s4
	s_xor_b32 s4, s5, -1
	s_delay_alu instid0(SALU_CYCLE_1) | instskip(NEXT) | instid1(SALU_CYCLE_1)
	s_and_b32 s4, exec_lo, s4
	s_or_b32 s3, s4, s3
	s_delay_alu instid0(SALU_CYCLE_1)
	s_and_not1_b32 exec_lo, exec_lo, s3
	s_cbranch_execz .LBB15_31
.LBB15_34:                              ;   Parent Loop BB15_32 Depth=1
                                        ; =>  This Inner Loop Header: Depth=2
	s_delay_alu instid0(VALU_DEP_1)
	v_lshl_add_u32 v9, v4, 2, 0
	s_mov_b32 s4, exec_lo
                                        ; implicit-def: $sgpr5
	ds_load_b32 v10, v9
	s_waitcnt lgkmcnt(0)
	v_cmpx_ne_u32_e64 v10, v2
	s_xor_b32 s4, exec_lo, s4
	s_cbranch_execz .LBB15_42
; %bb.35:                               ;   in Loop: Header=BB15_34 Depth=2
	s_mov_b32 s6, exec_lo
                                        ; implicit-def: $sgpr5
	v_cmpx_ne_u32_e64 s33, v10
	s_xor_b32 s6, exec_lo, s6
; %bb.36:                               ;   in Loop: Header=BB15_34 Depth=2
	v_add_nc_u32_e32 v4, 1, v4
	s_mov_b32 s5, -1
                                        ; implicit-def: $vgpr9
	s_delay_alu instid0(VALU_DEP_1)
	v_and_b32_e32 v4, 0xfff, v4
; %bb.37:                               ;   in Loop: Header=BB15_34 Depth=2
	s_and_not1_saveexec_b32 s6, s6
	s_cbranch_execz .LBB15_41
; %bb.38:                               ;   in Loop: Header=BB15_34 Depth=2
	v_mov_b32_e32 v10, s33
	s_mov_b32 s7, -1
	s_mov_b32 s8, exec_lo
	ds_cmpstore_rtn_b32 v10, v9, v2, v10
	s_waitcnt lgkmcnt(0)
	v_cmpx_eq_u32_e64 s33, v10
	s_cbranch_execz .LBB15_40
; %bb.39:                               ;   in Loop: Header=BB15_34 Depth=2
	ds_add_f32 v9, v3 offset:16384
	s_xor_b32 s7, exec_lo, -1
.LBB15_40:                              ;   in Loop: Header=BB15_34 Depth=2
	s_or_b32 exec_lo, exec_lo, s8
	s_delay_alu instid0(SALU_CYCLE_1) | instskip(SKIP_1) | instid1(SALU_CYCLE_1)
	s_and_not1_b32 s5, s5, exec_lo
	s_and_b32 s7, s7, exec_lo
	s_or_b32 s5, s5, s7
.LBB15_41:                              ;   in Loop: Header=BB15_34 Depth=2
	s_or_b32 exec_lo, exec_lo, s6
	s_delay_alu instid0(SALU_CYCLE_1)
	s_and_b32 s5, s5, exec_lo
                                        ; implicit-def: $vgpr9
.LBB15_42:                              ;   in Loop: Header=BB15_34 Depth=2
	s_and_not1_saveexec_b32 s4, s4
	s_cbranch_execz .LBB15_33
; %bb.43:                               ;   in Loop: Header=BB15_34 Depth=2
	ds_add_f32 v9, v3 offset:16384
	s_and_not1_b32 s5, s5, exec_lo
	s_branch .LBB15_33
.LBB15_44:
	s_or_b32 exec_lo, exec_lo, s1
.LBB15_45:
	v_mbcnt_lo_u32_b32 v1, -1, 0
	v_lshl_add_u32 v4, v8, 2, 0
	v_cmp_eq_u32_e32 vcc_lo, 0x3ff, v0
	v_cmp_lt_u32_e64 s0, 63, v0
	v_cmp_lt_u32_e64 s1, 0x7f, v0
	v_xor_b32_e32 v1, 63, v1
	v_cmp_lt_u32_e64 s2, 0xbf, v0
	v_cmp_lt_u32_e64 s3, 0xff, v0
	;; [unrolled: 1-line block ×4, first 2 shown]
	v_lshrrev_b64 v[1:2], v1, -1
	v_cmp_lt_u32_e64 s6, 0x1bf, v0
	v_cmp_lt_u32_e64 s7, 0x1ff, v0
	;; [unrolled: 1-line block ×9, first 2 shown]
	v_dual_mov_b32 v7, 0 :: v_dual_mov_b32 v8, 0
	s_mov_b32 s16, 0
	s_waitcnt lgkmcnt(0)
	s_barrier
	buffer_gl0_inv
	s_branch .LBB15_47
.LBB15_46:                              ;   in Loop: Header=BB15_47 Depth=1
	s_or_b32 exec_lo, exec_lo, s15
	s_waitcnt lgkmcnt(0)
	s_barrier
	buffer_gl0_inv
	ds_load_b32 v2, v7 offset:32828
	v_add_nc_u32_e32 v6, 0x400, v6
	v_add_nc_u32_e32 v5, 0x1000, v5
	s_delay_alu instid0(VALU_DEP_2) | instskip(NEXT) | instid1(VALU_DEP_1)
	v_cmp_lt_u32_e64 s15, 0xbff, v6
	s_or_b32 s16, s15, s16
	s_waitcnt lgkmcnt(0)
	v_add_nc_u32_e32 v8, v2, v8
	s_and_not1_b32 exec_lo, exec_lo, s16
	s_cbranch_execz .LBB15_81
.LBB15_47:                              ; =>This Inner Loop Header: Depth=1
	ds_load_2addr_stride64_b32 v[2:3], v5 offset1:64
	s_waitcnt lgkmcnt(0)
	s_barrier
	buffer_gl0_inv
	v_cmp_gt_i32_e64 s15, s33, v2
	s_delay_alu instid0(VALU_DEP_1) | instskip(NEXT) | instid1(SALU_CYCLE_1)
	s_bcnt1_i32_b32 s17, s15
	v_dual_mov_b32 v10, s17 :: v_dual_and_b32 v9, s15, v1
	s_delay_alu instid0(VALU_DEP_1)
	v_bcnt_u32_b32 v9, v9, 0
	ds_store_b32 v4, v10 offset:32768
	s_waitcnt lgkmcnt(0)
	s_barrier
	buffer_gl0_inv
	s_and_saveexec_b32 s17, s0
	s_cbranch_execnz .LBB15_64
; %bb.48:                               ;   in Loop: Header=BB15_47 Depth=1
	s_or_b32 exec_lo, exec_lo, s17
	s_and_saveexec_b32 s17, s1
	s_cbranch_execnz .LBB15_65
.LBB15_49:                              ;   in Loop: Header=BB15_47 Depth=1
	s_or_b32 exec_lo, exec_lo, s17
	s_and_saveexec_b32 s17, s2
	s_cbranch_execnz .LBB15_66
.LBB15_50:                              ;   in Loop: Header=BB15_47 Depth=1
	s_or_b32 exec_lo, exec_lo, s17
	s_and_saveexec_b32 s17, s3
	s_cbranch_execnz .LBB15_67
.LBB15_51:                              ;   in Loop: Header=BB15_47 Depth=1
	s_or_b32 exec_lo, exec_lo, s17
	s_and_saveexec_b32 s17, s4
	s_cbranch_execnz .LBB15_68
.LBB15_52:                              ;   in Loop: Header=BB15_47 Depth=1
	s_or_b32 exec_lo, exec_lo, s17
	s_and_saveexec_b32 s17, s5
	s_cbranch_execnz .LBB15_69
.LBB15_53:                              ;   in Loop: Header=BB15_47 Depth=1
	s_or_b32 exec_lo, exec_lo, s17
	s_and_saveexec_b32 s17, s6
	s_cbranch_execnz .LBB15_70
.LBB15_54:                              ;   in Loop: Header=BB15_47 Depth=1
	s_or_b32 exec_lo, exec_lo, s17
	s_and_saveexec_b32 s17, s7
	s_cbranch_execnz .LBB15_71
.LBB15_55:                              ;   in Loop: Header=BB15_47 Depth=1
	s_or_b32 exec_lo, exec_lo, s17
	s_and_saveexec_b32 s17, s8
	s_cbranch_execnz .LBB15_72
.LBB15_56:                              ;   in Loop: Header=BB15_47 Depth=1
	s_or_b32 exec_lo, exec_lo, s17
	s_and_saveexec_b32 s17, s9
	s_cbranch_execnz .LBB15_73
.LBB15_57:                              ;   in Loop: Header=BB15_47 Depth=1
	s_or_b32 exec_lo, exec_lo, s17
	s_and_saveexec_b32 s17, s10
	s_cbranch_execnz .LBB15_74
.LBB15_58:                              ;   in Loop: Header=BB15_47 Depth=1
	s_or_b32 exec_lo, exec_lo, s17
	s_and_saveexec_b32 s17, s11
	s_cbranch_execnz .LBB15_75
.LBB15_59:                              ;   in Loop: Header=BB15_47 Depth=1
	s_or_b32 exec_lo, exec_lo, s17
	s_and_saveexec_b32 s17, s12
	s_cbranch_execnz .LBB15_76
.LBB15_60:                              ;   in Loop: Header=BB15_47 Depth=1
	s_or_b32 exec_lo, exec_lo, s17
	s_and_saveexec_b32 s17, s13
	s_cbranch_execnz .LBB15_77
.LBB15_61:                              ;   in Loop: Header=BB15_47 Depth=1
	s_or_b32 exec_lo, exec_lo, s17
	s_and_saveexec_b32 s17, s14
	s_cbranch_execnz .LBB15_78
.LBB15_62:                              ;   in Loop: Header=BB15_47 Depth=1
	s_or_b32 exec_lo, exec_lo, s17
	s_and_saveexec_b32 s17, s15
	s_cbranch_execnz .LBB15_79
.LBB15_63:                              ;   in Loop: Header=BB15_47 Depth=1
	s_or_b32 exec_lo, exec_lo, s17
	s_and_saveexec_b32 s15, vcc_lo
	s_cbranch_execz .LBB15_46
	s_branch .LBB15_80
.LBB15_64:                              ;   in Loop: Header=BB15_47 Depth=1
	ds_load_b32 v10, v7 offset:32768
	s_waitcnt lgkmcnt(0)
	v_add_nc_u32_e32 v9, v10, v9
	s_or_b32 exec_lo, exec_lo, s17
	s_and_saveexec_b32 s17, s1
	s_cbranch_execz .LBB15_49
.LBB15_65:                              ;   in Loop: Header=BB15_47 Depth=1
	ds_load_b32 v10, v7 offset:32772
	s_waitcnt lgkmcnt(0)
	v_add_nc_u32_e32 v9, v10, v9
	s_or_b32 exec_lo, exec_lo, s17
	s_and_saveexec_b32 s17, s2
	s_cbranch_execz .LBB15_50
.LBB15_66:                              ;   in Loop: Header=BB15_47 Depth=1
	ds_load_b32 v10, v7 offset:32776
	s_waitcnt lgkmcnt(0)
	v_add_nc_u32_e32 v9, v10, v9
	s_or_b32 exec_lo, exec_lo, s17
	s_and_saveexec_b32 s17, s3
	s_cbranch_execz .LBB15_51
.LBB15_67:                              ;   in Loop: Header=BB15_47 Depth=1
	ds_load_b32 v10, v7 offset:32780
	s_waitcnt lgkmcnt(0)
	v_add_nc_u32_e32 v9, v10, v9
	s_or_b32 exec_lo, exec_lo, s17
	s_and_saveexec_b32 s17, s4
	s_cbranch_execz .LBB15_52
.LBB15_68:                              ;   in Loop: Header=BB15_47 Depth=1
	ds_load_b32 v10, v7 offset:32784
	s_waitcnt lgkmcnt(0)
	v_add_nc_u32_e32 v9, v10, v9
	s_or_b32 exec_lo, exec_lo, s17
	s_and_saveexec_b32 s17, s5
	s_cbranch_execz .LBB15_53
.LBB15_69:                              ;   in Loop: Header=BB15_47 Depth=1
	ds_load_b32 v10, v7 offset:32788
	s_waitcnt lgkmcnt(0)
	v_add_nc_u32_e32 v9, v10, v9
	s_or_b32 exec_lo, exec_lo, s17
	s_and_saveexec_b32 s17, s6
	s_cbranch_execz .LBB15_54
.LBB15_70:                              ;   in Loop: Header=BB15_47 Depth=1
	ds_load_b32 v10, v7 offset:32792
	s_waitcnt lgkmcnt(0)
	v_add_nc_u32_e32 v9, v10, v9
	s_or_b32 exec_lo, exec_lo, s17
	s_and_saveexec_b32 s17, s7
	s_cbranch_execz .LBB15_55
.LBB15_71:                              ;   in Loop: Header=BB15_47 Depth=1
	ds_load_b32 v10, v7 offset:32796
	s_waitcnt lgkmcnt(0)
	v_add_nc_u32_e32 v9, v10, v9
	s_or_b32 exec_lo, exec_lo, s17
	s_and_saveexec_b32 s17, s8
	s_cbranch_execz .LBB15_56
.LBB15_72:                              ;   in Loop: Header=BB15_47 Depth=1
	ds_load_b32 v10, v7 offset:32800
	s_waitcnt lgkmcnt(0)
	v_add_nc_u32_e32 v9, v10, v9
	s_or_b32 exec_lo, exec_lo, s17
	s_and_saveexec_b32 s17, s9
	s_cbranch_execz .LBB15_57
.LBB15_73:                              ;   in Loop: Header=BB15_47 Depth=1
	ds_load_b32 v10, v7 offset:32804
	s_waitcnt lgkmcnt(0)
	v_add_nc_u32_e32 v9, v10, v9
	s_or_b32 exec_lo, exec_lo, s17
	s_and_saveexec_b32 s17, s10
	s_cbranch_execz .LBB15_58
.LBB15_74:                              ;   in Loop: Header=BB15_47 Depth=1
	ds_load_b32 v10, v7 offset:32808
	s_waitcnt lgkmcnt(0)
	v_add_nc_u32_e32 v9, v10, v9
	s_or_b32 exec_lo, exec_lo, s17
	s_and_saveexec_b32 s17, s11
	s_cbranch_execz .LBB15_59
.LBB15_75:                              ;   in Loop: Header=BB15_47 Depth=1
	ds_load_b32 v10, v7 offset:32812
	s_waitcnt lgkmcnt(0)
	v_add_nc_u32_e32 v9, v10, v9
	s_or_b32 exec_lo, exec_lo, s17
	s_and_saveexec_b32 s17, s12
	s_cbranch_execz .LBB15_60
.LBB15_76:                              ;   in Loop: Header=BB15_47 Depth=1
	ds_load_b32 v10, v7 offset:32816
	s_waitcnt lgkmcnt(0)
	v_add_nc_u32_e32 v9, v10, v9
	s_or_b32 exec_lo, exec_lo, s17
	s_and_saveexec_b32 s17, s13
	s_cbranch_execz .LBB15_61
.LBB15_77:                              ;   in Loop: Header=BB15_47 Depth=1
	ds_load_b32 v10, v7 offset:32820
	s_waitcnt lgkmcnt(0)
	v_add_nc_u32_e32 v9, v10, v9
	s_or_b32 exec_lo, exec_lo, s17
	s_and_saveexec_b32 s17, s14
	s_cbranch_execz .LBB15_62
.LBB15_78:                              ;   in Loop: Header=BB15_47 Depth=1
	ds_load_b32 v10, v7 offset:32824
	s_waitcnt lgkmcnt(0)
	v_add_nc_u32_e32 v9, v10, v9
	s_or_b32 exec_lo, exec_lo, s17
	s_and_saveexec_b32 s17, s15
	s_cbranch_execz .LBB15_63
.LBB15_79:                              ;   in Loop: Header=BB15_47 Depth=1
	s_delay_alu instid0(VALU_DEP_1) | instskip(NEXT) | instid1(VALU_DEP_1)
	v_add3_u32 v10, v8, -1, v9
	v_lshl_add_u32 v10, v10, 2, 0
	ds_store_2addr_stride64_b32 v10, v2, v3 offset1:64
	s_or_b32 exec_lo, exec_lo, s17
	s_and_saveexec_b32 s15, vcc_lo
	s_cbranch_execz .LBB15_46
.LBB15_80:                              ;   in Loop: Header=BB15_47 Depth=1
	ds_store_b32 v7, v9 offset:32828
	s_branch .LBB15_46
.LBB15_81:
	s_or_b32 exec_lo, exec_lo, s16
	s_ashr_i32 s35, s34, 31
	s_mov_b32 s3, exec_lo
	s_lshl_b64 s[0:1], s[34:35], 2
	s_delay_alu instid0(SALU_CYCLE_1) | instskip(SKIP_4) | instid1(SALU_CYCLE_1)
	s_add_u32 s0, s22, s0
	s_addc_u32 s1, s23, s1
	s_load_b64 s[0:1], s[0:1], 0x0
	s_waitcnt lgkmcnt(0)
	s_sub_i32 s2, s1, s0
	v_cmpx_gt_i32_e64 s2, v0
	s_cbranch_execz .LBB15_91
; %bb.82:
	s_sub_i32 s3, s0, s26
	s_sub_i32 s0, s0, s1
	s_and_b32 s1, s2, 7
	s_cmp_lt_u32 s0, -7
	s_mov_b32 s7, 0
	s_cselect_b32 s4, -1, 0
	s_and_b32 s5, s2, -8
	s_cmp_lg_u32 s1, 0
	s_cselect_b32 s6, -1, 0
	s_branch .LBB15_84
.LBB15_83:                              ;   in Loop: Header=BB15_84 Depth=1
	s_delay_alu instid0(VALU_DEP_1) | instskip(SKIP_3) | instid1(VALU_DEP_3)
	v_ashrrev_i32_e32 v4, 31, v3
	v_add_nc_u32_e32 v0, 0x400, v0
	s_waitcnt lgkmcnt(0)
	v_add_nc_u32_e32 v1, s26, v1
	v_lshlrev_b64 v[3:4], 2, v[3:4]
	s_delay_alu instid0(VALU_DEP_3) | instskip(SKIP_1) | instid1(VALU_DEP_2)
	v_cmp_le_i32_e32 vcc_lo, s2, v0
	s_or_b32 s7, vcc_lo, s7
	v_add_co_u32 v5, s0, s28, v3
	s_delay_alu instid0(VALU_DEP_1) | instskip(SKIP_1) | instid1(VALU_DEP_1)
	v_add_co_ci_u32_e64 v6, s0, s29, v4, s0
	v_add_co_u32 v3, s0, s30, v3
	v_add_co_ci_u32_e64 v4, s0, s31, v4, s0
	global_store_b32 v[5:6], v1, off
	global_store_b32 v[3:4], v2, off
	s_and_not1_b32 exec_lo, exec_lo, s7
	s_cbranch_execz .LBB15_91
.LBB15_84:                              ; =>This Loop Header: Depth=1
                                        ;     Child Loop BB15_86 Depth 2
                                        ;     Child Loop BB15_90 Depth 2
	v_lshl_add_u32 v1, v0, 2, 0
	v_mov_b32_e32 v3, s3
	s_and_not1_b32 vcc_lo, exec_lo, s4
	s_mov_b32 s0, 0
	ds_load_2addr_stride64_b32 v[1:2], v1 offset1:64
	s_cbranch_vccnz .LBB15_88
; %bb.85:                               ;   in Loop: Header=BB15_84 Depth=1
	v_mov_b32_e32 v3, s3
	s_mov_b32 s8, 0
	s_set_inst_prefetch_distance 0x1
	.p2align	6
.LBB15_86:                              ;   Parent Loop BB15_84 Depth=1
                                        ; =>  This Inner Loop Header: Depth=2
	v_mov_b32_e32 v10, s8
	s_add_i32 s0, s0, 8
	s_add_i32 s8, s8, 32
	s_cmp_eq_u32 s5, s0
	ds_load_2addr_b32 v[4:5], v10 offset1:1
	ds_load_2addr_b32 v[6:7], v10 offset0:2 offset1:3
	ds_load_2addr_b32 v[8:9], v10 offset0:4 offset1:5
	;; [unrolled: 1-line block ×3, first 2 shown]
	s_waitcnt lgkmcnt(3)
	v_cmp_gt_i32_e32 vcc_lo, v1, v4
	v_cndmask_b32_e64 v4, 0, 1, vcc_lo
	s_waitcnt lgkmcnt(2)
	v_cmp_gt_i32_e32 vcc_lo, v1, v6
	v_cndmask_b32_e64 v6, 0, 1, vcc_lo
	v_cmp_gt_i32_e32 vcc_lo, v1, v5
	v_add_co_ci_u32_e32 v3, vcc_lo, v3, v4, vcc_lo
	s_waitcnt lgkmcnt(1)
	v_cmp_gt_i32_e32 vcc_lo, v1, v8
	v_cndmask_b32_e64 v4, 0, 1, vcc_lo
	v_cmp_gt_i32_e32 vcc_lo, v1, v7
	v_add_co_ci_u32_e32 v3, vcc_lo, v3, v6, vcc_lo
	;; [unrolled: 5-line block ×3, first 2 shown]
	v_cmp_gt_i32_e32 vcc_lo, v1, v11
	s_delay_alu instid0(VALU_DEP_2)
	v_add_co_ci_u32_e32 v3, vcc_lo, v3, v5, vcc_lo
	s_cbranch_scc0 .LBB15_86
; %bb.87:                               ;   in Loop: Header=BB15_84 Depth=1
	s_set_inst_prefetch_distance 0x2
	s_mov_b32 s0, s5
.LBB15_88:                              ;   in Loop: Header=BB15_84 Depth=1
	s_and_not1_b32 vcc_lo, exec_lo, s6
	s_cbranch_vccnz .LBB15_83
; %bb.89:                               ;   in Loop: Header=BB15_84 Depth=1
	s_lshl_b32 s0, s0, 2
	s_mov_b32 s8, s1
	s_add_i32 s0, s0, 0
.LBB15_90:                              ;   Parent Loop BB15_84 Depth=1
                                        ; =>  This Inner Loop Header: Depth=2
	s_delay_alu instid0(SALU_CYCLE_1)
	v_mov_b32_e32 v4, s0
	s_add_i32 s8, s8, -1
	s_add_i32 s0, s0, 4
	s_cmp_lg_u32 s8, 0
	ds_load_b32 v4, v4
	s_waitcnt lgkmcnt(0)
	v_cmp_gt_i32_e32 vcc_lo, v1, v4
	v_add_co_ci_u32_e32 v3, vcc_lo, 0, v3, vcc_lo
	s_cbranch_scc1 .LBB15_90
	s_branch .LBB15_83
.LBB15_91:
	s_nop 0
	s_sendmsg sendmsg(MSG_DEALLOC_VGPRS)
	s_endpgm
	.section	.rodata,"a",@progbits
	.p2align	6, 0x0
	.amdhsa_kernel _ZN9rocsparseL26csrgemm_fill_block_per_rowILj1024ELj64ELj4096ELj137ELj64EiifEEvT5_PKS1_S3_NS_24const_host_device_scalarIT6_EEPKT4_S3_PKS5_S9_S3_SB_S6_S9_S3_SB_S9_PS1_PS5_21rocsparse_index_base_SE_SE_SE_bbb
		.amdhsa_group_segment_fixed_size 0
		.amdhsa_private_segment_fixed_size 0
		.amdhsa_kernarg_size 156
		.amdhsa_user_sgpr_count 15
		.amdhsa_user_sgpr_dispatch_ptr 0
		.amdhsa_user_sgpr_queue_ptr 0
		.amdhsa_user_sgpr_kernarg_segment_ptr 1
		.amdhsa_user_sgpr_dispatch_id 0
		.amdhsa_user_sgpr_private_segment_size 0
		.amdhsa_wavefront_size32 1
		.amdhsa_uses_dynamic_stack 0
		.amdhsa_enable_private_segment 0
		.amdhsa_system_sgpr_workgroup_id_x 1
		.amdhsa_system_sgpr_workgroup_id_y 0
		.amdhsa_system_sgpr_workgroup_id_z 0
		.amdhsa_system_sgpr_workgroup_info 0
		.amdhsa_system_vgpr_workitem_id 0
		.amdhsa_next_free_vgpr 16
		.amdhsa_next_free_sgpr 44
		.amdhsa_reserve_vcc 1
		.amdhsa_float_round_mode_32 0
		.amdhsa_float_round_mode_16_64 0
		.amdhsa_float_denorm_mode_32 3
		.amdhsa_float_denorm_mode_16_64 3
		.amdhsa_dx10_clamp 1
		.amdhsa_ieee_mode 1
		.amdhsa_fp16_overflow 0
		.amdhsa_workgroup_processor_mode 1
		.amdhsa_memory_ordered 1
		.amdhsa_forward_progress 0
		.amdhsa_shared_vgpr_count 0
		.amdhsa_exception_fp_ieee_invalid_op 0
		.amdhsa_exception_fp_denorm_src 0
		.amdhsa_exception_fp_ieee_div_zero 0
		.amdhsa_exception_fp_ieee_overflow 0
		.amdhsa_exception_fp_ieee_underflow 0
		.amdhsa_exception_fp_ieee_inexact 0
		.amdhsa_exception_int_div_zero 0
	.end_amdhsa_kernel
	.section	.text._ZN9rocsparseL26csrgemm_fill_block_per_rowILj1024ELj64ELj4096ELj137ELj64EiifEEvT5_PKS1_S3_NS_24const_host_device_scalarIT6_EEPKT4_S3_PKS5_S9_S3_SB_S6_S9_S3_SB_S9_PS1_PS5_21rocsparse_index_base_SE_SE_SE_bbb,"axG",@progbits,_ZN9rocsparseL26csrgemm_fill_block_per_rowILj1024ELj64ELj4096ELj137ELj64EiifEEvT5_PKS1_S3_NS_24const_host_device_scalarIT6_EEPKT4_S3_PKS5_S9_S3_SB_S6_S9_S3_SB_S9_PS1_PS5_21rocsparse_index_base_SE_SE_SE_bbb,comdat
.Lfunc_end15:
	.size	_ZN9rocsparseL26csrgemm_fill_block_per_rowILj1024ELj64ELj4096ELj137ELj64EiifEEvT5_PKS1_S3_NS_24const_host_device_scalarIT6_EEPKT4_S3_PKS5_S9_S3_SB_S6_S9_S3_SB_S9_PS1_PS5_21rocsparse_index_base_SE_SE_SE_bbb, .Lfunc_end15-_ZN9rocsparseL26csrgemm_fill_block_per_rowILj1024ELj64ELj4096ELj137ELj64EiifEEvT5_PKS1_S3_NS_24const_host_device_scalarIT6_EEPKT4_S3_PKS5_S9_S3_SB_S6_S9_S3_SB_S9_PS1_PS5_21rocsparse_index_base_SE_SE_SE_bbb
                                        ; -- End function
	.section	.AMDGPU.csdata,"",@progbits
; Kernel info:
; codeLenInByte = 3040
; NumSgprs: 46
; NumVgprs: 16
; ScratchSize: 0
; MemoryBound: 0
; FloatMode: 240
; IeeeMode: 1
; LDSByteSize: 0 bytes/workgroup (compile time only)
; SGPRBlocks: 5
; VGPRBlocks: 1
; NumSGPRsForWavesPerEU: 46
; NumVGPRsForWavesPerEU: 16
; Occupancy: 16
; WaveLimiterHint : 1
; COMPUTE_PGM_RSRC2:SCRATCH_EN: 0
; COMPUTE_PGM_RSRC2:USER_SGPR: 15
; COMPUTE_PGM_RSRC2:TRAP_HANDLER: 0
; COMPUTE_PGM_RSRC2:TGID_X_EN: 1
; COMPUTE_PGM_RSRC2:TGID_Y_EN: 0
; COMPUTE_PGM_RSRC2:TGID_Z_EN: 0
; COMPUTE_PGM_RSRC2:TIDIG_COMP_CNT: 0
	.section	.text._ZN9rocsparseL26csrgemm_fill_block_per_rowILj1024ELj64ELj8192ELj137ELj32EiifEEvT5_PKS1_S3_NS_24const_host_device_scalarIT6_EEPKT4_S3_PKS5_S9_S3_SB_S6_S9_S3_SB_S9_PS1_PS5_21rocsparse_index_base_SE_SE_SE_bbb,"axG",@progbits,_ZN9rocsparseL26csrgemm_fill_block_per_rowILj1024ELj64ELj8192ELj137ELj32EiifEEvT5_PKS1_S3_NS_24const_host_device_scalarIT6_EEPKT4_S3_PKS5_S9_S3_SB_S6_S9_S3_SB_S9_PS1_PS5_21rocsparse_index_base_SE_SE_SE_bbb,comdat
	.globl	_ZN9rocsparseL26csrgemm_fill_block_per_rowILj1024ELj64ELj8192ELj137ELj32EiifEEvT5_PKS1_S3_NS_24const_host_device_scalarIT6_EEPKT4_S3_PKS5_S9_S3_SB_S6_S9_S3_SB_S9_PS1_PS5_21rocsparse_index_base_SE_SE_SE_bbb ; -- Begin function _ZN9rocsparseL26csrgemm_fill_block_per_rowILj1024ELj64ELj8192ELj137ELj32EiifEEvT5_PKS1_S3_NS_24const_host_device_scalarIT6_EEPKT4_S3_PKS5_S9_S3_SB_S6_S9_S3_SB_S9_PS1_PS5_21rocsparse_index_base_SE_SE_SE_bbb
	.p2align	8
	.type	_ZN9rocsparseL26csrgemm_fill_block_per_rowILj1024ELj64ELj8192ELj137ELj32EiifEEvT5_PKS1_S3_NS_24const_host_device_scalarIT6_EEPKT4_S3_PKS5_S9_S3_SB_S6_S9_S3_SB_S9_PS1_PS5_21rocsparse_index_base_SE_SE_SE_bbb,@function
_ZN9rocsparseL26csrgemm_fill_block_per_rowILj1024ELj64ELj8192ELj137ELj32EiifEEvT5_PKS1_S3_NS_24const_host_device_scalarIT6_EEPKT4_S3_PKS5_S9_S3_SB_S6_S9_S3_SB_S9_PS1_PS5_21rocsparse_index_base_SE_SE_SE_bbb: ; @_ZN9rocsparseL26csrgemm_fill_block_per_rowILj1024ELj64ELj8192ELj137ELj32EiifEEvT5_PKS1_S3_NS_24const_host_device_scalarIT6_EEPKT4_S3_PKS5_S9_S3_SB_S6_S9_S3_SB_S9_PS1_PS5_21rocsparse_index_base_SE_SE_SE_bbb
; %bb.0:
	s_clause 0x4
	s_load_b32 s11, s[0:1], 0x98
	s_load_b128 s[4:7], s[0:1], 0x8
	s_load_b64 s[8:9], s[0:1], 0x18
	s_load_b128 s[36:39], s[0:1], 0x88
	s_load_b64 s[2:3], s[0:1], 0x50
	s_waitcnt lgkmcnt(0)
	s_bitcmp1_b32 s11, 0
	s_cselect_b32 s10, -1, 0
	s_bitcmp1_b32 s11, 16
	s_cselect_b32 s13, -1, 0
	s_xor_b32 s12, s10, -1
	s_delay_alu instid0(SALU_CYCLE_1) | instskip(NEXT) | instid1(SALU_CYCLE_1)
	s_or_b32 s12, s12, s13
	s_and_b32 vcc_lo, exec_lo, s12
	s_cbranch_vccnz .LBB16_2
; %bb.1:
	s_load_b32 s8, s[8:9], 0x0
	s_waitcnt lgkmcnt(0)
	v_mov_b32_e32 v6, s8
	s_branch .LBB16_3
.LBB16_2:
	v_cndmask_b32_e64 v6, 0, s8, s10
.LBB16_3:
	s_bitcmp1_b32 s11, 8
	s_cselect_b32 s12, -1, 0
	s_delay_alu instid0(SALU_CYCLE_1) | instskip(NEXT) | instid1(SALU_CYCLE_1)
	s_xor_b32 s8, s12, -1
	s_or_b32 s8, s8, s13
	s_delay_alu instid0(SALU_CYCLE_1)
	s_and_b32 vcc_lo, exec_lo, s8
	s_cbranch_vccnz .LBB16_5
; %bb.4:
	s_load_b32 s2, s[2:3], 0x0
	s_waitcnt lgkmcnt(0)
	v_mov_b32_e32 v5, s2
	s_branch .LBB16_6
.LBB16_5:
	v_cndmask_b32_e64 v5, 0, s2, s12
.LBB16_6:
	s_load_b32 s33, s[0:1], 0x0
	v_dual_mov_b32 v2, 0 :: v_dual_lshlrev_b32 v1, 2, v0
	s_mov_b32 s3, 0
	s_delay_alu instid0(VALU_DEP_1)
	v_add3_u32 v3, 0, 0x8000, v1
	v_add_nc_u32_e32 v1, 0, v1
	ds_store_2addr_stride64_b32 v3, v2, v2 offset0:16 offset1:32
	ds_store_2addr_stride64_b32 v3, v2, v2 offset0:48 offset1:64
	;; [unrolled: 1-line block ×3, first 2 shown]
	s_waitcnt lgkmcnt(0)
	v_dual_mov_b32 v4, s33 :: v_dual_mov_b32 v7, s33
	v_dual_mov_b32 v8, s33 :: v_dual_mov_b32 v9, s33
	;; [unrolled: 1-line block ×4, first 2 shown]
	ds_store_b32 v1, v2 offset:32768
	ds_store_b32 v3, v2 offset:28672
	ds_store_2addr_stride64_b32 v1, v4, v7 offset1:16
	ds_store_2addr_stride64_b32 v1, v8, v9 offset0:32 offset1:48
	ds_store_2addr_stride64_b32 v1, v10, v11 offset0:64 offset1:80
	;; [unrolled: 1-line block ×3, first 2 shown]
	s_waitcnt lgkmcnt(0)
	s_barrier
	buffer_gl0_inv
	s_load_b32 s2, s[4:5], 0x0
	s_waitcnt lgkmcnt(0)
	s_add_i32 s2, s2, s15
	s_delay_alu instid0(SALU_CYCLE_1) | instskip(NEXT) | instid1(SALU_CYCLE_1)
	s_lshl_b64 s[2:3], s[2:3], 2
	s_add_u32 s2, s6, s2
	s_addc_u32 s3, s7, s3
	s_and_not1_b32 vcc_lo, exec_lo, s10
	s_load_b32 s34, s[2:3], 0x0
	s_cbranch_vccnz .LBB16_26
; %bb.7:
	s_load_b64 s[2:3], s[0:1], 0x20
	s_waitcnt lgkmcnt(0)
	s_ashr_i32 s35, s34, 31
	v_lshrrev_b32_e32 v1, 6, v0
	s_lshl_b64 s[4:5], s[34:35], 2
	s_mov_b32 s14, exec_lo
	s_delay_alu instid0(VALU_DEP_1)
	v_subrev_nc_u32_e32 v1, s36, v1
	s_add_u32 s2, s2, s4
	s_addc_u32 s3, s3, s5
	s_load_b64 s[2:3], s[2:3], 0x0
	s_waitcnt lgkmcnt(0)
	v_add_nc_u32_e32 v1, s2, v1
	s_sub_i32 s13, s3, s36
	s_delay_alu instid0(VALU_DEP_1) | instid1(SALU_CYCLE_1)
	v_cmpx_gt_i32_e64 s13, v1
	s_cbranch_execz .LBB16_25
; %bb.8:
	s_clause 0x1
	s_load_b64 s[2:3], s[0:1], 0x48
	s_load_b256 s[4:11], s[0:1], 0x28
	v_and_b32_e32 v2, 63, v0
	s_mov_b32 s15, 0
	s_delay_alu instid0(VALU_DEP_1)
	v_subrev_nc_u32_e32 v7, s37, v2
	s_branch .LBB16_10
.LBB16_9:                               ;   in Loop: Header=BB16_10 Depth=1
	s_or_b32 exec_lo, exec_lo, s16
	v_add_nc_u32_e32 v1, 16, v1
	s_delay_alu instid0(VALU_DEP_1) | instskip(SKIP_1) | instid1(SALU_CYCLE_1)
	v_cmp_le_i32_e32 vcc_lo, s13, v1
	s_or_b32 s15, vcc_lo, s15
	s_and_not1_b32 exec_lo, exec_lo, s15
	s_cbranch_execz .LBB16_25
.LBB16_10:                              ; =>This Loop Header: Depth=1
                                        ;     Child Loop BB16_13 Depth 2
                                        ;       Child Loop BB16_15 Depth 3
	v_ashrrev_i32_e32 v2, 31, v1
	s_mov_b32 s16, exec_lo
	s_delay_alu instid0(VALU_DEP_1) | instskip(SKIP_1) | instid1(VALU_DEP_1)
	v_lshlrev_b64 v[3:4], 2, v[1:2]
	s_waitcnt lgkmcnt(0)
	v_add_co_u32 v8, vcc_lo, s4, v3
	s_delay_alu instid0(VALU_DEP_2) | instskip(SKIP_3) | instid1(VALU_DEP_1)
	v_add_co_ci_u32_e32 v9, vcc_lo, s5, v4, vcc_lo
	global_load_b32 v2, v[8:9], off
	s_waitcnt vmcnt(0)
	v_subrev_nc_u32_e32 v8, s36, v2
	v_ashrrev_i32_e32 v9, 31, v8
	s_delay_alu instid0(VALU_DEP_1) | instskip(NEXT) | instid1(VALU_DEP_1)
	v_lshlrev_b64 v[8:9], 2, v[8:9]
	v_add_co_u32 v8, vcc_lo, s8, v8
	s_delay_alu instid0(VALU_DEP_2) | instskip(SKIP_4) | instid1(VALU_DEP_1)
	v_add_co_ci_u32_e32 v9, vcc_lo, s9, v9, vcc_lo
	global_load_b64 v[9:10], v[8:9], off
	s_waitcnt vmcnt(0)
	v_subrev_nc_u32_e32 v8, s37, v10
	v_add_nc_u32_e32 v2, v9, v7
	v_cmpx_lt_i32_e64 v2, v8
	s_cbranch_execz .LBB16_9
; %bb.11:                               ;   in Loop: Header=BB16_10 Depth=1
	v_add_co_u32 v3, vcc_lo, s6, v3
	v_add_co_ci_u32_e32 v4, vcc_lo, s7, v4, vcc_lo
	s_mov_b32 s17, 0
	global_load_b32 v3, v[3:4], off
	s_waitcnt vmcnt(0)
	v_mul_f32_e32 v4, v6, v3
	s_branch .LBB16_13
.LBB16_12:                              ;   in Loop: Header=BB16_13 Depth=2
	s_or_b32 exec_lo, exec_lo, s18
	v_add_nc_u32_e32 v2, 64, v2
	s_delay_alu instid0(VALU_DEP_1) | instskip(SKIP_1) | instid1(SALU_CYCLE_1)
	v_cmp_ge_i32_e32 vcc_lo, v2, v8
	s_or_b32 s17, vcc_lo, s17
	s_and_not1_b32 exec_lo, exec_lo, s17
	s_cbranch_execz .LBB16_9
.LBB16_13:                              ;   Parent Loop BB16_10 Depth=1
                                        ; =>  This Loop Header: Depth=2
                                        ;       Child Loop BB16_15 Depth 3
	v_ashrrev_i32_e32 v3, 31, v2
	s_mov_b32 s18, 0
	s_delay_alu instid0(VALU_DEP_1) | instskip(NEXT) | instid1(VALU_DEP_1)
	v_lshlrev_b64 v[9:10], 2, v[2:3]
	v_add_co_u32 v11, vcc_lo, s10, v9
	s_delay_alu instid0(VALU_DEP_2)
	v_add_co_ci_u32_e32 v12, vcc_lo, s11, v10, vcc_lo
	v_add_co_u32 v9, vcc_lo, s2, v9
	v_add_co_ci_u32_e32 v10, vcc_lo, s3, v10, vcc_lo
	global_load_b32 v3, v[11:12], off
	global_load_b32 v9, v[9:10], off
	s_waitcnt vmcnt(1)
	v_subrev_nc_u32_e32 v3, s37, v3
	s_delay_alu instid0(VALU_DEP_1) | instskip(SKIP_1) | instid1(VALU_DEP_1)
	v_mul_lo_u32 v10, 0x89, v3
	s_waitcnt vmcnt(0)
	v_dual_mul_f32 v9, v4, v9 :: v_dual_and_b32 v10, 0x1fff, v10
	s_branch .LBB16_15
.LBB16_14:                              ;   in Loop: Header=BB16_15 Depth=3
	s_or_b32 exec_lo, exec_lo, s19
	s_xor_b32 s19, s20, -1
	s_delay_alu instid0(SALU_CYCLE_1) | instskip(NEXT) | instid1(SALU_CYCLE_1)
	s_and_b32 s19, exec_lo, s19
	s_or_b32 s18, s19, s18
	s_delay_alu instid0(SALU_CYCLE_1)
	s_and_not1_b32 exec_lo, exec_lo, s18
	s_cbranch_execz .LBB16_12
.LBB16_15:                              ;   Parent Loop BB16_10 Depth=1
                                        ;     Parent Loop BB16_13 Depth=2
                                        ; =>    This Inner Loop Header: Depth=3
	s_delay_alu instid0(VALU_DEP_1)
	v_lshl_add_u32 v11, v10, 2, 0
	s_mov_b32 s19, exec_lo
                                        ; implicit-def: $sgpr20
	ds_load_b32 v12, v11
	s_waitcnt lgkmcnt(0)
	v_cmpx_ne_u32_e64 v12, v3
	s_xor_b32 s19, exec_lo, s19
	s_cbranch_execz .LBB16_23
; %bb.16:                               ;   in Loop: Header=BB16_15 Depth=3
	s_mov_b32 s21, exec_lo
                                        ; implicit-def: $sgpr20
	v_cmpx_ne_u32_e64 s33, v12
	s_xor_b32 s21, exec_lo, s21
; %bb.17:                               ;   in Loop: Header=BB16_15 Depth=3
	v_add_nc_u32_e32 v10, 1, v10
	s_mov_b32 s20, -1
                                        ; implicit-def: $vgpr11
	s_delay_alu instid0(VALU_DEP_1)
	v_and_b32_e32 v10, 0x1fff, v10
; %bb.18:                               ;   in Loop: Header=BB16_15 Depth=3
	s_and_not1_saveexec_b32 s21, s21
	s_cbranch_execz .LBB16_22
; %bb.19:                               ;   in Loop: Header=BB16_15 Depth=3
	v_mov_b32_e32 v12, s33
	s_mov_b32 s22, -1
	s_mov_b32 s23, exec_lo
	ds_cmpstore_rtn_b32 v12, v11, v3, v12
	s_waitcnt lgkmcnt(0)
	v_cmpx_eq_u32_e64 s33, v12
	s_cbranch_execz .LBB16_21
; %bb.20:                               ;   in Loop: Header=BB16_15 Depth=3
	ds_add_f32 v11, v9 offset:32768
	s_xor_b32 s22, exec_lo, -1
.LBB16_21:                              ;   in Loop: Header=BB16_15 Depth=3
	s_or_b32 exec_lo, exec_lo, s23
	s_delay_alu instid0(SALU_CYCLE_1) | instskip(SKIP_1) | instid1(SALU_CYCLE_1)
	s_and_not1_b32 s20, s20, exec_lo
	s_and_b32 s22, s22, exec_lo
	s_or_b32 s20, s20, s22
.LBB16_22:                              ;   in Loop: Header=BB16_15 Depth=3
	s_or_b32 exec_lo, exec_lo, s21
	s_delay_alu instid0(SALU_CYCLE_1)
	s_and_b32 s20, s20, exec_lo
                                        ; implicit-def: $vgpr11
.LBB16_23:                              ;   in Loop: Header=BB16_15 Depth=3
	s_and_not1_saveexec_b32 s19, s19
	s_cbranch_execz .LBB16_14
; %bb.24:                               ;   in Loop: Header=BB16_15 Depth=3
	ds_add_f32 v11, v9 offset:32768
	s_and_not1_b32 s20, s20, exec_lo
	s_branch .LBB16_14
.LBB16_25:
	s_or_b32 exec_lo, exec_lo, s14
.LBB16_26:
	s_clause 0x1
	s_load_b64 s[36:37], s[0:1], 0x80
	s_load_b128 s[40:43], s[0:1], 0x70
	s_and_not1_b32 vcc_lo, exec_lo, s12
	s_cbranch_vccnz .LBB16_43
; %bb.27:
	s_load_b64 s[2:3], s[0:1], 0x58
	s_waitcnt lgkmcnt(0)
	s_ashr_i32 s35, s34, 31
	v_subrev_nc_u32_e32 v1, s39, v0
	s_lshl_b64 s[4:5], s[34:35], 2
	s_delay_alu instid0(SALU_CYCLE_1)
	s_add_u32 s2, s2, s4
	s_addc_u32 s3, s3, s5
	s_mov_b32 s5, exec_lo
	s_load_b64 s[2:3], s[2:3], 0x0
	s_waitcnt lgkmcnt(0)
	v_add_nc_u32_e32 v1, s2, v1
	s_sub_i32 s4, s3, s39
	s_delay_alu instid0(VALU_DEP_1) | instid1(SALU_CYCLE_1)
	v_cmpx_gt_i32_e64 s4, v1
	s_cbranch_execz .LBB16_42
; %bb.28:
	s_load_b128 s[0:3], s[0:1], 0x60
	s_mov_b32 s6, 0
	s_branch .LBB16_30
.LBB16_29:                              ;   in Loop: Header=BB16_30 Depth=1
	s_or_b32 exec_lo, exec_lo, s7
	v_add_nc_u32_e32 v1, 0x400, v1
	s_delay_alu instid0(VALU_DEP_1) | instskip(SKIP_1) | instid1(SALU_CYCLE_1)
	v_cmp_le_i32_e32 vcc_lo, s4, v1
	s_or_b32 s6, vcc_lo, s6
	s_and_not1_b32 exec_lo, exec_lo, s6
	s_cbranch_execz .LBB16_42
.LBB16_30:                              ; =>This Loop Header: Depth=1
                                        ;     Child Loop BB16_32 Depth 2
	v_ashrrev_i32_e32 v2, 31, v1
	s_mov_b32 s7, 0
	s_delay_alu instid0(VALU_DEP_1) | instskip(SKIP_1) | instid1(VALU_DEP_1)
	v_lshlrev_b64 v[2:3], 2, v[1:2]
	s_waitcnt lgkmcnt(0)
	v_add_co_u32 v6, vcc_lo, s0, v2
	s_delay_alu instid0(VALU_DEP_2)
	v_add_co_ci_u32_e32 v7, vcc_lo, s1, v3, vcc_lo
	v_add_co_u32 v2, vcc_lo, s2, v2
	v_add_co_ci_u32_e32 v3, vcc_lo, s3, v3, vcc_lo
	global_load_b32 v4, v[6:7], off
	global_load_b32 v3, v[2:3], off
	s_waitcnt vmcnt(1)
	v_subrev_nc_u32_e32 v2, s39, v4
	s_delay_alu instid0(VALU_DEP_1) | instskip(SKIP_1) | instid1(VALU_DEP_1)
	v_mul_lo_u32 v4, 0x89, v2
	s_waitcnt vmcnt(0)
	v_dual_mul_f32 v3, v5, v3 :: v_dual_and_b32 v4, 0x1fff, v4
	s_branch .LBB16_32
.LBB16_31:                              ;   in Loop: Header=BB16_32 Depth=2
	s_or_b32 exec_lo, exec_lo, s8
	s_xor_b32 s8, s9, -1
	s_delay_alu instid0(SALU_CYCLE_1) | instskip(NEXT) | instid1(SALU_CYCLE_1)
	s_and_b32 s8, exec_lo, s8
	s_or_b32 s7, s8, s7
	s_delay_alu instid0(SALU_CYCLE_1)
	s_and_not1_b32 exec_lo, exec_lo, s7
	s_cbranch_execz .LBB16_29
.LBB16_32:                              ;   Parent Loop BB16_30 Depth=1
                                        ; =>  This Inner Loop Header: Depth=2
	s_delay_alu instid0(VALU_DEP_1)
	v_lshl_add_u32 v6, v4, 2, 0
	s_mov_b32 s8, exec_lo
                                        ; implicit-def: $sgpr9
	ds_load_b32 v7, v6
	s_waitcnt lgkmcnt(0)
	v_cmpx_ne_u32_e64 v7, v2
	s_xor_b32 s8, exec_lo, s8
	s_cbranch_execz .LBB16_40
; %bb.33:                               ;   in Loop: Header=BB16_32 Depth=2
	s_mov_b32 s10, exec_lo
                                        ; implicit-def: $sgpr9
	v_cmpx_ne_u32_e64 s33, v7
	s_xor_b32 s10, exec_lo, s10
; %bb.34:                               ;   in Loop: Header=BB16_32 Depth=2
	v_add_nc_u32_e32 v4, 1, v4
	s_mov_b32 s9, -1
                                        ; implicit-def: $vgpr6
	s_delay_alu instid0(VALU_DEP_1)
	v_and_b32_e32 v4, 0x1fff, v4
; %bb.35:                               ;   in Loop: Header=BB16_32 Depth=2
	s_and_not1_saveexec_b32 s10, s10
	s_cbranch_execz .LBB16_39
; %bb.36:                               ;   in Loop: Header=BB16_32 Depth=2
	v_mov_b32_e32 v7, s33
	s_mov_b32 s11, -1
	s_mov_b32 s12, exec_lo
	ds_cmpstore_rtn_b32 v7, v6, v2, v7
	s_waitcnt lgkmcnt(0)
	v_cmpx_eq_u32_e64 s33, v7
	s_cbranch_execz .LBB16_38
; %bb.37:                               ;   in Loop: Header=BB16_32 Depth=2
	ds_add_f32 v6, v3 offset:32768
	s_xor_b32 s11, exec_lo, -1
.LBB16_38:                              ;   in Loop: Header=BB16_32 Depth=2
	s_or_b32 exec_lo, exec_lo, s12
	s_delay_alu instid0(SALU_CYCLE_1) | instskip(SKIP_1) | instid1(SALU_CYCLE_1)
	s_and_not1_b32 s9, s9, exec_lo
	s_and_b32 s11, s11, exec_lo
	s_or_b32 s9, s9, s11
.LBB16_39:                              ;   in Loop: Header=BB16_32 Depth=2
	s_or_b32 exec_lo, exec_lo, s10
	s_delay_alu instid0(SALU_CYCLE_1)
	s_and_b32 s9, s9, exec_lo
                                        ; implicit-def: $vgpr6
.LBB16_40:                              ;   in Loop: Header=BB16_32 Depth=2
	s_and_not1_saveexec_b32 s8, s8
	s_cbranch_execz .LBB16_31
; %bb.41:                               ;   in Loop: Header=BB16_32 Depth=2
	ds_add_f32 v6, v3 offset:32768
	s_and_not1_b32 s9, s9, exec_lo
	s_branch .LBB16_31
.LBB16_42:
	s_or_b32 exec_lo, exec_lo, s5
.LBB16_43:
	v_mbcnt_lo_u32_b32 v1, -1, 0
	v_lshrrev_b32_e32 v2, 3, v0
	s_add_i32 s70, 0, 0x1007c
	v_cmp_eq_u32_e32 vcc_lo, 0x3ff, v0
	v_cmp_lt_u32_e64 s0, 31, v0
	v_xor_b32_e32 v1, 63, v1
	v_dual_mov_b32 v8, s70 :: v_dual_and_b32 v3, 0x7c, v2
	v_cmp_lt_u32_e64 s1, 63, v0
	v_cmp_lt_u32_e64 s2, 0x5f, v0
	s_delay_alu instid0(VALU_DEP_4) | instskip(NEXT) | instid1(VALU_DEP_4)
	v_lshrrev_b64 v[1:2], v1, -1
	v_add3_u32 v4, 0, 0x10000, v3
	v_cmp_lt_u32_e64 s3, 0x7f, v0
	v_cmp_lt_u32_e64 s4, 0x9f, v0
	;; [unrolled: 1-line block ×28, first 2 shown]
	v_or_b32_e32 v5, 0xfffffc00, v0
	v_lshl_add_u32 v6, v0, 2, 0
	v_mov_b32_e32 v7, 0
	s_mov_b32 s35, 0
	s_add_i32 s39, 0, 0x10000
	s_add_i32 s44, 0, 0x10004
	;; [unrolled: 1-line block ×31, first 2 shown]
	s_waitcnt lgkmcnt(0)
	s_barrier
	buffer_gl0_inv
	s_branch .LBB16_45
.LBB16_44:                              ;   in Loop: Header=BB16_45 Depth=1
	s_or_b32 exec_lo, exec_lo, s31
	s_waitcnt lgkmcnt(0)
	s_barrier
	buffer_gl0_inv
	ds_load_b32 v2, v8
	v_add_nc_u32_e32 v5, 0x400, v5
	v_add_nc_u32_e32 v6, 0x1000, v6
	s_delay_alu instid0(VALU_DEP_2) | instskip(NEXT) | instid1(VALU_DEP_1)
	v_cmp_lt_u32_e64 s31, 0x1bff, v5
	s_or_b32 s35, s31, s35
	s_waitcnt lgkmcnt(0)
	v_add_nc_u32_e32 v7, v2, v7
	s_and_not1_b32 exec_lo, exec_lo, s35
	s_cbranch_execz .LBB16_111
.LBB16_45:                              ; =>This Inner Loop Header: Depth=1
	ds_load_2addr_stride64_b32 v[2:3], v6 offset1:128
	s_waitcnt lgkmcnt(0)
	s_barrier
	buffer_gl0_inv
	v_cmp_gt_i32_e64 s31, s33, v2
	s_delay_alu instid0(VALU_DEP_1) | instskip(NEXT) | instid1(SALU_CYCLE_1)
	s_bcnt1_i32_b32 s75, s31
	v_dual_mov_b32 v10, s75 :: v_dual_and_b32 v9, s31, v1
	s_delay_alu instid0(VALU_DEP_1)
	v_bcnt_u32_b32 v9, v9, 0
	ds_store_b32 v4, v10
	s_waitcnt lgkmcnt(0)
	s_barrier
	buffer_gl0_inv
	s_and_saveexec_b32 s75, s0
	s_cbranch_execnz .LBB16_78
; %bb.46:                               ;   in Loop: Header=BB16_45 Depth=1
	s_or_b32 exec_lo, exec_lo, s75
	s_and_saveexec_b32 s75, s1
	s_cbranch_execnz .LBB16_79
.LBB16_47:                              ;   in Loop: Header=BB16_45 Depth=1
	s_or_b32 exec_lo, exec_lo, s75
	s_and_saveexec_b32 s75, s2
	s_cbranch_execnz .LBB16_80
.LBB16_48:                              ;   in Loop: Header=BB16_45 Depth=1
	s_or_b32 exec_lo, exec_lo, s75
	s_and_saveexec_b32 s75, s3
	s_cbranch_execnz .LBB16_81
.LBB16_49:                              ;   in Loop: Header=BB16_45 Depth=1
	s_or_b32 exec_lo, exec_lo, s75
	s_and_saveexec_b32 s75, s4
	s_cbranch_execnz .LBB16_82
.LBB16_50:                              ;   in Loop: Header=BB16_45 Depth=1
	s_or_b32 exec_lo, exec_lo, s75
	s_and_saveexec_b32 s75, s5
	s_cbranch_execnz .LBB16_83
.LBB16_51:                              ;   in Loop: Header=BB16_45 Depth=1
	s_or_b32 exec_lo, exec_lo, s75
	s_and_saveexec_b32 s75, s6
	s_cbranch_execnz .LBB16_84
.LBB16_52:                              ;   in Loop: Header=BB16_45 Depth=1
	s_or_b32 exec_lo, exec_lo, s75
	s_and_saveexec_b32 s75, s7
	s_cbranch_execnz .LBB16_85
.LBB16_53:                              ;   in Loop: Header=BB16_45 Depth=1
	s_or_b32 exec_lo, exec_lo, s75
	s_and_saveexec_b32 s75, s8
	s_cbranch_execnz .LBB16_86
.LBB16_54:                              ;   in Loop: Header=BB16_45 Depth=1
	s_or_b32 exec_lo, exec_lo, s75
	s_and_saveexec_b32 s75, s9
	s_cbranch_execnz .LBB16_87
.LBB16_55:                              ;   in Loop: Header=BB16_45 Depth=1
	s_or_b32 exec_lo, exec_lo, s75
	s_and_saveexec_b32 s75, s10
	s_cbranch_execnz .LBB16_88
.LBB16_56:                              ;   in Loop: Header=BB16_45 Depth=1
	s_or_b32 exec_lo, exec_lo, s75
	s_and_saveexec_b32 s75, s11
	s_cbranch_execnz .LBB16_89
.LBB16_57:                              ;   in Loop: Header=BB16_45 Depth=1
	s_or_b32 exec_lo, exec_lo, s75
	s_and_saveexec_b32 s75, s12
	s_cbranch_execnz .LBB16_90
.LBB16_58:                              ;   in Loop: Header=BB16_45 Depth=1
	s_or_b32 exec_lo, exec_lo, s75
	s_and_saveexec_b32 s75, s13
	s_cbranch_execnz .LBB16_91
.LBB16_59:                              ;   in Loop: Header=BB16_45 Depth=1
	s_or_b32 exec_lo, exec_lo, s75
	s_and_saveexec_b32 s75, s14
	s_cbranch_execnz .LBB16_92
.LBB16_60:                              ;   in Loop: Header=BB16_45 Depth=1
	s_or_b32 exec_lo, exec_lo, s75
	s_and_saveexec_b32 s75, s15
	s_cbranch_execnz .LBB16_93
.LBB16_61:                              ;   in Loop: Header=BB16_45 Depth=1
	s_or_b32 exec_lo, exec_lo, s75
	s_and_saveexec_b32 s75, s16
	s_cbranch_execnz .LBB16_94
.LBB16_62:                              ;   in Loop: Header=BB16_45 Depth=1
	s_or_b32 exec_lo, exec_lo, s75
	s_and_saveexec_b32 s75, s17
	s_cbranch_execnz .LBB16_95
.LBB16_63:                              ;   in Loop: Header=BB16_45 Depth=1
	s_or_b32 exec_lo, exec_lo, s75
	s_and_saveexec_b32 s75, s18
	s_cbranch_execnz .LBB16_96
.LBB16_64:                              ;   in Loop: Header=BB16_45 Depth=1
	s_or_b32 exec_lo, exec_lo, s75
	s_and_saveexec_b32 s75, s19
	s_cbranch_execnz .LBB16_97
.LBB16_65:                              ;   in Loop: Header=BB16_45 Depth=1
	s_or_b32 exec_lo, exec_lo, s75
	s_and_saveexec_b32 s75, s20
	s_cbranch_execnz .LBB16_98
.LBB16_66:                              ;   in Loop: Header=BB16_45 Depth=1
	s_or_b32 exec_lo, exec_lo, s75
	s_and_saveexec_b32 s75, s21
	s_cbranch_execnz .LBB16_99
.LBB16_67:                              ;   in Loop: Header=BB16_45 Depth=1
	s_or_b32 exec_lo, exec_lo, s75
	s_and_saveexec_b32 s75, s22
	s_cbranch_execnz .LBB16_100
.LBB16_68:                              ;   in Loop: Header=BB16_45 Depth=1
	s_or_b32 exec_lo, exec_lo, s75
	s_and_saveexec_b32 s75, s23
	s_cbranch_execnz .LBB16_101
.LBB16_69:                              ;   in Loop: Header=BB16_45 Depth=1
	s_or_b32 exec_lo, exec_lo, s75
	s_and_saveexec_b32 s75, s24
	s_cbranch_execnz .LBB16_102
.LBB16_70:                              ;   in Loop: Header=BB16_45 Depth=1
	s_or_b32 exec_lo, exec_lo, s75
	s_and_saveexec_b32 s75, s25
	s_cbranch_execnz .LBB16_103
.LBB16_71:                              ;   in Loop: Header=BB16_45 Depth=1
	s_or_b32 exec_lo, exec_lo, s75
	s_and_saveexec_b32 s75, s26
	s_cbranch_execnz .LBB16_104
.LBB16_72:                              ;   in Loop: Header=BB16_45 Depth=1
	s_or_b32 exec_lo, exec_lo, s75
	s_and_saveexec_b32 s75, s27
	s_cbranch_execnz .LBB16_105
.LBB16_73:                              ;   in Loop: Header=BB16_45 Depth=1
	s_or_b32 exec_lo, exec_lo, s75
	s_and_saveexec_b32 s75, s28
	s_cbranch_execnz .LBB16_106
.LBB16_74:                              ;   in Loop: Header=BB16_45 Depth=1
	s_or_b32 exec_lo, exec_lo, s75
	s_and_saveexec_b32 s75, s29
	s_cbranch_execnz .LBB16_107
.LBB16_75:                              ;   in Loop: Header=BB16_45 Depth=1
	s_or_b32 exec_lo, exec_lo, s75
	s_and_saveexec_b32 s75, s30
	s_cbranch_execnz .LBB16_108
.LBB16_76:                              ;   in Loop: Header=BB16_45 Depth=1
	s_or_b32 exec_lo, exec_lo, s75
	s_and_saveexec_b32 s75, s31
	s_cbranch_execnz .LBB16_109
.LBB16_77:                              ;   in Loop: Header=BB16_45 Depth=1
	s_or_b32 exec_lo, exec_lo, s75
	s_and_saveexec_b32 s31, vcc_lo
	s_cbranch_execz .LBB16_44
	s_branch .LBB16_110
.LBB16_78:                              ;   in Loop: Header=BB16_45 Depth=1
	v_mov_b32_e32 v10, s39
	ds_load_b32 v10, v10
	s_waitcnt lgkmcnt(0)
	v_add_nc_u32_e32 v9, v10, v9
	s_or_b32 exec_lo, exec_lo, s75
	s_and_saveexec_b32 s75, s1
	s_cbranch_execz .LBB16_47
.LBB16_79:                              ;   in Loop: Header=BB16_45 Depth=1
	v_mov_b32_e32 v10, s44
	ds_load_b32 v10, v10
	s_waitcnt lgkmcnt(0)
	v_add_nc_u32_e32 v9, v10, v9
	s_or_b32 exec_lo, exec_lo, s75
	s_and_saveexec_b32 s75, s2
	s_cbranch_execz .LBB16_48
.LBB16_80:                              ;   in Loop: Header=BB16_45 Depth=1
	v_mov_b32_e32 v10, s45
	ds_load_b32 v10, v10
	s_waitcnt lgkmcnt(0)
	v_add_nc_u32_e32 v9, v10, v9
	s_or_b32 exec_lo, exec_lo, s75
	s_and_saveexec_b32 s75, s3
	s_cbranch_execz .LBB16_49
.LBB16_81:                              ;   in Loop: Header=BB16_45 Depth=1
	v_mov_b32_e32 v10, s46
	ds_load_b32 v10, v10
	s_waitcnt lgkmcnt(0)
	v_add_nc_u32_e32 v9, v10, v9
	s_or_b32 exec_lo, exec_lo, s75
	s_and_saveexec_b32 s75, s4
	s_cbranch_execz .LBB16_50
.LBB16_82:                              ;   in Loop: Header=BB16_45 Depth=1
	v_mov_b32_e32 v10, s47
	ds_load_b32 v10, v10
	s_waitcnt lgkmcnt(0)
	v_add_nc_u32_e32 v9, v10, v9
	s_or_b32 exec_lo, exec_lo, s75
	s_and_saveexec_b32 s75, s5
	s_cbranch_execz .LBB16_51
.LBB16_83:                              ;   in Loop: Header=BB16_45 Depth=1
	v_mov_b32_e32 v10, s48
	ds_load_b32 v10, v10
	s_waitcnt lgkmcnt(0)
	v_add_nc_u32_e32 v9, v10, v9
	s_or_b32 exec_lo, exec_lo, s75
	s_and_saveexec_b32 s75, s6
	s_cbranch_execz .LBB16_52
.LBB16_84:                              ;   in Loop: Header=BB16_45 Depth=1
	v_mov_b32_e32 v10, s49
	ds_load_b32 v10, v10
	s_waitcnt lgkmcnt(0)
	v_add_nc_u32_e32 v9, v10, v9
	s_or_b32 exec_lo, exec_lo, s75
	s_and_saveexec_b32 s75, s7
	s_cbranch_execz .LBB16_53
.LBB16_85:                              ;   in Loop: Header=BB16_45 Depth=1
	v_mov_b32_e32 v10, s50
	ds_load_b32 v10, v10
	s_waitcnt lgkmcnt(0)
	v_add_nc_u32_e32 v9, v10, v9
	s_or_b32 exec_lo, exec_lo, s75
	s_and_saveexec_b32 s75, s8
	s_cbranch_execz .LBB16_54
.LBB16_86:                              ;   in Loop: Header=BB16_45 Depth=1
	v_mov_b32_e32 v10, s51
	ds_load_b32 v10, v10
	s_waitcnt lgkmcnt(0)
	v_add_nc_u32_e32 v9, v10, v9
	s_or_b32 exec_lo, exec_lo, s75
	s_and_saveexec_b32 s75, s9
	s_cbranch_execz .LBB16_55
.LBB16_87:                              ;   in Loop: Header=BB16_45 Depth=1
	v_mov_b32_e32 v10, s52
	ds_load_b32 v10, v10
	s_waitcnt lgkmcnt(0)
	v_add_nc_u32_e32 v9, v10, v9
	s_or_b32 exec_lo, exec_lo, s75
	s_and_saveexec_b32 s75, s10
	s_cbranch_execz .LBB16_56
.LBB16_88:                              ;   in Loop: Header=BB16_45 Depth=1
	v_mov_b32_e32 v10, s53
	ds_load_b32 v10, v10
	s_waitcnt lgkmcnt(0)
	v_add_nc_u32_e32 v9, v10, v9
	s_or_b32 exec_lo, exec_lo, s75
	s_and_saveexec_b32 s75, s11
	s_cbranch_execz .LBB16_57
.LBB16_89:                              ;   in Loop: Header=BB16_45 Depth=1
	v_mov_b32_e32 v10, s54
	ds_load_b32 v10, v10
	s_waitcnt lgkmcnt(0)
	v_add_nc_u32_e32 v9, v10, v9
	s_or_b32 exec_lo, exec_lo, s75
	s_and_saveexec_b32 s75, s12
	s_cbranch_execz .LBB16_58
.LBB16_90:                              ;   in Loop: Header=BB16_45 Depth=1
	v_mov_b32_e32 v10, s55
	ds_load_b32 v10, v10
	s_waitcnt lgkmcnt(0)
	v_add_nc_u32_e32 v9, v10, v9
	s_or_b32 exec_lo, exec_lo, s75
	s_and_saveexec_b32 s75, s13
	s_cbranch_execz .LBB16_59
.LBB16_91:                              ;   in Loop: Header=BB16_45 Depth=1
	v_mov_b32_e32 v10, s56
	ds_load_b32 v10, v10
	s_waitcnt lgkmcnt(0)
	v_add_nc_u32_e32 v9, v10, v9
	s_or_b32 exec_lo, exec_lo, s75
	s_and_saveexec_b32 s75, s14
	s_cbranch_execz .LBB16_60
.LBB16_92:                              ;   in Loop: Header=BB16_45 Depth=1
	v_mov_b32_e32 v10, s57
	ds_load_b32 v10, v10
	s_waitcnt lgkmcnt(0)
	v_add_nc_u32_e32 v9, v10, v9
	s_or_b32 exec_lo, exec_lo, s75
	s_and_saveexec_b32 s75, s15
	s_cbranch_execz .LBB16_61
.LBB16_93:                              ;   in Loop: Header=BB16_45 Depth=1
	v_mov_b32_e32 v10, s58
	ds_load_b32 v10, v10
	s_waitcnt lgkmcnt(0)
	v_add_nc_u32_e32 v9, v10, v9
	s_or_b32 exec_lo, exec_lo, s75
	s_and_saveexec_b32 s75, s16
	s_cbranch_execz .LBB16_62
.LBB16_94:                              ;   in Loop: Header=BB16_45 Depth=1
	v_mov_b32_e32 v10, s59
	ds_load_b32 v10, v10
	s_waitcnt lgkmcnt(0)
	v_add_nc_u32_e32 v9, v10, v9
	s_or_b32 exec_lo, exec_lo, s75
	s_and_saveexec_b32 s75, s17
	s_cbranch_execz .LBB16_63
.LBB16_95:                              ;   in Loop: Header=BB16_45 Depth=1
	v_mov_b32_e32 v10, s60
	ds_load_b32 v10, v10
	s_waitcnt lgkmcnt(0)
	v_add_nc_u32_e32 v9, v10, v9
	s_or_b32 exec_lo, exec_lo, s75
	s_and_saveexec_b32 s75, s18
	s_cbranch_execz .LBB16_64
.LBB16_96:                              ;   in Loop: Header=BB16_45 Depth=1
	v_mov_b32_e32 v10, s61
	ds_load_b32 v10, v10
	s_waitcnt lgkmcnt(0)
	v_add_nc_u32_e32 v9, v10, v9
	s_or_b32 exec_lo, exec_lo, s75
	s_and_saveexec_b32 s75, s19
	s_cbranch_execz .LBB16_65
.LBB16_97:                              ;   in Loop: Header=BB16_45 Depth=1
	v_mov_b32_e32 v10, s62
	ds_load_b32 v10, v10
	s_waitcnt lgkmcnt(0)
	v_add_nc_u32_e32 v9, v10, v9
	s_or_b32 exec_lo, exec_lo, s75
	s_and_saveexec_b32 s75, s20
	s_cbranch_execz .LBB16_66
.LBB16_98:                              ;   in Loop: Header=BB16_45 Depth=1
	v_mov_b32_e32 v10, s63
	ds_load_b32 v10, v10
	s_waitcnt lgkmcnt(0)
	v_add_nc_u32_e32 v9, v10, v9
	s_or_b32 exec_lo, exec_lo, s75
	s_and_saveexec_b32 s75, s21
	s_cbranch_execz .LBB16_67
.LBB16_99:                              ;   in Loop: Header=BB16_45 Depth=1
	v_mov_b32_e32 v10, s64
	ds_load_b32 v10, v10
	s_waitcnt lgkmcnt(0)
	v_add_nc_u32_e32 v9, v10, v9
	s_or_b32 exec_lo, exec_lo, s75
	s_and_saveexec_b32 s75, s22
	s_cbranch_execz .LBB16_68
.LBB16_100:                             ;   in Loop: Header=BB16_45 Depth=1
	v_mov_b32_e32 v10, s65
	ds_load_b32 v10, v10
	s_waitcnt lgkmcnt(0)
	v_add_nc_u32_e32 v9, v10, v9
	s_or_b32 exec_lo, exec_lo, s75
	s_and_saveexec_b32 s75, s23
	s_cbranch_execz .LBB16_69
.LBB16_101:                             ;   in Loop: Header=BB16_45 Depth=1
	v_mov_b32_e32 v10, s66
	ds_load_b32 v10, v10
	s_waitcnt lgkmcnt(0)
	v_add_nc_u32_e32 v9, v10, v9
	s_or_b32 exec_lo, exec_lo, s75
	s_and_saveexec_b32 s75, s24
	s_cbranch_execz .LBB16_70
.LBB16_102:                             ;   in Loop: Header=BB16_45 Depth=1
	v_mov_b32_e32 v10, s67
	ds_load_b32 v10, v10
	s_waitcnt lgkmcnt(0)
	v_add_nc_u32_e32 v9, v10, v9
	s_or_b32 exec_lo, exec_lo, s75
	s_and_saveexec_b32 s75, s25
	s_cbranch_execz .LBB16_71
.LBB16_103:                             ;   in Loop: Header=BB16_45 Depth=1
	v_mov_b32_e32 v10, s68
	ds_load_b32 v10, v10
	s_waitcnt lgkmcnt(0)
	v_add_nc_u32_e32 v9, v10, v9
	s_or_b32 exec_lo, exec_lo, s75
	s_and_saveexec_b32 s75, s26
	s_cbranch_execz .LBB16_72
.LBB16_104:                             ;   in Loop: Header=BB16_45 Depth=1
	v_mov_b32_e32 v10, s69
	ds_load_b32 v10, v10
	s_waitcnt lgkmcnt(0)
	v_add_nc_u32_e32 v9, v10, v9
	s_or_b32 exec_lo, exec_lo, s75
	s_and_saveexec_b32 s75, s27
	s_cbranch_execz .LBB16_73
.LBB16_105:                             ;   in Loop: Header=BB16_45 Depth=1
	v_mov_b32_e32 v10, s71
	ds_load_b32 v10, v10
	s_waitcnt lgkmcnt(0)
	v_add_nc_u32_e32 v9, v10, v9
	s_or_b32 exec_lo, exec_lo, s75
	s_and_saveexec_b32 s75, s28
	s_cbranch_execz .LBB16_74
.LBB16_106:                             ;   in Loop: Header=BB16_45 Depth=1
	v_mov_b32_e32 v10, s72
	ds_load_b32 v10, v10
	s_waitcnt lgkmcnt(0)
	v_add_nc_u32_e32 v9, v10, v9
	s_or_b32 exec_lo, exec_lo, s75
	s_and_saveexec_b32 s75, s29
	s_cbranch_execz .LBB16_75
.LBB16_107:                             ;   in Loop: Header=BB16_45 Depth=1
	v_mov_b32_e32 v10, s73
	ds_load_b32 v10, v10
	s_waitcnt lgkmcnt(0)
	v_add_nc_u32_e32 v9, v10, v9
	s_or_b32 exec_lo, exec_lo, s75
	s_and_saveexec_b32 s75, s30
	s_cbranch_execz .LBB16_76
.LBB16_108:                             ;   in Loop: Header=BB16_45 Depth=1
	v_mov_b32_e32 v10, s74
	ds_load_b32 v10, v10
	s_waitcnt lgkmcnt(0)
	v_add_nc_u32_e32 v9, v10, v9
	s_or_b32 exec_lo, exec_lo, s75
	s_and_saveexec_b32 s75, s31
	s_cbranch_execz .LBB16_77
.LBB16_109:                             ;   in Loop: Header=BB16_45 Depth=1
	s_delay_alu instid0(VALU_DEP_1) | instskip(NEXT) | instid1(VALU_DEP_1)
	v_add3_u32 v10, v7, -1, v9
	v_lshl_add_u32 v10, v10, 2, 0
	ds_store_2addr_stride64_b32 v10, v2, v3 offset1:128
	s_or_b32 exec_lo, exec_lo, s75
	s_and_saveexec_b32 s31, vcc_lo
	s_cbranch_execz .LBB16_44
.LBB16_110:                             ;   in Loop: Header=BB16_45 Depth=1
	v_mov_b32_e32 v2, s70
	ds_store_b32 v2, v9
	s_branch .LBB16_44
.LBB16_111:
	s_or_b32 exec_lo, exec_lo, s35
	s_ashr_i32 s35, s34, 31
	s_mov_b32 s3, exec_lo
	s_lshl_b64 s[0:1], s[34:35], 2
	s_delay_alu instid0(SALU_CYCLE_1) | instskip(SKIP_4) | instid1(SALU_CYCLE_1)
	s_add_u32 s0, s40, s0
	s_addc_u32 s1, s41, s1
	s_load_b64 s[0:1], s[0:1], 0x0
	s_waitcnt lgkmcnt(0)
	s_sub_i32 s2, s1, s0
	v_cmpx_gt_i32_e64 s2, v0
	s_cbranch_execz .LBB16_121
; %bb.112:
	s_sub_i32 s3, s0, s38
	s_sub_i32 s0, s0, s1
	s_and_b32 s1, s2, 7
	s_cmp_lt_u32 s0, -7
	s_mov_b32 s7, 0
	s_cselect_b32 s4, -1, 0
	s_and_b32 s5, s2, -8
	s_cmp_lg_u32 s1, 0
	s_cselect_b32 s6, -1, 0
	s_branch .LBB16_114
.LBB16_113:                             ;   in Loop: Header=BB16_114 Depth=1
	s_delay_alu instid0(VALU_DEP_1) | instskip(SKIP_3) | instid1(VALU_DEP_3)
	v_ashrrev_i32_e32 v4, 31, v3
	v_add_nc_u32_e32 v0, 0x400, v0
	s_waitcnt lgkmcnt(0)
	v_add_nc_u32_e32 v1, s38, v1
	v_lshlrev_b64 v[3:4], 2, v[3:4]
	s_delay_alu instid0(VALU_DEP_3) | instskip(SKIP_1) | instid1(VALU_DEP_2)
	v_cmp_le_i32_e32 vcc_lo, s2, v0
	s_or_b32 s7, vcc_lo, s7
	v_add_co_u32 v5, s0, s42, v3
	s_delay_alu instid0(VALU_DEP_1) | instskip(SKIP_1) | instid1(VALU_DEP_1)
	v_add_co_ci_u32_e64 v6, s0, s43, v4, s0
	v_add_co_u32 v3, s0, s36, v3
	v_add_co_ci_u32_e64 v4, s0, s37, v4, s0
	global_store_b32 v[5:6], v1, off
	global_store_b32 v[3:4], v2, off
	s_and_not1_b32 exec_lo, exec_lo, s7
	s_cbranch_execz .LBB16_121
.LBB16_114:                             ; =>This Loop Header: Depth=1
                                        ;     Child Loop BB16_116 Depth 2
                                        ;     Child Loop BB16_120 Depth 2
	v_lshl_add_u32 v1, v0, 2, 0
	v_mov_b32_e32 v3, s3
	s_and_not1_b32 vcc_lo, exec_lo, s4
	s_mov_b32 s0, 0
	ds_load_2addr_stride64_b32 v[1:2], v1 offset1:128
	s_cbranch_vccnz .LBB16_118
; %bb.115:                              ;   in Loop: Header=BB16_114 Depth=1
	v_mov_b32_e32 v3, s3
	s_mov_b32 s8, 0
	s_set_inst_prefetch_distance 0x1
	.p2align	6
.LBB16_116:                             ;   Parent Loop BB16_114 Depth=1
                                        ; =>  This Inner Loop Header: Depth=2
	v_mov_b32_e32 v10, s8
	s_add_i32 s0, s0, 8
	s_add_i32 s8, s8, 32
	s_cmp_eq_u32 s5, s0
	ds_load_2addr_b32 v[4:5], v10 offset1:1
	ds_load_2addr_b32 v[6:7], v10 offset0:2 offset1:3
	ds_load_2addr_b32 v[8:9], v10 offset0:4 offset1:5
	;; [unrolled: 1-line block ×3, first 2 shown]
	s_waitcnt lgkmcnt(3)
	v_cmp_gt_i32_e32 vcc_lo, v1, v4
	v_cndmask_b32_e64 v4, 0, 1, vcc_lo
	s_waitcnt lgkmcnt(2)
	v_cmp_gt_i32_e32 vcc_lo, v1, v6
	v_cndmask_b32_e64 v6, 0, 1, vcc_lo
	v_cmp_gt_i32_e32 vcc_lo, v1, v5
	v_add_co_ci_u32_e32 v3, vcc_lo, v3, v4, vcc_lo
	s_waitcnt lgkmcnt(1)
	v_cmp_gt_i32_e32 vcc_lo, v1, v8
	v_cndmask_b32_e64 v4, 0, 1, vcc_lo
	v_cmp_gt_i32_e32 vcc_lo, v1, v7
	v_add_co_ci_u32_e32 v3, vcc_lo, v3, v6, vcc_lo
	;; [unrolled: 5-line block ×3, first 2 shown]
	v_cmp_gt_i32_e32 vcc_lo, v1, v11
	s_delay_alu instid0(VALU_DEP_2)
	v_add_co_ci_u32_e32 v3, vcc_lo, v3, v5, vcc_lo
	s_cbranch_scc0 .LBB16_116
; %bb.117:                              ;   in Loop: Header=BB16_114 Depth=1
	s_set_inst_prefetch_distance 0x2
	s_mov_b32 s0, s5
.LBB16_118:                             ;   in Loop: Header=BB16_114 Depth=1
	s_and_not1_b32 vcc_lo, exec_lo, s6
	s_cbranch_vccnz .LBB16_113
; %bb.119:                              ;   in Loop: Header=BB16_114 Depth=1
	s_lshl_b32 s0, s0, 2
	s_mov_b32 s8, s1
	s_add_i32 s0, s0, 0
.LBB16_120:                             ;   Parent Loop BB16_114 Depth=1
                                        ; =>  This Inner Loop Header: Depth=2
	s_delay_alu instid0(SALU_CYCLE_1)
	v_mov_b32_e32 v4, s0
	s_add_i32 s8, s8, -1
	s_add_i32 s0, s0, 4
	s_cmp_lg_u32 s8, 0
	ds_load_b32 v4, v4
	s_waitcnt lgkmcnt(0)
	v_cmp_gt_i32_e32 vcc_lo, v1, v4
	v_add_co_ci_u32_e32 v3, vcc_lo, 0, v3, vcc_lo
	s_cbranch_scc1 .LBB16_120
	s_branch .LBB16_113
.LBB16_121:
	s_nop 0
	s_sendmsg sendmsg(MSG_DEALLOC_VGPRS)
	s_endpgm
	.section	.rodata,"a",@progbits
	.p2align	6, 0x0
	.amdhsa_kernel _ZN9rocsparseL26csrgemm_fill_block_per_rowILj1024ELj64ELj8192ELj137ELj32EiifEEvT5_PKS1_S3_NS_24const_host_device_scalarIT6_EEPKT4_S3_PKS5_S9_S3_SB_S6_S9_S3_SB_S9_PS1_PS5_21rocsparse_index_base_SE_SE_SE_bbb
		.amdhsa_group_segment_fixed_size 0
		.amdhsa_private_segment_fixed_size 0
		.amdhsa_kernarg_size 156
		.amdhsa_user_sgpr_count 15
		.amdhsa_user_sgpr_dispatch_ptr 0
		.amdhsa_user_sgpr_queue_ptr 0
		.amdhsa_user_sgpr_kernarg_segment_ptr 1
		.amdhsa_user_sgpr_dispatch_id 0
		.amdhsa_user_sgpr_private_segment_size 0
		.amdhsa_wavefront_size32 1
		.amdhsa_uses_dynamic_stack 0
		.amdhsa_enable_private_segment 0
		.amdhsa_system_sgpr_workgroup_id_x 1
		.amdhsa_system_sgpr_workgroup_id_y 0
		.amdhsa_system_sgpr_workgroup_id_z 0
		.amdhsa_system_sgpr_workgroup_info 0
		.amdhsa_system_vgpr_workitem_id 0
		.amdhsa_next_free_vgpr 14
		.amdhsa_next_free_sgpr 76
		.amdhsa_reserve_vcc 1
		.amdhsa_float_round_mode_32 0
		.amdhsa_float_round_mode_16_64 0
		.amdhsa_float_denorm_mode_32 3
		.amdhsa_float_denorm_mode_16_64 3
		.amdhsa_dx10_clamp 1
		.amdhsa_ieee_mode 1
		.amdhsa_fp16_overflow 0
		.amdhsa_workgroup_processor_mode 1
		.amdhsa_memory_ordered 1
		.amdhsa_forward_progress 0
		.amdhsa_shared_vgpr_count 0
		.amdhsa_exception_fp_ieee_invalid_op 0
		.amdhsa_exception_fp_denorm_src 0
		.amdhsa_exception_fp_ieee_div_zero 0
		.amdhsa_exception_fp_ieee_overflow 0
		.amdhsa_exception_fp_ieee_underflow 0
		.amdhsa_exception_fp_ieee_inexact 0
		.amdhsa_exception_int_div_zero 0
	.end_amdhsa_kernel
	.section	.text._ZN9rocsparseL26csrgemm_fill_block_per_rowILj1024ELj64ELj8192ELj137ELj32EiifEEvT5_PKS1_S3_NS_24const_host_device_scalarIT6_EEPKT4_S3_PKS5_S9_S3_SB_S6_S9_S3_SB_S9_PS1_PS5_21rocsparse_index_base_SE_SE_SE_bbb,"axG",@progbits,_ZN9rocsparseL26csrgemm_fill_block_per_rowILj1024ELj64ELj8192ELj137ELj32EiifEEvT5_PKS1_S3_NS_24const_host_device_scalarIT6_EEPKT4_S3_PKS5_S9_S3_SB_S6_S9_S3_SB_S9_PS1_PS5_21rocsparse_index_base_SE_SE_SE_bbb,comdat
.Lfunc_end16:
	.size	_ZN9rocsparseL26csrgemm_fill_block_per_rowILj1024ELj64ELj8192ELj137ELj32EiifEEvT5_PKS1_S3_NS_24const_host_device_scalarIT6_EEPKT4_S3_PKS5_S9_S3_SB_S6_S9_S3_SB_S9_PS1_PS5_21rocsparse_index_base_SE_SE_SE_bbb, .Lfunc_end16-_ZN9rocsparseL26csrgemm_fill_block_per_rowILj1024ELj64ELj8192ELj137ELj32EiifEEvT5_PKS1_S3_NS_24const_host_device_scalarIT6_EEPKT4_S3_PKS5_S9_S3_SB_S6_S9_S3_SB_S9_PS1_PS5_21rocsparse_index_base_SE_SE_SE_bbb
                                        ; -- End function
	.section	.AMDGPU.csdata,"",@progbits
; Kernel info:
; codeLenInByte = 4360
; NumSgprs: 78
; NumVgprs: 14
; ScratchSize: 0
; MemoryBound: 0
; FloatMode: 240
; IeeeMode: 1
; LDSByteSize: 0 bytes/workgroup (compile time only)
; SGPRBlocks: 9
; VGPRBlocks: 1
; NumSGPRsForWavesPerEU: 78
; NumVGPRsForWavesPerEU: 14
; Occupancy: 16
; WaveLimiterHint : 1
; COMPUTE_PGM_RSRC2:SCRATCH_EN: 0
; COMPUTE_PGM_RSRC2:USER_SGPR: 15
; COMPUTE_PGM_RSRC2:TRAP_HANDLER: 0
; COMPUTE_PGM_RSRC2:TGID_X_EN: 1
; COMPUTE_PGM_RSRC2:TGID_Y_EN: 0
; COMPUTE_PGM_RSRC2:TGID_Z_EN: 0
; COMPUTE_PGM_RSRC2:TIDIG_COMP_CNT: 0
	.section	.text._ZN9rocsparseL26csrgemm_fill_block_per_rowILj1024ELj64ELj8192ELj137ELj64EiifEEvT5_PKS1_S3_NS_24const_host_device_scalarIT6_EEPKT4_S3_PKS5_S9_S3_SB_S6_S9_S3_SB_S9_PS1_PS5_21rocsparse_index_base_SE_SE_SE_bbb,"axG",@progbits,_ZN9rocsparseL26csrgemm_fill_block_per_rowILj1024ELj64ELj8192ELj137ELj64EiifEEvT5_PKS1_S3_NS_24const_host_device_scalarIT6_EEPKT4_S3_PKS5_S9_S3_SB_S6_S9_S3_SB_S9_PS1_PS5_21rocsparse_index_base_SE_SE_SE_bbb,comdat
	.globl	_ZN9rocsparseL26csrgemm_fill_block_per_rowILj1024ELj64ELj8192ELj137ELj64EiifEEvT5_PKS1_S3_NS_24const_host_device_scalarIT6_EEPKT4_S3_PKS5_S9_S3_SB_S6_S9_S3_SB_S9_PS1_PS5_21rocsparse_index_base_SE_SE_SE_bbb ; -- Begin function _ZN9rocsparseL26csrgemm_fill_block_per_rowILj1024ELj64ELj8192ELj137ELj64EiifEEvT5_PKS1_S3_NS_24const_host_device_scalarIT6_EEPKT4_S3_PKS5_S9_S3_SB_S6_S9_S3_SB_S9_PS1_PS5_21rocsparse_index_base_SE_SE_SE_bbb
	.p2align	8
	.type	_ZN9rocsparseL26csrgemm_fill_block_per_rowILj1024ELj64ELj8192ELj137ELj64EiifEEvT5_PKS1_S3_NS_24const_host_device_scalarIT6_EEPKT4_S3_PKS5_S9_S3_SB_S6_S9_S3_SB_S9_PS1_PS5_21rocsparse_index_base_SE_SE_SE_bbb,@function
_ZN9rocsparseL26csrgemm_fill_block_per_rowILj1024ELj64ELj8192ELj137ELj64EiifEEvT5_PKS1_S3_NS_24const_host_device_scalarIT6_EEPKT4_S3_PKS5_S9_S3_SB_S6_S9_S3_SB_S9_PS1_PS5_21rocsparse_index_base_SE_SE_SE_bbb: ; @_ZN9rocsparseL26csrgemm_fill_block_per_rowILj1024ELj64ELj8192ELj137ELj64EiifEEvT5_PKS1_S3_NS_24const_host_device_scalarIT6_EEPKT4_S3_PKS5_S9_S3_SB_S6_S9_S3_SB_S9_PS1_PS5_21rocsparse_index_base_SE_SE_SE_bbb
; %bb.0:
	s_clause 0x4
	s_load_b32 s11, s[0:1], 0x98
	s_load_b128 s[4:7], s[0:1], 0x8
	s_load_b64 s[8:9], s[0:1], 0x18
	s_load_b128 s[16:19], s[0:1], 0x88
	s_load_b64 s[2:3], s[0:1], 0x50
	s_waitcnt lgkmcnt(0)
	s_bitcmp1_b32 s11, 0
	s_cselect_b32 s10, -1, 0
	s_bitcmp1_b32 s11, 16
	s_cselect_b32 s13, -1, 0
	s_xor_b32 s12, s10, -1
	s_delay_alu instid0(SALU_CYCLE_1) | instskip(NEXT) | instid1(SALU_CYCLE_1)
	s_or_b32 s12, s12, s13
	s_and_b32 vcc_lo, exec_lo, s12
	s_cbranch_vccnz .LBB17_2
; %bb.1:
	s_load_b32 s8, s[8:9], 0x0
	s_waitcnt lgkmcnt(0)
	v_mov_b32_e32 v7, s8
	s_branch .LBB17_3
.LBB17_2:
	v_cndmask_b32_e64 v7, 0, s8, s10
.LBB17_3:
	s_bitcmp1_b32 s11, 8
	s_cselect_b32 s12, -1, 0
	s_delay_alu instid0(SALU_CYCLE_1) | instskip(NEXT) | instid1(SALU_CYCLE_1)
	s_xor_b32 s8, s12, -1
	s_or_b32 s8, s8, s13
	s_delay_alu instid0(SALU_CYCLE_1)
	s_and_b32 vcc_lo, exec_lo, s8
	s_cbranch_vccnz .LBB17_5
; %bb.4:
	s_load_b32 s2, s[2:3], 0x0
	s_waitcnt lgkmcnt(0)
	v_mov_b32_e32 v5, s2
	s_branch .LBB17_6
.LBB17_5:
	v_cndmask_b32_e64 v5, 0, s2, s12
.LBB17_6:
	s_load_b32 s26, s[0:1], 0x0
	v_dual_mov_b32 v2, 0 :: v_dual_lshlrev_b32 v1, 2, v0
	s_mov_b32 s3, 0
	s_delay_alu instid0(VALU_DEP_1)
	v_add3_u32 v3, 0, 0x8000, v1
	v_add_nc_u32_e32 v1, 0, v1
	ds_store_2addr_stride64_b32 v3, v2, v2 offset0:16 offset1:32
	ds_store_2addr_stride64_b32 v3, v2, v2 offset0:48 offset1:64
	;; [unrolled: 1-line block ×3, first 2 shown]
	s_waitcnt lgkmcnt(0)
	v_mov_b32_e32 v4, s26
	v_dual_mov_b32 v6, s26 :: v_dual_mov_b32 v9, s26
	v_dual_mov_b32 v8, s26 :: v_dual_mov_b32 v11, s26
	v_dual_mov_b32 v10, s26 :: v_dual_mov_b32 v13, s26
	v_mov_b32_e32 v12, s26
	ds_store_b32 v1, v2 offset:32768
	ds_store_b32 v3, v2 offset:28672
	ds_store_2addr_stride64_b32 v1, v4, v6 offset1:16
	ds_store_2addr_stride64_b32 v1, v8, v9 offset0:32 offset1:48
	ds_store_2addr_stride64_b32 v1, v10, v11 offset0:64 offset1:80
	;; [unrolled: 1-line block ×3, first 2 shown]
	s_waitcnt lgkmcnt(0)
	s_barrier
	buffer_gl0_inv
	s_load_b32 s2, s[4:5], 0x0
	v_lshrrev_b32_e32 v6, 6, v0
	s_waitcnt lgkmcnt(0)
	s_add_i32 s2, s2, s15
	s_delay_alu instid0(SALU_CYCLE_1) | instskip(NEXT) | instid1(SALU_CYCLE_1)
	s_lshl_b64 s[2:3], s[2:3], 2
	s_add_u32 s2, s6, s2
	s_addc_u32 s3, s7, s3
	s_and_not1_b32 vcc_lo, exec_lo, s10
	s_load_b32 s24, s[2:3], 0x0
	s_cbranch_vccnz .LBB17_26
; %bb.7:
	s_load_b64 s[2:3], s[0:1], 0x20
	s_waitcnt lgkmcnt(0)
	s_ashr_i32 s25, s24, 31
	v_subrev_nc_u32_e32 v1, s16, v6
	s_lshl_b64 s[4:5], s[24:25], 2
	s_mov_b32 s14, exec_lo
	s_add_u32 s2, s2, s4
	s_addc_u32 s3, s3, s5
	s_load_b64 s[2:3], s[2:3], 0x0
	s_waitcnt lgkmcnt(0)
	v_add_nc_u32_e32 v1, s2, v1
	s_sub_i32 s13, s3, s16
	s_delay_alu instid0(VALU_DEP_1) | instid1(SALU_CYCLE_1)
	v_cmpx_gt_i32_e64 s13, v1
	s_cbranch_execz .LBB17_25
; %bb.8:
	s_clause 0x1
	s_load_b64 s[2:3], s[0:1], 0x48
	s_load_b256 s[4:11], s[0:1], 0x28
	v_and_b32_e32 v2, 63, v0
	s_mov_b32 s15, 0
	s_delay_alu instid0(VALU_DEP_1)
	v_subrev_nc_u32_e32 v8, s17, v2
	s_branch .LBB17_10
.LBB17_9:                               ;   in Loop: Header=BB17_10 Depth=1
	s_or_b32 exec_lo, exec_lo, s20
	v_add_nc_u32_e32 v1, 16, v1
	s_delay_alu instid0(VALU_DEP_1) | instskip(SKIP_1) | instid1(SALU_CYCLE_1)
	v_cmp_le_i32_e32 vcc_lo, s13, v1
	s_or_b32 s15, vcc_lo, s15
	s_and_not1_b32 exec_lo, exec_lo, s15
	s_cbranch_execz .LBB17_25
.LBB17_10:                              ; =>This Loop Header: Depth=1
                                        ;     Child Loop BB17_13 Depth 2
                                        ;       Child Loop BB17_15 Depth 3
	v_ashrrev_i32_e32 v2, 31, v1
	s_mov_b32 s20, exec_lo
	s_delay_alu instid0(VALU_DEP_1) | instskip(SKIP_1) | instid1(VALU_DEP_1)
	v_lshlrev_b64 v[3:4], 2, v[1:2]
	s_waitcnt lgkmcnt(0)
	v_add_co_u32 v9, vcc_lo, s4, v3
	s_delay_alu instid0(VALU_DEP_2) | instskip(SKIP_3) | instid1(VALU_DEP_1)
	v_add_co_ci_u32_e32 v10, vcc_lo, s5, v4, vcc_lo
	global_load_b32 v2, v[9:10], off
	s_waitcnt vmcnt(0)
	v_subrev_nc_u32_e32 v9, s16, v2
	v_ashrrev_i32_e32 v10, 31, v9
	s_delay_alu instid0(VALU_DEP_1) | instskip(NEXT) | instid1(VALU_DEP_1)
	v_lshlrev_b64 v[9:10], 2, v[9:10]
	v_add_co_u32 v9, vcc_lo, s8, v9
	s_delay_alu instid0(VALU_DEP_2) | instskip(SKIP_4) | instid1(VALU_DEP_1)
	v_add_co_ci_u32_e32 v10, vcc_lo, s9, v10, vcc_lo
	global_load_b64 v[10:11], v[9:10], off
	s_waitcnt vmcnt(0)
	v_subrev_nc_u32_e32 v9, s17, v11
	v_add_nc_u32_e32 v2, v10, v8
	v_cmpx_lt_i32_e64 v2, v9
	s_cbranch_execz .LBB17_9
; %bb.11:                               ;   in Loop: Header=BB17_10 Depth=1
	v_add_co_u32 v3, vcc_lo, s6, v3
	v_add_co_ci_u32_e32 v4, vcc_lo, s7, v4, vcc_lo
	s_mov_b32 s21, 0
	global_load_b32 v3, v[3:4], off
	s_waitcnt vmcnt(0)
	v_mul_f32_e32 v4, v7, v3
	s_branch .LBB17_13
.LBB17_12:                              ;   in Loop: Header=BB17_13 Depth=2
	s_or_b32 exec_lo, exec_lo, s22
	v_add_nc_u32_e32 v2, 64, v2
	s_delay_alu instid0(VALU_DEP_1) | instskip(SKIP_1) | instid1(SALU_CYCLE_1)
	v_cmp_ge_i32_e32 vcc_lo, v2, v9
	s_or_b32 s21, vcc_lo, s21
	s_and_not1_b32 exec_lo, exec_lo, s21
	s_cbranch_execz .LBB17_9
.LBB17_13:                              ;   Parent Loop BB17_10 Depth=1
                                        ; =>  This Loop Header: Depth=2
                                        ;       Child Loop BB17_15 Depth 3
	v_ashrrev_i32_e32 v3, 31, v2
	s_mov_b32 s22, 0
	s_delay_alu instid0(VALU_DEP_1) | instskip(NEXT) | instid1(VALU_DEP_1)
	v_lshlrev_b64 v[10:11], 2, v[2:3]
	v_add_co_u32 v12, vcc_lo, s10, v10
	s_delay_alu instid0(VALU_DEP_2)
	v_add_co_ci_u32_e32 v13, vcc_lo, s11, v11, vcc_lo
	v_add_co_u32 v10, vcc_lo, s2, v10
	v_add_co_ci_u32_e32 v11, vcc_lo, s3, v11, vcc_lo
	global_load_b32 v3, v[12:13], off
	global_load_b32 v10, v[10:11], off
	s_waitcnt vmcnt(1)
	v_subrev_nc_u32_e32 v3, s17, v3
	s_delay_alu instid0(VALU_DEP_1) | instskip(SKIP_1) | instid1(VALU_DEP_1)
	v_mul_lo_u32 v11, 0x89, v3
	s_waitcnt vmcnt(0)
	v_dual_mul_f32 v10, v4, v10 :: v_dual_and_b32 v11, 0x1fff, v11
	s_branch .LBB17_15
.LBB17_14:                              ;   in Loop: Header=BB17_15 Depth=3
	s_or_b32 exec_lo, exec_lo, s23
	s_xor_b32 s23, s25, -1
	s_delay_alu instid0(SALU_CYCLE_1) | instskip(NEXT) | instid1(SALU_CYCLE_1)
	s_and_b32 s23, exec_lo, s23
	s_or_b32 s22, s23, s22
	s_delay_alu instid0(SALU_CYCLE_1)
	s_and_not1_b32 exec_lo, exec_lo, s22
	s_cbranch_execz .LBB17_12
.LBB17_15:                              ;   Parent Loop BB17_10 Depth=1
                                        ;     Parent Loop BB17_13 Depth=2
                                        ; =>    This Inner Loop Header: Depth=3
	s_delay_alu instid0(VALU_DEP_1)
	v_lshl_add_u32 v12, v11, 2, 0
	s_mov_b32 s23, exec_lo
                                        ; implicit-def: $sgpr25
	ds_load_b32 v13, v12
	s_waitcnt lgkmcnt(0)
	v_cmpx_ne_u32_e64 v13, v3
	s_xor_b32 s23, exec_lo, s23
	s_cbranch_execz .LBB17_23
; %bb.16:                               ;   in Loop: Header=BB17_15 Depth=3
	s_mov_b32 s27, exec_lo
                                        ; implicit-def: $sgpr25
	v_cmpx_ne_u32_e64 s26, v13
	s_xor_b32 s27, exec_lo, s27
; %bb.17:                               ;   in Loop: Header=BB17_15 Depth=3
	v_add_nc_u32_e32 v11, 1, v11
	s_mov_b32 s25, -1
                                        ; implicit-def: $vgpr12
	s_delay_alu instid0(VALU_DEP_1)
	v_and_b32_e32 v11, 0x1fff, v11
; %bb.18:                               ;   in Loop: Header=BB17_15 Depth=3
	s_and_not1_saveexec_b32 s27, s27
	s_cbranch_execz .LBB17_22
; %bb.19:                               ;   in Loop: Header=BB17_15 Depth=3
	v_mov_b32_e32 v13, s26
	s_mov_b32 s28, -1
	s_mov_b32 s29, exec_lo
	ds_cmpstore_rtn_b32 v13, v12, v3, v13
	s_waitcnt lgkmcnt(0)
	v_cmpx_eq_u32_e64 s26, v13
	s_cbranch_execz .LBB17_21
; %bb.20:                               ;   in Loop: Header=BB17_15 Depth=3
	ds_add_f32 v12, v10 offset:32768
	s_xor_b32 s28, exec_lo, -1
.LBB17_21:                              ;   in Loop: Header=BB17_15 Depth=3
	s_or_b32 exec_lo, exec_lo, s29
	s_delay_alu instid0(SALU_CYCLE_1) | instskip(SKIP_1) | instid1(SALU_CYCLE_1)
	s_and_not1_b32 s25, s25, exec_lo
	s_and_b32 s28, s28, exec_lo
	s_or_b32 s25, s25, s28
.LBB17_22:                              ;   in Loop: Header=BB17_15 Depth=3
	s_or_b32 exec_lo, exec_lo, s27
	s_delay_alu instid0(SALU_CYCLE_1)
	s_and_b32 s25, s25, exec_lo
                                        ; implicit-def: $vgpr12
.LBB17_23:                              ;   in Loop: Header=BB17_15 Depth=3
	s_and_not1_saveexec_b32 s23, s23
	s_cbranch_execz .LBB17_14
; %bb.24:                               ;   in Loop: Header=BB17_15 Depth=3
	ds_add_f32 v12, v10 offset:32768
	s_and_not1_b32 s25, s25, exec_lo
	s_branch .LBB17_14
.LBB17_25:
	s_or_b32 exec_lo, exec_lo, s14
.LBB17_26:
	s_clause 0x1
	s_load_b64 s[16:17], s[0:1], 0x80
	s_load_b128 s[20:23], s[0:1], 0x70
	s_and_not1_b32 vcc_lo, exec_lo, s12
	s_cbranch_vccnz .LBB17_43
; %bb.27:
	s_load_b64 s[2:3], s[0:1], 0x58
	s_waitcnt lgkmcnt(0)
	s_ashr_i32 s25, s24, 31
	v_subrev_nc_u32_e32 v1, s19, v0
	s_lshl_b64 s[4:5], s[24:25], 2
	s_delay_alu instid0(SALU_CYCLE_1)
	s_add_u32 s2, s2, s4
	s_addc_u32 s3, s3, s5
	s_mov_b32 s5, exec_lo
	s_load_b64 s[2:3], s[2:3], 0x0
	s_waitcnt lgkmcnt(0)
	v_add_nc_u32_e32 v1, s2, v1
	s_sub_i32 s4, s3, s19
	s_delay_alu instid0(VALU_DEP_1) | instid1(SALU_CYCLE_1)
	v_cmpx_gt_i32_e64 s4, v1
	s_cbranch_execz .LBB17_42
; %bb.28:
	s_load_b128 s[0:3], s[0:1], 0x60
	s_mov_b32 s6, 0
	s_branch .LBB17_30
.LBB17_29:                              ;   in Loop: Header=BB17_30 Depth=1
	s_or_b32 exec_lo, exec_lo, s7
	v_add_nc_u32_e32 v1, 0x400, v1
	s_delay_alu instid0(VALU_DEP_1) | instskip(SKIP_1) | instid1(SALU_CYCLE_1)
	v_cmp_le_i32_e32 vcc_lo, s4, v1
	s_or_b32 s6, vcc_lo, s6
	s_and_not1_b32 exec_lo, exec_lo, s6
	s_cbranch_execz .LBB17_42
.LBB17_30:                              ; =>This Loop Header: Depth=1
                                        ;     Child Loop BB17_32 Depth 2
	v_ashrrev_i32_e32 v2, 31, v1
	s_mov_b32 s7, 0
	s_delay_alu instid0(VALU_DEP_1) | instskip(SKIP_1) | instid1(VALU_DEP_1)
	v_lshlrev_b64 v[2:3], 2, v[1:2]
	s_waitcnt lgkmcnt(0)
	v_add_co_u32 v7, vcc_lo, s0, v2
	s_delay_alu instid0(VALU_DEP_2)
	v_add_co_ci_u32_e32 v8, vcc_lo, s1, v3, vcc_lo
	v_add_co_u32 v2, vcc_lo, s2, v2
	v_add_co_ci_u32_e32 v3, vcc_lo, s3, v3, vcc_lo
	global_load_b32 v4, v[7:8], off
	global_load_b32 v3, v[2:3], off
	s_waitcnt vmcnt(1)
	v_subrev_nc_u32_e32 v2, s19, v4
	s_delay_alu instid0(VALU_DEP_1) | instskip(SKIP_1) | instid1(VALU_DEP_1)
	v_mul_lo_u32 v4, 0x89, v2
	s_waitcnt vmcnt(0)
	v_dual_mul_f32 v3, v5, v3 :: v_dual_and_b32 v4, 0x1fff, v4
	s_branch .LBB17_32
.LBB17_31:                              ;   in Loop: Header=BB17_32 Depth=2
	s_or_b32 exec_lo, exec_lo, s8
	s_xor_b32 s8, s9, -1
	s_delay_alu instid0(SALU_CYCLE_1) | instskip(NEXT) | instid1(SALU_CYCLE_1)
	s_and_b32 s8, exec_lo, s8
	s_or_b32 s7, s8, s7
	s_delay_alu instid0(SALU_CYCLE_1)
	s_and_not1_b32 exec_lo, exec_lo, s7
	s_cbranch_execz .LBB17_29
.LBB17_32:                              ;   Parent Loop BB17_30 Depth=1
                                        ; =>  This Inner Loop Header: Depth=2
	s_delay_alu instid0(VALU_DEP_1)
	v_lshl_add_u32 v7, v4, 2, 0
	s_mov_b32 s8, exec_lo
                                        ; implicit-def: $sgpr9
	ds_load_b32 v8, v7
	s_waitcnt lgkmcnt(0)
	v_cmpx_ne_u32_e64 v8, v2
	s_xor_b32 s8, exec_lo, s8
	s_cbranch_execz .LBB17_40
; %bb.33:                               ;   in Loop: Header=BB17_32 Depth=2
	s_mov_b32 s10, exec_lo
                                        ; implicit-def: $sgpr9
	v_cmpx_ne_u32_e64 s26, v8
	s_xor_b32 s10, exec_lo, s10
; %bb.34:                               ;   in Loop: Header=BB17_32 Depth=2
	v_add_nc_u32_e32 v4, 1, v4
	s_mov_b32 s9, -1
                                        ; implicit-def: $vgpr7
	s_delay_alu instid0(VALU_DEP_1)
	v_and_b32_e32 v4, 0x1fff, v4
; %bb.35:                               ;   in Loop: Header=BB17_32 Depth=2
	s_and_not1_saveexec_b32 s10, s10
	s_cbranch_execz .LBB17_39
; %bb.36:                               ;   in Loop: Header=BB17_32 Depth=2
	v_mov_b32_e32 v8, s26
	s_mov_b32 s11, -1
	s_mov_b32 s12, exec_lo
	ds_cmpstore_rtn_b32 v8, v7, v2, v8
	s_waitcnt lgkmcnt(0)
	v_cmpx_eq_u32_e64 s26, v8
	s_cbranch_execz .LBB17_38
; %bb.37:                               ;   in Loop: Header=BB17_32 Depth=2
	ds_add_f32 v7, v3 offset:32768
	s_xor_b32 s11, exec_lo, -1
.LBB17_38:                              ;   in Loop: Header=BB17_32 Depth=2
	s_or_b32 exec_lo, exec_lo, s12
	s_delay_alu instid0(SALU_CYCLE_1) | instskip(SKIP_1) | instid1(SALU_CYCLE_1)
	s_and_not1_b32 s9, s9, exec_lo
	s_and_b32 s11, s11, exec_lo
	s_or_b32 s9, s9, s11
.LBB17_39:                              ;   in Loop: Header=BB17_32 Depth=2
	s_or_b32 exec_lo, exec_lo, s10
	s_delay_alu instid0(SALU_CYCLE_1)
	s_and_b32 s9, s9, exec_lo
                                        ; implicit-def: $vgpr7
.LBB17_40:                              ;   in Loop: Header=BB17_32 Depth=2
	s_and_not1_saveexec_b32 s8, s8
	s_cbranch_execz .LBB17_31
; %bb.41:                               ;   in Loop: Header=BB17_32 Depth=2
	ds_add_f32 v7, v3 offset:32768
	s_and_not1_b32 s9, s9, exec_lo
	s_branch .LBB17_31
.LBB17_42:
	s_or_b32 exec_lo, exec_lo, s5
.LBB17_43:
	v_mbcnt_lo_u32_b32 v1, -1, 0
	v_dual_mov_b32 v7, 0 :: v_dual_lshlrev_b32 v2, 2, v6
	s_add_i32 s38, 0, 0x1003c
	v_cmp_eq_u32_e32 vcc_lo, 0x3ff, v0
	s_delay_alu instid0(VALU_DEP_3) | instskip(NEXT) | instid1(VALU_DEP_3)
	v_xor_b32_e32 v1, 63, v1
	v_add3_u32 v4, 0, 0x10000, v2
	v_cmp_lt_u32_e64 s0, 63, v0
	v_cmp_lt_u32_e64 s1, 0x7f, v0
	;; [unrolled: 1-line block ×3, first 2 shown]
	v_lshrrev_b64 v[1:2], v1, -1
	v_cmp_lt_u32_e64 s3, 0xff, v0
	v_cmp_lt_u32_e64 s4, 0x13f, v0
	;; [unrolled: 1-line block ×12, first 2 shown]
	v_or_b32_e32 v5, 0xfffffc00, v0
	v_lshl_add_u32 v6, v0, 2, 0
	v_mov_b32_e32 v8, s38
	s_mov_b32 s19, 0
	s_add_i32 s25, 0, 0x10000
	s_add_i32 s27, 0, 0x10004
	;; [unrolled: 1-line block ×15, first 2 shown]
	s_waitcnt lgkmcnt(0)
	s_barrier
	buffer_gl0_inv
	s_branch .LBB17_45
.LBB17_44:                              ;   in Loop: Header=BB17_45 Depth=1
	s_or_b32 exec_lo, exec_lo, s15
	s_waitcnt lgkmcnt(0)
	s_barrier
	buffer_gl0_inv
	ds_load_b32 v2, v8
	v_add_nc_u32_e32 v5, 0x400, v5
	v_add_nc_u32_e32 v6, 0x1000, v6
	s_delay_alu instid0(VALU_DEP_2) | instskip(NEXT) | instid1(VALU_DEP_1)
	v_cmp_lt_u32_e64 s15, 0x1bff, v5
	s_or_b32 s19, s15, s19
	s_waitcnt lgkmcnt(0)
	v_add_nc_u32_e32 v7, v2, v7
	s_and_not1_b32 exec_lo, exec_lo, s19
	s_cbranch_execz .LBB17_79
.LBB17_45:                              ; =>This Inner Loop Header: Depth=1
	ds_load_2addr_stride64_b32 v[2:3], v6 offset1:128
	s_waitcnt lgkmcnt(0)
	s_barrier
	buffer_gl0_inv
	v_cmp_gt_i32_e64 s15, s26, v2
	s_delay_alu instid0(VALU_DEP_1) | instskip(NEXT) | instid1(SALU_CYCLE_1)
	s_bcnt1_i32_b32 s43, s15
	v_dual_mov_b32 v10, s43 :: v_dual_and_b32 v9, s15, v1
	s_delay_alu instid0(VALU_DEP_1)
	v_bcnt_u32_b32 v9, v9, 0
	ds_store_b32 v4, v10
	s_waitcnt lgkmcnt(0)
	s_barrier
	buffer_gl0_inv
	s_and_saveexec_b32 s43, s0
	s_cbranch_execnz .LBB17_62
; %bb.46:                               ;   in Loop: Header=BB17_45 Depth=1
	s_or_b32 exec_lo, exec_lo, s43
	s_and_saveexec_b32 s43, s1
	s_cbranch_execnz .LBB17_63
.LBB17_47:                              ;   in Loop: Header=BB17_45 Depth=1
	s_or_b32 exec_lo, exec_lo, s43
	s_and_saveexec_b32 s43, s2
	s_cbranch_execnz .LBB17_64
.LBB17_48:                              ;   in Loop: Header=BB17_45 Depth=1
	s_or_b32 exec_lo, exec_lo, s43
	s_and_saveexec_b32 s43, s3
	s_cbranch_execnz .LBB17_65
.LBB17_49:                              ;   in Loop: Header=BB17_45 Depth=1
	s_or_b32 exec_lo, exec_lo, s43
	s_and_saveexec_b32 s43, s4
	s_cbranch_execnz .LBB17_66
.LBB17_50:                              ;   in Loop: Header=BB17_45 Depth=1
	s_or_b32 exec_lo, exec_lo, s43
	s_and_saveexec_b32 s43, s5
	s_cbranch_execnz .LBB17_67
.LBB17_51:                              ;   in Loop: Header=BB17_45 Depth=1
	s_or_b32 exec_lo, exec_lo, s43
	s_and_saveexec_b32 s43, s6
	s_cbranch_execnz .LBB17_68
.LBB17_52:                              ;   in Loop: Header=BB17_45 Depth=1
	s_or_b32 exec_lo, exec_lo, s43
	s_and_saveexec_b32 s43, s7
	s_cbranch_execnz .LBB17_69
.LBB17_53:                              ;   in Loop: Header=BB17_45 Depth=1
	s_or_b32 exec_lo, exec_lo, s43
	s_and_saveexec_b32 s43, s8
	s_cbranch_execnz .LBB17_70
.LBB17_54:                              ;   in Loop: Header=BB17_45 Depth=1
	s_or_b32 exec_lo, exec_lo, s43
	s_and_saveexec_b32 s43, s9
	s_cbranch_execnz .LBB17_71
.LBB17_55:                              ;   in Loop: Header=BB17_45 Depth=1
	s_or_b32 exec_lo, exec_lo, s43
	s_and_saveexec_b32 s43, s10
	s_cbranch_execnz .LBB17_72
.LBB17_56:                              ;   in Loop: Header=BB17_45 Depth=1
	s_or_b32 exec_lo, exec_lo, s43
	s_and_saveexec_b32 s43, s11
	s_cbranch_execnz .LBB17_73
.LBB17_57:                              ;   in Loop: Header=BB17_45 Depth=1
	s_or_b32 exec_lo, exec_lo, s43
	s_and_saveexec_b32 s43, s12
	s_cbranch_execnz .LBB17_74
.LBB17_58:                              ;   in Loop: Header=BB17_45 Depth=1
	s_or_b32 exec_lo, exec_lo, s43
	s_and_saveexec_b32 s43, s13
	s_cbranch_execnz .LBB17_75
.LBB17_59:                              ;   in Loop: Header=BB17_45 Depth=1
	s_or_b32 exec_lo, exec_lo, s43
	s_and_saveexec_b32 s43, s14
	s_cbranch_execnz .LBB17_76
.LBB17_60:                              ;   in Loop: Header=BB17_45 Depth=1
	s_or_b32 exec_lo, exec_lo, s43
	s_and_saveexec_b32 s43, s15
	s_cbranch_execnz .LBB17_77
.LBB17_61:                              ;   in Loop: Header=BB17_45 Depth=1
	s_or_b32 exec_lo, exec_lo, s43
	s_and_saveexec_b32 s15, vcc_lo
	s_cbranch_execz .LBB17_44
	s_branch .LBB17_78
.LBB17_62:                              ;   in Loop: Header=BB17_45 Depth=1
	v_mov_b32_e32 v10, s25
	ds_load_b32 v10, v10
	s_waitcnt lgkmcnt(0)
	v_add_nc_u32_e32 v9, v10, v9
	s_or_b32 exec_lo, exec_lo, s43
	s_and_saveexec_b32 s43, s1
	s_cbranch_execz .LBB17_47
.LBB17_63:                              ;   in Loop: Header=BB17_45 Depth=1
	v_mov_b32_e32 v10, s27
	ds_load_b32 v10, v10
	s_waitcnt lgkmcnt(0)
	v_add_nc_u32_e32 v9, v10, v9
	s_or_b32 exec_lo, exec_lo, s43
	s_and_saveexec_b32 s43, s2
	s_cbranch_execz .LBB17_48
.LBB17_64:                              ;   in Loop: Header=BB17_45 Depth=1
	v_mov_b32_e32 v10, s28
	ds_load_b32 v10, v10
	s_waitcnt lgkmcnt(0)
	v_add_nc_u32_e32 v9, v10, v9
	s_or_b32 exec_lo, exec_lo, s43
	s_and_saveexec_b32 s43, s3
	s_cbranch_execz .LBB17_49
.LBB17_65:                              ;   in Loop: Header=BB17_45 Depth=1
	v_mov_b32_e32 v10, s29
	ds_load_b32 v10, v10
	s_waitcnt lgkmcnt(0)
	v_add_nc_u32_e32 v9, v10, v9
	s_or_b32 exec_lo, exec_lo, s43
	s_and_saveexec_b32 s43, s4
	s_cbranch_execz .LBB17_50
.LBB17_66:                              ;   in Loop: Header=BB17_45 Depth=1
	v_mov_b32_e32 v10, s30
	ds_load_b32 v10, v10
	s_waitcnt lgkmcnt(0)
	v_add_nc_u32_e32 v9, v10, v9
	s_or_b32 exec_lo, exec_lo, s43
	s_and_saveexec_b32 s43, s5
	s_cbranch_execz .LBB17_51
.LBB17_67:                              ;   in Loop: Header=BB17_45 Depth=1
	v_mov_b32_e32 v10, s31
	ds_load_b32 v10, v10
	s_waitcnt lgkmcnt(0)
	v_add_nc_u32_e32 v9, v10, v9
	s_or_b32 exec_lo, exec_lo, s43
	s_and_saveexec_b32 s43, s6
	s_cbranch_execz .LBB17_52
.LBB17_68:                              ;   in Loop: Header=BB17_45 Depth=1
	v_mov_b32_e32 v10, s33
	ds_load_b32 v10, v10
	s_waitcnt lgkmcnt(0)
	v_add_nc_u32_e32 v9, v10, v9
	s_or_b32 exec_lo, exec_lo, s43
	s_and_saveexec_b32 s43, s7
	s_cbranch_execz .LBB17_53
.LBB17_69:                              ;   in Loop: Header=BB17_45 Depth=1
	v_mov_b32_e32 v10, s34
	ds_load_b32 v10, v10
	s_waitcnt lgkmcnt(0)
	v_add_nc_u32_e32 v9, v10, v9
	s_or_b32 exec_lo, exec_lo, s43
	s_and_saveexec_b32 s43, s8
	s_cbranch_execz .LBB17_54
.LBB17_70:                              ;   in Loop: Header=BB17_45 Depth=1
	v_mov_b32_e32 v10, s35
	ds_load_b32 v10, v10
	s_waitcnt lgkmcnt(0)
	v_add_nc_u32_e32 v9, v10, v9
	s_or_b32 exec_lo, exec_lo, s43
	s_and_saveexec_b32 s43, s9
	s_cbranch_execz .LBB17_55
.LBB17_71:                              ;   in Loop: Header=BB17_45 Depth=1
	v_mov_b32_e32 v10, s36
	ds_load_b32 v10, v10
	s_waitcnt lgkmcnt(0)
	v_add_nc_u32_e32 v9, v10, v9
	s_or_b32 exec_lo, exec_lo, s43
	s_and_saveexec_b32 s43, s10
	s_cbranch_execz .LBB17_56
.LBB17_72:                              ;   in Loop: Header=BB17_45 Depth=1
	v_mov_b32_e32 v10, s37
	ds_load_b32 v10, v10
	s_waitcnt lgkmcnt(0)
	v_add_nc_u32_e32 v9, v10, v9
	s_or_b32 exec_lo, exec_lo, s43
	s_and_saveexec_b32 s43, s11
	s_cbranch_execz .LBB17_57
.LBB17_73:                              ;   in Loop: Header=BB17_45 Depth=1
	v_mov_b32_e32 v10, s39
	ds_load_b32 v10, v10
	s_waitcnt lgkmcnt(0)
	v_add_nc_u32_e32 v9, v10, v9
	s_or_b32 exec_lo, exec_lo, s43
	s_and_saveexec_b32 s43, s12
	s_cbranch_execz .LBB17_58
.LBB17_74:                              ;   in Loop: Header=BB17_45 Depth=1
	v_mov_b32_e32 v10, s40
	ds_load_b32 v10, v10
	s_waitcnt lgkmcnt(0)
	v_add_nc_u32_e32 v9, v10, v9
	s_or_b32 exec_lo, exec_lo, s43
	s_and_saveexec_b32 s43, s13
	s_cbranch_execz .LBB17_59
.LBB17_75:                              ;   in Loop: Header=BB17_45 Depth=1
	v_mov_b32_e32 v10, s41
	ds_load_b32 v10, v10
	s_waitcnt lgkmcnt(0)
	v_add_nc_u32_e32 v9, v10, v9
	s_or_b32 exec_lo, exec_lo, s43
	s_and_saveexec_b32 s43, s14
	s_cbranch_execz .LBB17_60
.LBB17_76:                              ;   in Loop: Header=BB17_45 Depth=1
	v_mov_b32_e32 v10, s42
	ds_load_b32 v10, v10
	s_waitcnt lgkmcnt(0)
	v_add_nc_u32_e32 v9, v10, v9
	s_or_b32 exec_lo, exec_lo, s43
	s_and_saveexec_b32 s43, s15
	s_cbranch_execz .LBB17_61
.LBB17_77:                              ;   in Loop: Header=BB17_45 Depth=1
	s_delay_alu instid0(VALU_DEP_1) | instskip(NEXT) | instid1(VALU_DEP_1)
	v_add3_u32 v10, v7, -1, v9
	v_lshl_add_u32 v10, v10, 2, 0
	ds_store_2addr_stride64_b32 v10, v2, v3 offset1:128
	s_or_b32 exec_lo, exec_lo, s43
	s_and_saveexec_b32 s15, vcc_lo
	s_cbranch_execz .LBB17_44
.LBB17_78:                              ;   in Loop: Header=BB17_45 Depth=1
	v_mov_b32_e32 v2, s38
	ds_store_b32 v2, v9
	s_branch .LBB17_44
.LBB17_79:
	s_or_b32 exec_lo, exec_lo, s19
	s_ashr_i32 s25, s24, 31
	s_mov_b32 s3, exec_lo
	s_lshl_b64 s[0:1], s[24:25], 2
	s_delay_alu instid0(SALU_CYCLE_1) | instskip(SKIP_4) | instid1(SALU_CYCLE_1)
	s_add_u32 s0, s20, s0
	s_addc_u32 s1, s21, s1
	s_load_b64 s[0:1], s[0:1], 0x0
	s_waitcnt lgkmcnt(0)
	s_sub_i32 s2, s1, s0
	v_cmpx_gt_i32_e64 s2, v0
	s_cbranch_execz .LBB17_89
; %bb.80:
	s_sub_i32 s3, s0, s18
	s_sub_i32 s0, s0, s1
	s_and_b32 s1, s2, 7
	s_cmp_lt_u32 s0, -7
	s_mov_b32 s7, 0
	s_cselect_b32 s4, -1, 0
	s_and_b32 s5, s2, -8
	s_cmp_lg_u32 s1, 0
	s_cselect_b32 s6, -1, 0
	s_branch .LBB17_82
.LBB17_81:                              ;   in Loop: Header=BB17_82 Depth=1
	s_delay_alu instid0(VALU_DEP_1) | instskip(SKIP_3) | instid1(VALU_DEP_3)
	v_ashrrev_i32_e32 v4, 31, v3
	v_add_nc_u32_e32 v0, 0x400, v0
	s_waitcnt lgkmcnt(0)
	v_add_nc_u32_e32 v1, s18, v1
	v_lshlrev_b64 v[3:4], 2, v[3:4]
	s_delay_alu instid0(VALU_DEP_3) | instskip(SKIP_1) | instid1(VALU_DEP_2)
	v_cmp_le_i32_e32 vcc_lo, s2, v0
	s_or_b32 s7, vcc_lo, s7
	v_add_co_u32 v5, s0, s22, v3
	s_delay_alu instid0(VALU_DEP_1) | instskip(SKIP_1) | instid1(VALU_DEP_1)
	v_add_co_ci_u32_e64 v6, s0, s23, v4, s0
	v_add_co_u32 v3, s0, s16, v3
	v_add_co_ci_u32_e64 v4, s0, s17, v4, s0
	global_store_b32 v[5:6], v1, off
	global_store_b32 v[3:4], v2, off
	s_and_not1_b32 exec_lo, exec_lo, s7
	s_cbranch_execz .LBB17_89
.LBB17_82:                              ; =>This Loop Header: Depth=1
                                        ;     Child Loop BB17_84 Depth 2
                                        ;     Child Loop BB17_88 Depth 2
	v_lshl_add_u32 v1, v0, 2, 0
	v_mov_b32_e32 v3, s3
	s_and_not1_b32 vcc_lo, exec_lo, s4
	s_mov_b32 s0, 0
	ds_load_2addr_stride64_b32 v[1:2], v1 offset1:128
	s_cbranch_vccnz .LBB17_86
; %bb.83:                               ;   in Loop: Header=BB17_82 Depth=1
	v_mov_b32_e32 v3, s3
	s_mov_b32 s8, 0
	s_set_inst_prefetch_distance 0x1
	.p2align	6
.LBB17_84:                              ;   Parent Loop BB17_82 Depth=1
                                        ; =>  This Inner Loop Header: Depth=2
	v_mov_b32_e32 v10, s8
	s_add_i32 s0, s0, 8
	s_add_i32 s8, s8, 32
	s_cmp_eq_u32 s5, s0
	ds_load_2addr_b32 v[4:5], v10 offset1:1
	ds_load_2addr_b32 v[6:7], v10 offset0:2 offset1:3
	ds_load_2addr_b32 v[8:9], v10 offset0:4 offset1:5
	;; [unrolled: 1-line block ×3, first 2 shown]
	s_waitcnt lgkmcnt(3)
	v_cmp_gt_i32_e32 vcc_lo, v1, v4
	v_cndmask_b32_e64 v4, 0, 1, vcc_lo
	s_waitcnt lgkmcnt(2)
	v_cmp_gt_i32_e32 vcc_lo, v1, v6
	v_cndmask_b32_e64 v6, 0, 1, vcc_lo
	v_cmp_gt_i32_e32 vcc_lo, v1, v5
	v_add_co_ci_u32_e32 v3, vcc_lo, v3, v4, vcc_lo
	s_waitcnt lgkmcnt(1)
	v_cmp_gt_i32_e32 vcc_lo, v1, v8
	v_cndmask_b32_e64 v4, 0, 1, vcc_lo
	v_cmp_gt_i32_e32 vcc_lo, v1, v7
	v_add_co_ci_u32_e32 v3, vcc_lo, v3, v6, vcc_lo
	;; [unrolled: 5-line block ×3, first 2 shown]
	v_cmp_gt_i32_e32 vcc_lo, v1, v11
	s_delay_alu instid0(VALU_DEP_2)
	v_add_co_ci_u32_e32 v3, vcc_lo, v3, v5, vcc_lo
	s_cbranch_scc0 .LBB17_84
; %bb.85:                               ;   in Loop: Header=BB17_82 Depth=1
	s_set_inst_prefetch_distance 0x2
	s_mov_b32 s0, s5
.LBB17_86:                              ;   in Loop: Header=BB17_82 Depth=1
	s_and_not1_b32 vcc_lo, exec_lo, s6
	s_cbranch_vccnz .LBB17_81
; %bb.87:                               ;   in Loop: Header=BB17_82 Depth=1
	s_lshl_b32 s0, s0, 2
	s_mov_b32 s8, s1
	s_add_i32 s0, s0, 0
.LBB17_88:                              ;   Parent Loop BB17_82 Depth=1
                                        ; =>  This Inner Loop Header: Depth=2
	s_delay_alu instid0(SALU_CYCLE_1)
	v_mov_b32_e32 v4, s0
	s_add_i32 s8, s8, -1
	s_add_i32 s0, s0, 4
	s_cmp_lg_u32 s8, 0
	ds_load_b32 v4, v4
	s_waitcnt lgkmcnt(0)
	v_cmp_gt_i32_e32 vcc_lo, v1, v4
	v_add_co_ci_u32_e32 v3, vcc_lo, 0, v3, vcc_lo
	s_cbranch_scc1 .LBB17_88
	s_branch .LBB17_81
.LBB17_89:
	s_nop 0
	s_sendmsg sendmsg(MSG_DEALLOC_VGPRS)
	s_endpgm
	.section	.rodata,"a",@progbits
	.p2align	6, 0x0
	.amdhsa_kernel _ZN9rocsparseL26csrgemm_fill_block_per_rowILj1024ELj64ELj8192ELj137ELj64EiifEEvT5_PKS1_S3_NS_24const_host_device_scalarIT6_EEPKT4_S3_PKS5_S9_S3_SB_S6_S9_S3_SB_S9_PS1_PS5_21rocsparse_index_base_SE_SE_SE_bbb
		.amdhsa_group_segment_fixed_size 0
		.amdhsa_private_segment_fixed_size 0
		.amdhsa_kernarg_size 156
		.amdhsa_user_sgpr_count 15
		.amdhsa_user_sgpr_dispatch_ptr 0
		.amdhsa_user_sgpr_queue_ptr 0
		.amdhsa_user_sgpr_kernarg_segment_ptr 1
		.amdhsa_user_sgpr_dispatch_id 0
		.amdhsa_user_sgpr_private_segment_size 0
		.amdhsa_wavefront_size32 1
		.amdhsa_uses_dynamic_stack 0
		.amdhsa_enable_private_segment 0
		.amdhsa_system_sgpr_workgroup_id_x 1
		.amdhsa_system_sgpr_workgroup_id_y 0
		.amdhsa_system_sgpr_workgroup_id_z 0
		.amdhsa_system_sgpr_workgroup_info 0
		.amdhsa_system_vgpr_workitem_id 0
		.amdhsa_next_free_vgpr 14
		.amdhsa_next_free_sgpr 44
		.amdhsa_reserve_vcc 1
		.amdhsa_float_round_mode_32 0
		.amdhsa_float_round_mode_16_64 0
		.amdhsa_float_denorm_mode_32 3
		.amdhsa_float_denorm_mode_16_64 3
		.amdhsa_dx10_clamp 1
		.amdhsa_ieee_mode 1
		.amdhsa_fp16_overflow 0
		.amdhsa_workgroup_processor_mode 1
		.amdhsa_memory_ordered 1
		.amdhsa_forward_progress 0
		.amdhsa_shared_vgpr_count 0
		.amdhsa_exception_fp_ieee_invalid_op 0
		.amdhsa_exception_fp_denorm_src 0
		.amdhsa_exception_fp_ieee_div_zero 0
		.amdhsa_exception_fp_ieee_overflow 0
		.amdhsa_exception_fp_ieee_underflow 0
		.amdhsa_exception_fp_ieee_inexact 0
		.amdhsa_exception_int_div_zero 0
	.end_amdhsa_kernel
	.section	.text._ZN9rocsparseL26csrgemm_fill_block_per_rowILj1024ELj64ELj8192ELj137ELj64EiifEEvT5_PKS1_S3_NS_24const_host_device_scalarIT6_EEPKT4_S3_PKS5_S9_S3_SB_S6_S9_S3_SB_S9_PS1_PS5_21rocsparse_index_base_SE_SE_SE_bbb,"axG",@progbits,_ZN9rocsparseL26csrgemm_fill_block_per_rowILj1024ELj64ELj8192ELj137ELj64EiifEEvT5_PKS1_S3_NS_24const_host_device_scalarIT6_EEPKT4_S3_PKS5_S9_S3_SB_S6_S9_S3_SB_S9_PS1_PS5_21rocsparse_index_base_SE_SE_SE_bbb,comdat
.Lfunc_end17:
	.size	_ZN9rocsparseL26csrgemm_fill_block_per_rowILj1024ELj64ELj8192ELj137ELj64EiifEEvT5_PKS1_S3_NS_24const_host_device_scalarIT6_EEPKT4_S3_PKS5_S9_S3_SB_S6_S9_S3_SB_S9_PS1_PS5_21rocsparse_index_base_SE_SE_SE_bbb, .Lfunc_end17-_ZN9rocsparseL26csrgemm_fill_block_per_rowILj1024ELj64ELj8192ELj137ELj64EiifEEvT5_PKS1_S3_NS_24const_host_device_scalarIT6_EEPKT4_S3_PKS5_S9_S3_SB_S6_S9_S3_SB_S9_PS1_PS5_21rocsparse_index_base_SE_SE_SE_bbb
                                        ; -- End function
	.section	.AMDGPU.csdata,"",@progbits
; Kernel info:
; codeLenInByte = 3328
; NumSgprs: 46
; NumVgprs: 14
; ScratchSize: 0
; MemoryBound: 0
; FloatMode: 240
; IeeeMode: 1
; LDSByteSize: 0 bytes/workgroup (compile time only)
; SGPRBlocks: 5
; VGPRBlocks: 1
; NumSGPRsForWavesPerEU: 46
; NumVGPRsForWavesPerEU: 14
; Occupancy: 16
; WaveLimiterHint : 1
; COMPUTE_PGM_RSRC2:SCRATCH_EN: 0
; COMPUTE_PGM_RSRC2:USER_SGPR: 15
; COMPUTE_PGM_RSRC2:TRAP_HANDLER: 0
; COMPUTE_PGM_RSRC2:TGID_X_EN: 1
; COMPUTE_PGM_RSRC2:TGID_Y_EN: 0
; COMPUTE_PGM_RSRC2:TGID_Z_EN: 0
; COMPUTE_PGM_RSRC2:TIDIG_COMP_CNT: 0
	.section	.text._ZN9rocsparseL26csrgemm_fill_block_per_rowILj1024ELj64ELj16384ELj137ELj32EiifEEvT5_PKS1_S3_NS_24const_host_device_scalarIT6_EEPKT4_S3_PKS5_S9_S3_SB_S6_S9_S3_SB_S9_PS1_PS5_21rocsparse_index_base_SE_SE_SE_bbb,"axG",@progbits,_ZN9rocsparseL26csrgemm_fill_block_per_rowILj1024ELj64ELj16384ELj137ELj32EiifEEvT5_PKS1_S3_NS_24const_host_device_scalarIT6_EEPKT4_S3_PKS5_S9_S3_SB_S6_S9_S3_SB_S9_PS1_PS5_21rocsparse_index_base_SE_SE_SE_bbb,comdat
	.globl	_ZN9rocsparseL26csrgemm_fill_block_per_rowILj1024ELj64ELj16384ELj137ELj32EiifEEvT5_PKS1_S3_NS_24const_host_device_scalarIT6_EEPKT4_S3_PKS5_S9_S3_SB_S6_S9_S3_SB_S9_PS1_PS5_21rocsparse_index_base_SE_SE_SE_bbb ; -- Begin function _ZN9rocsparseL26csrgemm_fill_block_per_rowILj1024ELj64ELj16384ELj137ELj32EiifEEvT5_PKS1_S3_NS_24const_host_device_scalarIT6_EEPKT4_S3_PKS5_S9_S3_SB_S6_S9_S3_SB_S9_PS1_PS5_21rocsparse_index_base_SE_SE_SE_bbb
	.p2align	8
	.type	_ZN9rocsparseL26csrgemm_fill_block_per_rowILj1024ELj64ELj16384ELj137ELj32EiifEEvT5_PKS1_S3_NS_24const_host_device_scalarIT6_EEPKT4_S3_PKS5_S9_S3_SB_S6_S9_S3_SB_S9_PS1_PS5_21rocsparse_index_base_SE_SE_SE_bbb,@function
_ZN9rocsparseL26csrgemm_fill_block_per_rowILj1024ELj64ELj16384ELj137ELj32EiifEEvT5_PKS1_S3_NS_24const_host_device_scalarIT6_EEPKT4_S3_PKS5_S9_S3_SB_S6_S9_S3_SB_S9_PS1_PS5_21rocsparse_index_base_SE_SE_SE_bbb: ; @_ZN9rocsparseL26csrgemm_fill_block_per_rowILj1024ELj64ELj16384ELj137ELj32EiifEEvT5_PKS1_S3_NS_24const_host_device_scalarIT6_EEPKT4_S3_PKS5_S9_S3_SB_S6_S9_S3_SB_S9_PS1_PS5_21rocsparse_index_base_SE_SE_SE_bbb
; %bb.0:
	s_clause 0x3
	s_load_b32 s12, s[0:1], 0x98
	s_load_b128 s[44:47], s[0:1], 0x88
	s_load_b64 s[4:5], s[0:1], 0x18
	s_load_b64 s[2:3], s[0:1], 0x50
	s_waitcnt lgkmcnt(0)
	s_bitcmp1_b32 s12, 0
	s_cselect_b32 s13, -1, 0
	s_bitcmp1_b32 s12, 16
	s_cselect_b32 s14, -1, 0
	s_xor_b32 s6, s13, -1
	s_delay_alu instid0(SALU_CYCLE_1) | instskip(NEXT) | instid1(SALU_CYCLE_1)
	s_or_b32 s6, s6, s14
	s_and_b32 vcc_lo, exec_lo, s6
	s_cbranch_vccnz .LBB18_2
; %bb.1:
	s_load_b32 s4, s[4:5], 0x0
	s_waitcnt lgkmcnt(0)
	v_mov_b32_e32 v8, s4
	s_branch .LBB18_3
.LBB18_2:
	v_cndmask_b32_e64 v8, 0, s4, s13
.LBB18_3:
	s_clause 0x4
	s_load_b128 s[48:51], s[0:1], 0x78
	s_load_b256 s[36:43], s[0:1], 0x58
	s_load_b128 s[16:19], s[0:1], 0x40
	s_load_b128 s[20:23], s[0:1], 0x8
	s_load_b256 s[4:11], s[0:1], 0x20
	s_bitcmp1_b32 s12, 8
	s_cselect_b32 s12, -1, 0
	s_delay_alu instid0(SALU_CYCLE_1) | instskip(NEXT) | instid1(SALU_CYCLE_1)
	s_xor_b32 s24, s12, -1
	s_or_b32 s14, s24, s14
	s_delay_alu instid0(SALU_CYCLE_1)
	s_and_b32 vcc_lo, exec_lo, s14
	s_cbranch_vccnz .LBB18_5
; %bb.4:
	s_load_b32 s2, s[2:3], 0x0
	s_waitcnt lgkmcnt(0)
	v_mov_b32_e32 v7, s2
	s_branch .LBB18_6
.LBB18_5:
	v_cndmask_b32_e64 v7, 0, s2, s12
.LBB18_6:
	s_load_b32 s33, s[0:1], 0x0
	v_lshl_add_u32 v5, v0, 2, 0
	v_or_b32_e32 v6, 0xfffffc00, v0
	v_mov_b32_e32 v1, 0
	s_mov_b32 s0, 0
	s_delay_alu instid0(VALU_DEP_3)
	v_mov_b32_e32 v2, v5
	s_waitcnt lgkmcnt(0)
	v_dual_mov_b32 v4, v6 :: v_dual_mov_b32 v3, s33
.LBB18_7:                               ; =>This Inner Loop Header: Depth=1
	s_delay_alu instid0(VALU_DEP_1) | instskip(NEXT) | instid1(VALU_DEP_3)
	v_add_nc_u32_e32 v4, 0x400, v4
	v_add_nc_u32_e32 v9, 0x10000, v2
	ds_store_b32 v2, v3
	v_add_nc_u32_e32 v2, 0x1000, v2
	v_cmp_lt_u32_e32 vcc_lo, 0x3bff, v4
	ds_store_b32 v9, v1
	s_or_b32 s0, vcc_lo, s0
	s_delay_alu instid0(SALU_CYCLE_1)
	s_and_not1_b32 exec_lo, exec_lo, s0
	s_cbranch_execnz .LBB18_7
; %bb.8:
	s_or_b32 exec_lo, exec_lo, s0
	s_waitcnt lgkmcnt(0)
	s_barrier
	buffer_gl0_inv
	s_load_b32 s0, s[20:21], 0x0
	s_mov_b32 s1, 0
	s_waitcnt lgkmcnt(0)
	s_add_i32 s0, s0, s15
	s_delay_alu instid0(SALU_CYCLE_1) | instskip(NEXT) | instid1(SALU_CYCLE_1)
	s_lshl_b64 s[0:1], s[0:1], 2
	s_add_u32 s0, s22, s0
	s_addc_u32 s1, s23, s1
	s_and_b32 vcc_lo, exec_lo, s13
	s_load_b32 s34, s[0:1], 0x0
	s_cbranch_vccz .LBB18_28
; %bb.9:
	s_waitcnt lgkmcnt(0)
	s_ashr_i32 s35, s34, 31
	v_lshrrev_b32_e32 v1, 6, v0
	s_lshl_b64 s[0:1], s[34:35], 2
	s_delay_alu instid0(SALU_CYCLE_1) | instskip(SKIP_1) | instid1(VALU_DEP_1)
	s_add_u32 s0, s4, s0
	s_addc_u32 s1, s5, s1
	v_subrev_nc_u32_e32 v1, s44, v1
	s_load_b64 s[0:1], s[0:1], 0x0
	s_waitcnt lgkmcnt(0)
	s_delay_alu instid0(VALU_DEP_1) | instskip(SKIP_2) | instid1(VALU_DEP_1)
	v_add_nc_u32_e32 v1, s0, v1
	s_sub_i32 s0, s1, s44
	s_mov_b32 s1, exec_lo
	v_cmpx_gt_i32_e64 s0, v1
	s_cbranch_execz .LBB18_27
; %bb.10:
	v_and_b32_e32 v2, 63, v0
	s_mov_b32 s2, 0
	s_delay_alu instid0(VALU_DEP_1)
	v_subrev_nc_u32_e32 v9, s45, v2
	s_branch .LBB18_12
.LBB18_11:                              ;   in Loop: Header=BB18_12 Depth=1
	s_or_b32 exec_lo, exec_lo, s3
	v_add_nc_u32_e32 v1, 16, v1
	s_delay_alu instid0(VALU_DEP_1) | instskip(SKIP_1) | instid1(SALU_CYCLE_1)
	v_cmp_le_i32_e32 vcc_lo, s0, v1
	s_or_b32 s2, vcc_lo, s2
	s_and_not1_b32 exec_lo, exec_lo, s2
	s_cbranch_execz .LBB18_27
.LBB18_12:                              ; =>This Loop Header: Depth=1
                                        ;     Child Loop BB18_15 Depth 2
                                        ;       Child Loop BB18_17 Depth 3
	v_ashrrev_i32_e32 v2, 31, v1
	s_mov_b32 s3, exec_lo
	s_delay_alu instid0(VALU_DEP_1) | instskip(NEXT) | instid1(VALU_DEP_1)
	v_lshlrev_b64 v[3:4], 2, v[1:2]
	v_add_co_u32 v10, vcc_lo, s6, v3
	s_delay_alu instid0(VALU_DEP_2) | instskip(SKIP_3) | instid1(VALU_DEP_1)
	v_add_co_ci_u32_e32 v11, vcc_lo, s7, v4, vcc_lo
	global_load_b32 v2, v[10:11], off
	s_waitcnt vmcnt(0)
	v_subrev_nc_u32_e32 v10, s44, v2
	v_ashrrev_i32_e32 v11, 31, v10
	s_delay_alu instid0(VALU_DEP_1) | instskip(NEXT) | instid1(VALU_DEP_1)
	v_lshlrev_b64 v[10:11], 2, v[10:11]
	v_add_co_u32 v10, vcc_lo, s10, v10
	s_delay_alu instid0(VALU_DEP_2) | instskip(SKIP_4) | instid1(VALU_DEP_1)
	v_add_co_ci_u32_e32 v11, vcc_lo, s11, v11, vcc_lo
	global_load_b64 v[11:12], v[10:11], off
	s_waitcnt vmcnt(0)
	v_subrev_nc_u32_e32 v10, s45, v12
	v_add_nc_u32_e32 v2, v11, v9
	v_cmpx_lt_i32_e64 v2, v10
	s_cbranch_execz .LBB18_11
; %bb.13:                               ;   in Loop: Header=BB18_12 Depth=1
	v_add_co_u32 v3, vcc_lo, s8, v3
	v_add_co_ci_u32_e32 v4, vcc_lo, s9, v4, vcc_lo
	s_mov_b32 s4, 0
	global_load_b32 v3, v[3:4], off
	s_waitcnt vmcnt(0)
	v_mul_f32_e32 v4, v8, v3
	s_branch .LBB18_15
.LBB18_14:                              ;   in Loop: Header=BB18_15 Depth=2
	s_or_b32 exec_lo, exec_lo, s5
	v_add_nc_u32_e32 v2, 64, v2
	s_delay_alu instid0(VALU_DEP_1) | instskip(SKIP_1) | instid1(SALU_CYCLE_1)
	v_cmp_ge_i32_e32 vcc_lo, v2, v10
	s_or_b32 s4, vcc_lo, s4
	s_and_not1_b32 exec_lo, exec_lo, s4
	s_cbranch_execz .LBB18_11
.LBB18_15:                              ;   Parent Loop BB18_12 Depth=1
                                        ; =>  This Loop Header: Depth=2
                                        ;       Child Loop BB18_17 Depth 3
	v_ashrrev_i32_e32 v3, 31, v2
	s_mov_b32 s5, 0
	s_delay_alu instid0(VALU_DEP_1) | instskip(NEXT) | instid1(VALU_DEP_1)
	v_lshlrev_b64 v[11:12], 2, v[2:3]
	v_add_co_u32 v13, vcc_lo, s16, v11
	s_delay_alu instid0(VALU_DEP_2)
	v_add_co_ci_u32_e32 v14, vcc_lo, s17, v12, vcc_lo
	v_add_co_u32 v11, vcc_lo, s18, v11
	v_add_co_ci_u32_e32 v12, vcc_lo, s19, v12, vcc_lo
	global_load_b32 v3, v[13:14], off
	global_load_b32 v11, v[11:12], off
	s_waitcnt vmcnt(1)
	v_subrev_nc_u32_e32 v3, s45, v3
	s_delay_alu instid0(VALU_DEP_1) | instskip(SKIP_1) | instid1(VALU_DEP_1)
	v_mul_lo_u32 v12, 0x89, v3
	s_waitcnt vmcnt(0)
	v_dual_mul_f32 v11, v4, v11 :: v_dual_and_b32 v12, 0x3fff, v12
	s_branch .LBB18_17
.LBB18_16:                              ;   in Loop: Header=BB18_17 Depth=3
	s_or_b32 exec_lo, exec_lo, s13
	s_xor_b32 s13, s14, -1
	s_delay_alu instid0(SALU_CYCLE_1) | instskip(NEXT) | instid1(SALU_CYCLE_1)
	s_and_b32 s13, exec_lo, s13
	s_or_b32 s5, s13, s5
	s_delay_alu instid0(SALU_CYCLE_1)
	s_and_not1_b32 exec_lo, exec_lo, s5
	s_cbranch_execz .LBB18_14
.LBB18_17:                              ;   Parent Loop BB18_12 Depth=1
                                        ;     Parent Loop BB18_15 Depth=2
                                        ; =>    This Inner Loop Header: Depth=3
	s_delay_alu instid0(VALU_DEP_1)
	v_lshl_add_u32 v13, v12, 2, 0
	s_mov_b32 s13, exec_lo
                                        ; implicit-def: $sgpr14
	ds_load_b32 v14, v13
	s_waitcnt lgkmcnt(0)
	v_cmpx_ne_u32_e64 v14, v3
	s_xor_b32 s13, exec_lo, s13
	s_cbranch_execz .LBB18_25
; %bb.18:                               ;   in Loop: Header=BB18_17 Depth=3
	s_mov_b32 s15, exec_lo
                                        ; implicit-def: $sgpr14
	v_cmpx_ne_u32_e64 s33, v14
	s_xor_b32 s15, exec_lo, s15
; %bb.19:                               ;   in Loop: Header=BB18_17 Depth=3
	v_add_nc_u32_e32 v12, 1, v12
	s_mov_b32 s14, -1
                                        ; implicit-def: $vgpr13
	s_delay_alu instid0(VALU_DEP_1)
	v_and_b32_e32 v12, 0x3fff, v12
; %bb.20:                               ;   in Loop: Header=BB18_17 Depth=3
	s_and_not1_saveexec_b32 s15, s15
	s_cbranch_execz .LBB18_24
; %bb.21:                               ;   in Loop: Header=BB18_17 Depth=3
	v_mov_b32_e32 v14, s33
	s_mov_b32 s20, -1
	s_mov_b32 s21, exec_lo
	ds_cmpstore_rtn_b32 v13, v13, v3, v14
	s_waitcnt lgkmcnt(0)
	v_cmpx_eq_u32_e64 s33, v13
	s_cbranch_execz .LBB18_23
; %bb.22:                               ;   in Loop: Header=BB18_17 Depth=3
	v_lshlrev_b32_e32 v13, 2, v12
	s_xor_b32 s20, exec_lo, -1
	s_delay_alu instid0(VALU_DEP_1)
	v_add3_u32 v13, 0, v13, 0x10000
	ds_add_f32 v13, v11
.LBB18_23:                              ;   in Loop: Header=BB18_17 Depth=3
	s_or_b32 exec_lo, exec_lo, s21
	s_delay_alu instid0(SALU_CYCLE_1) | instskip(SKIP_1) | instid1(SALU_CYCLE_1)
	s_and_not1_b32 s14, s14, exec_lo
	s_and_b32 s20, s20, exec_lo
	s_or_b32 s14, s14, s20
.LBB18_24:                              ;   in Loop: Header=BB18_17 Depth=3
	s_or_b32 exec_lo, exec_lo, s15
	s_delay_alu instid0(SALU_CYCLE_1)
	s_and_b32 s14, s14, exec_lo
.LBB18_25:                              ;   in Loop: Header=BB18_17 Depth=3
	s_and_not1_saveexec_b32 s13, s13
	s_cbranch_execz .LBB18_16
; %bb.26:                               ;   in Loop: Header=BB18_17 Depth=3
	v_lshlrev_b32_e32 v13, 2, v12
	s_and_not1_b32 s14, s14, exec_lo
	s_delay_alu instid0(VALU_DEP_1)
	v_add3_u32 v13, 0, v13, 0x10000
	ds_add_f32 v13, v11
	s_branch .LBB18_16
.LBB18_27:
	s_or_b32 exec_lo, exec_lo, s1
.LBB18_28:
	s_delay_alu instid0(SALU_CYCLE_1)
	s_and_not1_b32 vcc_lo, exec_lo, s12
	s_cbranch_vccnz .LBB18_45
; %bb.29:
	s_waitcnt lgkmcnt(0)
	s_ashr_i32 s35, s34, 31
	v_subrev_nc_u32_e32 v1, s47, v0
	s_lshl_b64 s[0:1], s[34:35], 2
	s_delay_alu instid0(SALU_CYCLE_1)
	s_add_u32 s0, s36, s0
	s_addc_u32 s1, s37, s1
	s_load_b64 s[0:1], s[0:1], 0x0
	s_waitcnt lgkmcnt(0)
	v_add_nc_u32_e32 v1, s0, v1
	s_sub_i32 s0, s1, s47
	s_mov_b32 s1, exec_lo
	s_delay_alu instid0(VALU_DEP_1)
	v_cmpx_gt_i32_e64 s0, v1
	s_cbranch_execz .LBB18_44
; %bb.30:
	s_mov_b32 s2, 0
	s_branch .LBB18_32
.LBB18_31:                              ;   in Loop: Header=BB18_32 Depth=1
	s_or_b32 exec_lo, exec_lo, s3
	v_add_nc_u32_e32 v1, 0x400, v1
	s_delay_alu instid0(VALU_DEP_1) | instskip(SKIP_1) | instid1(SALU_CYCLE_1)
	v_cmp_le_i32_e32 vcc_lo, s0, v1
	s_or_b32 s2, vcc_lo, s2
	s_and_not1_b32 exec_lo, exec_lo, s2
	s_cbranch_execz .LBB18_44
.LBB18_32:                              ; =>This Loop Header: Depth=1
                                        ;     Child Loop BB18_34 Depth 2
	v_ashrrev_i32_e32 v2, 31, v1
	s_mov_b32 s3, 0
	s_delay_alu instid0(VALU_DEP_1) | instskip(NEXT) | instid1(VALU_DEP_1)
	v_lshlrev_b64 v[2:3], 2, v[1:2]
	v_add_co_u32 v8, vcc_lo, s38, v2
	s_delay_alu instid0(VALU_DEP_2)
	v_add_co_ci_u32_e32 v9, vcc_lo, s39, v3, vcc_lo
	v_add_co_u32 v2, vcc_lo, s40, v2
	v_add_co_ci_u32_e32 v3, vcc_lo, s41, v3, vcc_lo
	global_load_b32 v4, v[8:9], off
	global_load_b32 v3, v[2:3], off
	s_waitcnt vmcnt(1)
	v_subrev_nc_u32_e32 v2, s47, v4
	s_delay_alu instid0(VALU_DEP_1) | instskip(SKIP_1) | instid1(VALU_DEP_1)
	v_mul_lo_u32 v4, 0x89, v2
	s_waitcnt vmcnt(0)
	v_dual_mul_f32 v3, v7, v3 :: v_dual_and_b32 v4, 0x3fff, v4
	s_branch .LBB18_34
.LBB18_33:                              ;   in Loop: Header=BB18_34 Depth=2
	s_or_b32 exec_lo, exec_lo, s4
	s_xor_b32 s4, s5, -1
	s_delay_alu instid0(SALU_CYCLE_1) | instskip(NEXT) | instid1(SALU_CYCLE_1)
	s_and_b32 s4, exec_lo, s4
	s_or_b32 s3, s4, s3
	s_delay_alu instid0(SALU_CYCLE_1)
	s_and_not1_b32 exec_lo, exec_lo, s3
	s_cbranch_execz .LBB18_31
.LBB18_34:                              ;   Parent Loop BB18_32 Depth=1
                                        ; =>  This Inner Loop Header: Depth=2
	s_delay_alu instid0(VALU_DEP_1)
	v_lshl_add_u32 v8, v4, 2, 0
	s_mov_b32 s4, exec_lo
                                        ; implicit-def: $sgpr5
	ds_load_b32 v9, v8
	s_waitcnt lgkmcnt(0)
	v_cmpx_ne_u32_e64 v9, v2
	s_xor_b32 s4, exec_lo, s4
	s_cbranch_execz .LBB18_42
; %bb.35:                               ;   in Loop: Header=BB18_34 Depth=2
	s_mov_b32 s6, exec_lo
                                        ; implicit-def: $sgpr5
	v_cmpx_ne_u32_e64 s33, v9
	s_xor_b32 s6, exec_lo, s6
; %bb.36:                               ;   in Loop: Header=BB18_34 Depth=2
	v_add_nc_u32_e32 v4, 1, v4
	s_mov_b32 s5, -1
                                        ; implicit-def: $vgpr8
	s_delay_alu instid0(VALU_DEP_1)
	v_and_b32_e32 v4, 0x3fff, v4
; %bb.37:                               ;   in Loop: Header=BB18_34 Depth=2
	s_and_not1_saveexec_b32 s6, s6
	s_cbranch_execz .LBB18_41
; %bb.38:                               ;   in Loop: Header=BB18_34 Depth=2
	v_mov_b32_e32 v9, s33
	s_mov_b32 s7, -1
	s_mov_b32 s8, exec_lo
	ds_cmpstore_rtn_b32 v8, v8, v2, v9
	s_waitcnt lgkmcnt(0)
	v_cmpx_eq_u32_e64 s33, v8
	s_cbranch_execz .LBB18_40
; %bb.39:                               ;   in Loop: Header=BB18_34 Depth=2
	v_lshlrev_b32_e32 v8, 2, v4
	s_xor_b32 s7, exec_lo, -1
	s_delay_alu instid0(VALU_DEP_1)
	v_add3_u32 v8, 0, v8, 0x10000
	ds_add_f32 v8, v3
.LBB18_40:                              ;   in Loop: Header=BB18_34 Depth=2
	s_or_b32 exec_lo, exec_lo, s8
	s_delay_alu instid0(SALU_CYCLE_1) | instskip(SKIP_1) | instid1(SALU_CYCLE_1)
	s_and_not1_b32 s5, s5, exec_lo
	s_and_b32 s7, s7, exec_lo
	s_or_b32 s5, s5, s7
.LBB18_41:                              ;   in Loop: Header=BB18_34 Depth=2
	s_or_b32 exec_lo, exec_lo, s6
	s_delay_alu instid0(SALU_CYCLE_1)
	s_and_b32 s5, s5, exec_lo
.LBB18_42:                              ;   in Loop: Header=BB18_34 Depth=2
	s_and_not1_saveexec_b32 s4, s4
	s_cbranch_execz .LBB18_33
; %bb.43:                               ;   in Loop: Header=BB18_34 Depth=2
	v_lshlrev_b32_e32 v8, 2, v4
	s_and_not1_b32 s5, s5, exec_lo
	s_delay_alu instid0(VALU_DEP_1)
	v_add3_u32 v8, 0, v8, 0x10000
	ds_add_f32 v8, v3
	s_branch .LBB18_33
.LBB18_44:
	s_or_b32 exec_lo, exec_lo, s1
.LBB18_45:
	v_mbcnt_lo_u32_b32 v1, -1, 0
	v_lshrrev_b32_e32 v2, 3, v0
	s_add_i32 s70, 0, 0x2007c
	v_cmp_eq_u32_e32 vcc_lo, 0x3ff, v0
	v_cmp_lt_u32_e64 s0, 31, v0
	v_xor_b32_e32 v1, 63, v1
	v_dual_mov_b32 v4, s70 :: v_dual_and_b32 v3, 0x7c, v2
	v_cmp_lt_u32_e64 s1, 63, v0
	v_cmp_lt_u32_e64 s2, 0x5f, v0
	s_delay_alu instid0(VALU_DEP_4) | instskip(NEXT) | instid1(VALU_DEP_4)
	v_lshrrev_b64 v[1:2], v1, -1
	v_add3_u32 v2, 0, 0x20000, v3
	v_cmp_lt_u32_e64 s3, 0x7f, v0
	v_cmp_lt_u32_e64 s4, 0x9f, v0
	;; [unrolled: 1-line block ×28, first 2 shown]
	v_mov_b32_e32 v3, 0
	s_mov_b32 s35, 0
	s_add_i32 s36, 0, 0x20000
	s_add_i32 s37, 0, 0x20004
	;; [unrolled: 1-line block ×31, first 2 shown]
	s_waitcnt lgkmcnt(0)
	s_barrier
	buffer_gl0_inv
	s_branch .LBB18_47
.LBB18_46:                              ;   in Loop: Header=BB18_47 Depth=1
	s_or_b32 exec_lo, exec_lo, s31
	s_waitcnt lgkmcnt(0)
	s_barrier
	buffer_gl0_inv
	ds_load_b32 v7, v4
	v_add_nc_u32_e32 v6, 0x400, v6
	v_add_nc_u32_e32 v5, 0x1000, v5
	s_delay_alu instid0(VALU_DEP_2) | instskip(NEXT) | instid1(VALU_DEP_1)
	v_cmp_lt_u32_e64 s31, 0x3bff, v6
	s_or_b32 s35, s31, s35
	s_waitcnt lgkmcnt(0)
	v_add_nc_u32_e32 v3, v7, v3
	s_and_not1_b32 exec_lo, exec_lo, s35
	s_cbranch_execz .LBB18_113
.LBB18_47:                              ; =>This Inner Loop Header: Depth=1
	ds_load_b32 v7, v5
	v_add_nc_u32_e32 v8, 0x10000, v5
	ds_load_b32 v8, v8
	s_waitcnt lgkmcnt(0)
	s_barrier
	buffer_gl0_inv
	v_cmp_gt_i32_e64 s31, s33, v7
	s_delay_alu instid0(VALU_DEP_1) | instskip(NEXT) | instid1(SALU_CYCLE_1)
	s_bcnt1_i32_b32 s75, s31
	v_dual_mov_b32 v10, s75 :: v_dual_and_b32 v9, s31, v1
	s_delay_alu instid0(VALU_DEP_1)
	v_bcnt_u32_b32 v9, v9, 0
	ds_store_b32 v2, v10
	s_waitcnt lgkmcnt(0)
	s_barrier
	buffer_gl0_inv
	s_and_saveexec_b32 s75, s0
	s_cbranch_execnz .LBB18_80
; %bb.48:                               ;   in Loop: Header=BB18_47 Depth=1
	s_or_b32 exec_lo, exec_lo, s75
	s_and_saveexec_b32 s75, s1
	s_cbranch_execnz .LBB18_81
.LBB18_49:                              ;   in Loop: Header=BB18_47 Depth=1
	s_or_b32 exec_lo, exec_lo, s75
	s_and_saveexec_b32 s75, s2
	s_cbranch_execnz .LBB18_82
.LBB18_50:                              ;   in Loop: Header=BB18_47 Depth=1
	s_or_b32 exec_lo, exec_lo, s75
	s_and_saveexec_b32 s75, s3
	s_cbranch_execnz .LBB18_83
.LBB18_51:                              ;   in Loop: Header=BB18_47 Depth=1
	s_or_b32 exec_lo, exec_lo, s75
	s_and_saveexec_b32 s75, s4
	s_cbranch_execnz .LBB18_84
.LBB18_52:                              ;   in Loop: Header=BB18_47 Depth=1
	s_or_b32 exec_lo, exec_lo, s75
	s_and_saveexec_b32 s75, s5
	s_cbranch_execnz .LBB18_85
.LBB18_53:                              ;   in Loop: Header=BB18_47 Depth=1
	s_or_b32 exec_lo, exec_lo, s75
	s_and_saveexec_b32 s75, s6
	s_cbranch_execnz .LBB18_86
.LBB18_54:                              ;   in Loop: Header=BB18_47 Depth=1
	s_or_b32 exec_lo, exec_lo, s75
	s_and_saveexec_b32 s75, s7
	s_cbranch_execnz .LBB18_87
.LBB18_55:                              ;   in Loop: Header=BB18_47 Depth=1
	s_or_b32 exec_lo, exec_lo, s75
	s_and_saveexec_b32 s75, s8
	s_cbranch_execnz .LBB18_88
.LBB18_56:                              ;   in Loop: Header=BB18_47 Depth=1
	s_or_b32 exec_lo, exec_lo, s75
	s_and_saveexec_b32 s75, s9
	s_cbranch_execnz .LBB18_89
.LBB18_57:                              ;   in Loop: Header=BB18_47 Depth=1
	s_or_b32 exec_lo, exec_lo, s75
	s_and_saveexec_b32 s75, s10
	s_cbranch_execnz .LBB18_90
.LBB18_58:                              ;   in Loop: Header=BB18_47 Depth=1
	s_or_b32 exec_lo, exec_lo, s75
	s_and_saveexec_b32 s75, s11
	s_cbranch_execnz .LBB18_91
.LBB18_59:                              ;   in Loop: Header=BB18_47 Depth=1
	s_or_b32 exec_lo, exec_lo, s75
	s_and_saveexec_b32 s75, s12
	s_cbranch_execnz .LBB18_92
.LBB18_60:                              ;   in Loop: Header=BB18_47 Depth=1
	s_or_b32 exec_lo, exec_lo, s75
	s_and_saveexec_b32 s75, s13
	s_cbranch_execnz .LBB18_93
.LBB18_61:                              ;   in Loop: Header=BB18_47 Depth=1
	s_or_b32 exec_lo, exec_lo, s75
	s_and_saveexec_b32 s75, s14
	s_cbranch_execnz .LBB18_94
.LBB18_62:                              ;   in Loop: Header=BB18_47 Depth=1
	s_or_b32 exec_lo, exec_lo, s75
	s_and_saveexec_b32 s75, s15
	s_cbranch_execnz .LBB18_95
.LBB18_63:                              ;   in Loop: Header=BB18_47 Depth=1
	s_or_b32 exec_lo, exec_lo, s75
	s_and_saveexec_b32 s75, s16
	s_cbranch_execnz .LBB18_96
.LBB18_64:                              ;   in Loop: Header=BB18_47 Depth=1
	s_or_b32 exec_lo, exec_lo, s75
	s_and_saveexec_b32 s75, s17
	s_cbranch_execnz .LBB18_97
.LBB18_65:                              ;   in Loop: Header=BB18_47 Depth=1
	s_or_b32 exec_lo, exec_lo, s75
	s_and_saveexec_b32 s75, s18
	s_cbranch_execnz .LBB18_98
.LBB18_66:                              ;   in Loop: Header=BB18_47 Depth=1
	s_or_b32 exec_lo, exec_lo, s75
	s_and_saveexec_b32 s75, s19
	s_cbranch_execnz .LBB18_99
.LBB18_67:                              ;   in Loop: Header=BB18_47 Depth=1
	s_or_b32 exec_lo, exec_lo, s75
	s_and_saveexec_b32 s75, s20
	s_cbranch_execnz .LBB18_100
.LBB18_68:                              ;   in Loop: Header=BB18_47 Depth=1
	s_or_b32 exec_lo, exec_lo, s75
	s_and_saveexec_b32 s75, s21
	s_cbranch_execnz .LBB18_101
.LBB18_69:                              ;   in Loop: Header=BB18_47 Depth=1
	s_or_b32 exec_lo, exec_lo, s75
	s_and_saveexec_b32 s75, s22
	s_cbranch_execnz .LBB18_102
.LBB18_70:                              ;   in Loop: Header=BB18_47 Depth=1
	s_or_b32 exec_lo, exec_lo, s75
	s_and_saveexec_b32 s75, s23
	s_cbranch_execnz .LBB18_103
.LBB18_71:                              ;   in Loop: Header=BB18_47 Depth=1
	s_or_b32 exec_lo, exec_lo, s75
	s_and_saveexec_b32 s75, s24
	s_cbranch_execnz .LBB18_104
.LBB18_72:                              ;   in Loop: Header=BB18_47 Depth=1
	s_or_b32 exec_lo, exec_lo, s75
	s_and_saveexec_b32 s75, s25
	s_cbranch_execnz .LBB18_105
.LBB18_73:                              ;   in Loop: Header=BB18_47 Depth=1
	s_or_b32 exec_lo, exec_lo, s75
	s_and_saveexec_b32 s75, s26
	s_cbranch_execnz .LBB18_106
.LBB18_74:                              ;   in Loop: Header=BB18_47 Depth=1
	s_or_b32 exec_lo, exec_lo, s75
	s_and_saveexec_b32 s75, s27
	s_cbranch_execnz .LBB18_107
.LBB18_75:                              ;   in Loop: Header=BB18_47 Depth=1
	s_or_b32 exec_lo, exec_lo, s75
	s_and_saveexec_b32 s75, s28
	s_cbranch_execnz .LBB18_108
.LBB18_76:                              ;   in Loop: Header=BB18_47 Depth=1
	s_or_b32 exec_lo, exec_lo, s75
	s_and_saveexec_b32 s75, s29
	s_cbranch_execnz .LBB18_109
.LBB18_77:                              ;   in Loop: Header=BB18_47 Depth=1
	s_or_b32 exec_lo, exec_lo, s75
	s_and_saveexec_b32 s75, s30
	s_cbranch_execnz .LBB18_110
.LBB18_78:                              ;   in Loop: Header=BB18_47 Depth=1
	s_or_b32 exec_lo, exec_lo, s75
	s_and_saveexec_b32 s75, s31
	s_cbranch_execnz .LBB18_111
.LBB18_79:                              ;   in Loop: Header=BB18_47 Depth=1
	s_or_b32 exec_lo, exec_lo, s75
	s_and_saveexec_b32 s31, vcc_lo
	s_cbranch_execz .LBB18_46
	s_branch .LBB18_112
.LBB18_80:                              ;   in Loop: Header=BB18_47 Depth=1
	v_mov_b32_e32 v10, s36
	ds_load_b32 v10, v10
	s_waitcnt lgkmcnt(0)
	v_add_nc_u32_e32 v9, v10, v9
	s_or_b32 exec_lo, exec_lo, s75
	s_and_saveexec_b32 s75, s1
	s_cbranch_execz .LBB18_49
.LBB18_81:                              ;   in Loop: Header=BB18_47 Depth=1
	v_mov_b32_e32 v10, s37
	ds_load_b32 v10, v10
	s_waitcnt lgkmcnt(0)
	v_add_nc_u32_e32 v9, v10, v9
	s_or_b32 exec_lo, exec_lo, s75
	s_and_saveexec_b32 s75, s2
	s_cbranch_execz .LBB18_50
.LBB18_82:                              ;   in Loop: Header=BB18_47 Depth=1
	v_mov_b32_e32 v10, s38
	ds_load_b32 v10, v10
	s_waitcnt lgkmcnt(0)
	v_add_nc_u32_e32 v9, v10, v9
	s_or_b32 exec_lo, exec_lo, s75
	s_and_saveexec_b32 s75, s3
	s_cbranch_execz .LBB18_51
.LBB18_83:                              ;   in Loop: Header=BB18_47 Depth=1
	v_mov_b32_e32 v10, s39
	ds_load_b32 v10, v10
	s_waitcnt lgkmcnt(0)
	v_add_nc_u32_e32 v9, v10, v9
	s_or_b32 exec_lo, exec_lo, s75
	s_and_saveexec_b32 s75, s4
	s_cbranch_execz .LBB18_52
.LBB18_84:                              ;   in Loop: Header=BB18_47 Depth=1
	v_mov_b32_e32 v10, s40
	ds_load_b32 v10, v10
	s_waitcnt lgkmcnt(0)
	v_add_nc_u32_e32 v9, v10, v9
	s_or_b32 exec_lo, exec_lo, s75
	s_and_saveexec_b32 s75, s5
	s_cbranch_execz .LBB18_53
.LBB18_85:                              ;   in Loop: Header=BB18_47 Depth=1
	v_mov_b32_e32 v10, s41
	ds_load_b32 v10, v10
	s_waitcnt lgkmcnt(0)
	v_add_nc_u32_e32 v9, v10, v9
	s_or_b32 exec_lo, exec_lo, s75
	s_and_saveexec_b32 s75, s6
	s_cbranch_execz .LBB18_54
.LBB18_86:                              ;   in Loop: Header=BB18_47 Depth=1
	v_mov_b32_e32 v10, s44
	ds_load_b32 v10, v10
	s_waitcnt lgkmcnt(0)
	v_add_nc_u32_e32 v9, v10, v9
	s_or_b32 exec_lo, exec_lo, s75
	s_and_saveexec_b32 s75, s7
	s_cbranch_execz .LBB18_55
.LBB18_87:                              ;   in Loop: Header=BB18_47 Depth=1
	v_mov_b32_e32 v10, s45
	ds_load_b32 v10, v10
	s_waitcnt lgkmcnt(0)
	v_add_nc_u32_e32 v9, v10, v9
	s_or_b32 exec_lo, exec_lo, s75
	s_and_saveexec_b32 s75, s8
	s_cbranch_execz .LBB18_56
.LBB18_88:                              ;   in Loop: Header=BB18_47 Depth=1
	v_mov_b32_e32 v10, s47
	ds_load_b32 v10, v10
	s_waitcnt lgkmcnt(0)
	v_add_nc_u32_e32 v9, v10, v9
	s_or_b32 exec_lo, exec_lo, s75
	s_and_saveexec_b32 s75, s9
	s_cbranch_execz .LBB18_57
.LBB18_89:                              ;   in Loop: Header=BB18_47 Depth=1
	v_mov_b32_e32 v10, s52
	ds_load_b32 v10, v10
	s_waitcnt lgkmcnt(0)
	v_add_nc_u32_e32 v9, v10, v9
	s_or_b32 exec_lo, exec_lo, s75
	s_and_saveexec_b32 s75, s10
	s_cbranch_execz .LBB18_58
.LBB18_90:                              ;   in Loop: Header=BB18_47 Depth=1
	v_mov_b32_e32 v10, s53
	ds_load_b32 v10, v10
	s_waitcnt lgkmcnt(0)
	v_add_nc_u32_e32 v9, v10, v9
	s_or_b32 exec_lo, exec_lo, s75
	s_and_saveexec_b32 s75, s11
	s_cbranch_execz .LBB18_59
.LBB18_91:                              ;   in Loop: Header=BB18_47 Depth=1
	v_mov_b32_e32 v10, s54
	ds_load_b32 v10, v10
	s_waitcnt lgkmcnt(0)
	v_add_nc_u32_e32 v9, v10, v9
	s_or_b32 exec_lo, exec_lo, s75
	s_and_saveexec_b32 s75, s12
	s_cbranch_execz .LBB18_60
.LBB18_92:                              ;   in Loop: Header=BB18_47 Depth=1
	v_mov_b32_e32 v10, s55
	ds_load_b32 v10, v10
	s_waitcnt lgkmcnt(0)
	v_add_nc_u32_e32 v9, v10, v9
	s_or_b32 exec_lo, exec_lo, s75
	s_and_saveexec_b32 s75, s13
	s_cbranch_execz .LBB18_61
.LBB18_93:                              ;   in Loop: Header=BB18_47 Depth=1
	v_mov_b32_e32 v10, s56
	ds_load_b32 v10, v10
	s_waitcnt lgkmcnt(0)
	v_add_nc_u32_e32 v9, v10, v9
	s_or_b32 exec_lo, exec_lo, s75
	s_and_saveexec_b32 s75, s14
	s_cbranch_execz .LBB18_62
.LBB18_94:                              ;   in Loop: Header=BB18_47 Depth=1
	v_mov_b32_e32 v10, s57
	ds_load_b32 v10, v10
	s_waitcnt lgkmcnt(0)
	v_add_nc_u32_e32 v9, v10, v9
	s_or_b32 exec_lo, exec_lo, s75
	s_and_saveexec_b32 s75, s15
	s_cbranch_execz .LBB18_63
.LBB18_95:                              ;   in Loop: Header=BB18_47 Depth=1
	v_mov_b32_e32 v10, s58
	ds_load_b32 v10, v10
	s_waitcnt lgkmcnt(0)
	v_add_nc_u32_e32 v9, v10, v9
	s_or_b32 exec_lo, exec_lo, s75
	s_and_saveexec_b32 s75, s16
	s_cbranch_execz .LBB18_64
.LBB18_96:                              ;   in Loop: Header=BB18_47 Depth=1
	v_mov_b32_e32 v10, s59
	ds_load_b32 v10, v10
	s_waitcnt lgkmcnt(0)
	v_add_nc_u32_e32 v9, v10, v9
	s_or_b32 exec_lo, exec_lo, s75
	s_and_saveexec_b32 s75, s17
	s_cbranch_execz .LBB18_65
.LBB18_97:                              ;   in Loop: Header=BB18_47 Depth=1
	v_mov_b32_e32 v10, s60
	ds_load_b32 v10, v10
	s_waitcnt lgkmcnt(0)
	v_add_nc_u32_e32 v9, v10, v9
	s_or_b32 exec_lo, exec_lo, s75
	s_and_saveexec_b32 s75, s18
	s_cbranch_execz .LBB18_66
.LBB18_98:                              ;   in Loop: Header=BB18_47 Depth=1
	v_mov_b32_e32 v10, s61
	ds_load_b32 v10, v10
	s_waitcnt lgkmcnt(0)
	v_add_nc_u32_e32 v9, v10, v9
	s_or_b32 exec_lo, exec_lo, s75
	s_and_saveexec_b32 s75, s19
	s_cbranch_execz .LBB18_67
.LBB18_99:                              ;   in Loop: Header=BB18_47 Depth=1
	v_mov_b32_e32 v10, s62
	ds_load_b32 v10, v10
	s_waitcnt lgkmcnt(0)
	v_add_nc_u32_e32 v9, v10, v9
	s_or_b32 exec_lo, exec_lo, s75
	s_and_saveexec_b32 s75, s20
	s_cbranch_execz .LBB18_68
.LBB18_100:                             ;   in Loop: Header=BB18_47 Depth=1
	v_mov_b32_e32 v10, s63
	ds_load_b32 v10, v10
	s_waitcnt lgkmcnt(0)
	v_add_nc_u32_e32 v9, v10, v9
	s_or_b32 exec_lo, exec_lo, s75
	s_and_saveexec_b32 s75, s21
	s_cbranch_execz .LBB18_69
.LBB18_101:                             ;   in Loop: Header=BB18_47 Depth=1
	v_mov_b32_e32 v10, s64
	ds_load_b32 v10, v10
	s_waitcnt lgkmcnt(0)
	v_add_nc_u32_e32 v9, v10, v9
	s_or_b32 exec_lo, exec_lo, s75
	s_and_saveexec_b32 s75, s22
	s_cbranch_execz .LBB18_70
.LBB18_102:                             ;   in Loop: Header=BB18_47 Depth=1
	v_mov_b32_e32 v10, s65
	ds_load_b32 v10, v10
	s_waitcnt lgkmcnt(0)
	v_add_nc_u32_e32 v9, v10, v9
	s_or_b32 exec_lo, exec_lo, s75
	s_and_saveexec_b32 s75, s23
	s_cbranch_execz .LBB18_71
.LBB18_103:                             ;   in Loop: Header=BB18_47 Depth=1
	v_mov_b32_e32 v10, s66
	ds_load_b32 v10, v10
	s_waitcnt lgkmcnt(0)
	v_add_nc_u32_e32 v9, v10, v9
	s_or_b32 exec_lo, exec_lo, s75
	s_and_saveexec_b32 s75, s24
	s_cbranch_execz .LBB18_72
.LBB18_104:                             ;   in Loop: Header=BB18_47 Depth=1
	v_mov_b32_e32 v10, s67
	ds_load_b32 v10, v10
	s_waitcnt lgkmcnt(0)
	v_add_nc_u32_e32 v9, v10, v9
	s_or_b32 exec_lo, exec_lo, s75
	s_and_saveexec_b32 s75, s25
	s_cbranch_execz .LBB18_73
.LBB18_105:                             ;   in Loop: Header=BB18_47 Depth=1
	v_mov_b32_e32 v10, s68
	ds_load_b32 v10, v10
	s_waitcnt lgkmcnt(0)
	v_add_nc_u32_e32 v9, v10, v9
	s_or_b32 exec_lo, exec_lo, s75
	s_and_saveexec_b32 s75, s26
	s_cbranch_execz .LBB18_74
.LBB18_106:                             ;   in Loop: Header=BB18_47 Depth=1
	v_mov_b32_e32 v10, s69
	ds_load_b32 v10, v10
	s_waitcnt lgkmcnt(0)
	v_add_nc_u32_e32 v9, v10, v9
	s_or_b32 exec_lo, exec_lo, s75
	s_and_saveexec_b32 s75, s27
	s_cbranch_execz .LBB18_75
.LBB18_107:                             ;   in Loop: Header=BB18_47 Depth=1
	v_mov_b32_e32 v10, s71
	ds_load_b32 v10, v10
	s_waitcnt lgkmcnt(0)
	v_add_nc_u32_e32 v9, v10, v9
	s_or_b32 exec_lo, exec_lo, s75
	s_and_saveexec_b32 s75, s28
	s_cbranch_execz .LBB18_76
.LBB18_108:                             ;   in Loop: Header=BB18_47 Depth=1
	v_mov_b32_e32 v10, s72
	ds_load_b32 v10, v10
	s_waitcnt lgkmcnt(0)
	v_add_nc_u32_e32 v9, v10, v9
	s_or_b32 exec_lo, exec_lo, s75
	s_and_saveexec_b32 s75, s29
	s_cbranch_execz .LBB18_77
.LBB18_109:                             ;   in Loop: Header=BB18_47 Depth=1
	v_mov_b32_e32 v10, s73
	ds_load_b32 v10, v10
	s_waitcnt lgkmcnt(0)
	v_add_nc_u32_e32 v9, v10, v9
	s_or_b32 exec_lo, exec_lo, s75
	s_and_saveexec_b32 s75, s30
	s_cbranch_execz .LBB18_78
.LBB18_110:                             ;   in Loop: Header=BB18_47 Depth=1
	v_mov_b32_e32 v10, s74
	ds_load_b32 v10, v10
	s_waitcnt lgkmcnt(0)
	v_add_nc_u32_e32 v9, v10, v9
	s_or_b32 exec_lo, exec_lo, s75
	s_and_saveexec_b32 s75, s31
	s_cbranch_execz .LBB18_79
.LBB18_111:                             ;   in Loop: Header=BB18_47 Depth=1
	s_delay_alu instid0(VALU_DEP_1) | instskip(NEXT) | instid1(VALU_DEP_1)
	v_add3_u32 v10, v3, -1, v9
	v_lshl_add_u32 v10, v10, 2, 0
	s_delay_alu instid0(VALU_DEP_1)
	v_add_nc_u32_e32 v11, 0x10000, v10
	ds_store_b32 v10, v7
	ds_store_b32 v11, v8
	s_or_b32 exec_lo, exec_lo, s75
	s_and_saveexec_b32 s31, vcc_lo
	s_cbranch_execz .LBB18_46
.LBB18_112:                             ;   in Loop: Header=BB18_47 Depth=1
	v_mov_b32_e32 v7, s70
	ds_store_b32 v7, v9
	s_branch .LBB18_46
.LBB18_113:
	s_or_b32 exec_lo, exec_lo, s35
	s_ashr_i32 s35, s34, 31
	s_mov_b32 s3, exec_lo
	s_lshl_b64 s[0:1], s[34:35], 2
	s_delay_alu instid0(SALU_CYCLE_1) | instskip(SKIP_4) | instid1(SALU_CYCLE_1)
	s_add_u32 s0, s42, s0
	s_addc_u32 s1, s43, s1
	s_load_b64 s[0:1], s[0:1], 0x0
	s_waitcnt lgkmcnt(0)
	s_sub_i32 s2, s1, s0
	v_cmpx_gt_i32_e64 s2, v0
	s_cbranch_execz .LBB18_123
; %bb.114:
	s_sub_i32 s3, s0, s46
	s_sub_i32 s0, s0, s1
	s_and_b32 s1, s2, 7
	s_cmp_lt_u32 s0, -7
	s_mov_b32 s7, 0
	s_cselect_b32 s4, -1, 0
	s_and_b32 s5, s2, -8
	s_cmp_lg_u32 s1, 0
	s_cselect_b32 s6, -1, 0
	s_branch .LBB18_116
.LBB18_115:                             ;   in Loop: Header=BB18_116 Depth=1
	s_delay_alu instid0(VALU_DEP_1) | instskip(SKIP_3) | instid1(VALU_DEP_3)
	v_ashrrev_i32_e32 v2, 31, v1
	v_add_nc_u32_e32 v0, 0x400, v0
	s_waitcnt lgkmcnt(1)
	v_add_nc_u32_e32 v6, s46, v4
	v_lshlrev_b64 v[1:2], 2, v[1:2]
	s_delay_alu instid0(VALU_DEP_3) | instskip(SKIP_1) | instid1(VALU_DEP_2)
	v_cmp_le_i32_e32 vcc_lo, s2, v0
	s_or_b32 s7, vcc_lo, s7
	v_add_co_u32 v4, s0, s48, v1
	s_delay_alu instid0(VALU_DEP_1) | instskip(SKIP_1) | instid1(VALU_DEP_1)
	v_add_co_ci_u32_e64 v5, s0, s49, v2, s0
	v_add_co_u32 v1, s0, s50, v1
	v_add_co_ci_u32_e64 v2, s0, s51, v2, s0
	global_store_b32 v[4:5], v6, off
	s_waitcnt lgkmcnt(0)
	global_store_b32 v[1:2], v3, off
	s_and_not1_b32 exec_lo, exec_lo, s7
	s_cbranch_execz .LBB18_123
.LBB18_116:                             ; =>This Loop Header: Depth=1
                                        ;     Child Loop BB18_118 Depth 2
                                        ;     Child Loop BB18_122 Depth 2
	v_lshl_add_u32 v1, v0, 2, 0
	s_and_not1_b32 vcc_lo, exec_lo, s4
	s_mov_b32 s0, 0
	s_delay_alu instid0(VALU_DEP_1)
	v_add_nc_u32_e32 v2, 0x10000, v1
	ds_load_b32 v4, v1
	ds_load_b32 v3, v2
	v_mov_b32_e32 v1, s3
	s_cbranch_vccnz .LBB18_120
; %bb.117:                              ;   in Loop: Header=BB18_116 Depth=1
	v_mov_b32_e32 v1, s3
	s_mov_b32 s8, 0
	s_set_inst_prefetch_distance 0x1
	.p2align	6
.LBB18_118:                             ;   Parent Loop BB18_116 Depth=1
                                        ; =>  This Inner Loop Header: Depth=2
	v_mov_b32_e32 v2, s8
	s_add_i32 s0, s0, 8
	s_add_i32 s8, s8, 32
	s_cmp_eq_u32 s5, s0
	ds_load_2addr_b32 v[5:6], v2 offset1:1
	ds_load_2addr_b32 v[7:8], v2 offset0:2 offset1:3
	ds_load_2addr_b32 v[9:10], v2 offset0:4 offset1:5
	;; [unrolled: 1-line block ×3, first 2 shown]
	s_waitcnt lgkmcnt(3)
	v_cmp_gt_i32_e32 vcc_lo, v4, v5
	v_cndmask_b32_e64 v2, 0, 1, vcc_lo
	s_waitcnt lgkmcnt(2)
	v_cmp_gt_i32_e32 vcc_lo, v4, v7
	v_cndmask_b32_e64 v5, 0, 1, vcc_lo
	v_cmp_gt_i32_e32 vcc_lo, v4, v6
	v_add_co_ci_u32_e32 v1, vcc_lo, v1, v2, vcc_lo
	s_waitcnt lgkmcnt(1)
	v_cmp_gt_i32_e32 vcc_lo, v4, v9
	v_cndmask_b32_e64 v2, 0, 1, vcc_lo
	v_cmp_gt_i32_e32 vcc_lo, v4, v8
	v_add_co_ci_u32_e32 v1, vcc_lo, v1, v5, vcc_lo
	;; [unrolled: 5-line block ×3, first 2 shown]
	v_cmp_gt_i32_e32 vcc_lo, v4, v12
	s_delay_alu instid0(VALU_DEP_2)
	v_add_co_ci_u32_e32 v1, vcc_lo, v1, v5, vcc_lo
	s_cbranch_scc0 .LBB18_118
; %bb.119:                              ;   in Loop: Header=BB18_116 Depth=1
	s_set_inst_prefetch_distance 0x2
	s_mov_b32 s0, s5
.LBB18_120:                             ;   in Loop: Header=BB18_116 Depth=1
	s_and_not1_b32 vcc_lo, exec_lo, s6
	s_cbranch_vccnz .LBB18_115
; %bb.121:                              ;   in Loop: Header=BB18_116 Depth=1
	s_lshl_b32 s0, s0, 2
	s_mov_b32 s8, s1
	s_add_i32 s0, s0, 0
.LBB18_122:                             ;   Parent Loop BB18_116 Depth=1
                                        ; =>  This Inner Loop Header: Depth=2
	s_delay_alu instid0(SALU_CYCLE_1)
	v_mov_b32_e32 v2, s0
	s_add_i32 s8, s8, -1
	s_add_i32 s0, s0, 4
	s_cmp_lg_u32 s8, 0
	ds_load_b32 v2, v2
	s_waitcnt lgkmcnt(0)
	v_cmp_gt_i32_e32 vcc_lo, v4, v2
	v_add_co_ci_u32_e32 v1, vcc_lo, 0, v1, vcc_lo
	s_cbranch_scc1 .LBB18_122
	s_branch .LBB18_115
.LBB18_123:
	s_nop 0
	s_sendmsg sendmsg(MSG_DEALLOC_VGPRS)
	s_endpgm
	.section	.rodata,"a",@progbits
	.p2align	6, 0x0
	.amdhsa_kernel _ZN9rocsparseL26csrgemm_fill_block_per_rowILj1024ELj64ELj16384ELj137ELj32EiifEEvT5_PKS1_S3_NS_24const_host_device_scalarIT6_EEPKT4_S3_PKS5_S9_S3_SB_S6_S9_S3_SB_S9_PS1_PS5_21rocsparse_index_base_SE_SE_SE_bbb
		.amdhsa_group_segment_fixed_size 0
		.amdhsa_private_segment_fixed_size 0
		.amdhsa_kernarg_size 156
		.amdhsa_user_sgpr_count 15
		.amdhsa_user_sgpr_dispatch_ptr 0
		.amdhsa_user_sgpr_queue_ptr 0
		.amdhsa_user_sgpr_kernarg_segment_ptr 1
		.amdhsa_user_sgpr_dispatch_id 0
		.amdhsa_user_sgpr_private_segment_size 0
		.amdhsa_wavefront_size32 1
		.amdhsa_uses_dynamic_stack 0
		.amdhsa_enable_private_segment 0
		.amdhsa_system_sgpr_workgroup_id_x 1
		.amdhsa_system_sgpr_workgroup_id_y 0
		.amdhsa_system_sgpr_workgroup_id_z 0
		.amdhsa_system_sgpr_workgroup_info 0
		.amdhsa_system_vgpr_workitem_id 0
		.amdhsa_next_free_vgpr 15
		.amdhsa_next_free_sgpr 76
		.amdhsa_reserve_vcc 1
		.amdhsa_float_round_mode_32 0
		.amdhsa_float_round_mode_16_64 0
		.amdhsa_float_denorm_mode_32 3
		.amdhsa_float_denorm_mode_16_64 3
		.amdhsa_dx10_clamp 1
		.amdhsa_ieee_mode 1
		.amdhsa_fp16_overflow 0
		.amdhsa_workgroup_processor_mode 1
		.amdhsa_memory_ordered 1
		.amdhsa_forward_progress 0
		.amdhsa_shared_vgpr_count 0
		.amdhsa_exception_fp_ieee_invalid_op 0
		.amdhsa_exception_fp_denorm_src 0
		.amdhsa_exception_fp_ieee_div_zero 0
		.amdhsa_exception_fp_ieee_overflow 0
		.amdhsa_exception_fp_ieee_underflow 0
		.amdhsa_exception_fp_ieee_inexact 0
		.amdhsa_exception_int_div_zero 0
	.end_amdhsa_kernel
	.section	.text._ZN9rocsparseL26csrgemm_fill_block_per_rowILj1024ELj64ELj16384ELj137ELj32EiifEEvT5_PKS1_S3_NS_24const_host_device_scalarIT6_EEPKT4_S3_PKS5_S9_S3_SB_S6_S9_S3_SB_S9_PS1_PS5_21rocsparse_index_base_SE_SE_SE_bbb,"axG",@progbits,_ZN9rocsparseL26csrgemm_fill_block_per_rowILj1024ELj64ELj16384ELj137ELj32EiifEEvT5_PKS1_S3_NS_24const_host_device_scalarIT6_EEPKT4_S3_PKS5_S9_S3_SB_S6_S9_S3_SB_S9_PS1_PS5_21rocsparse_index_base_SE_SE_SE_bbb,comdat
.Lfunc_end18:
	.size	_ZN9rocsparseL26csrgemm_fill_block_per_rowILj1024ELj64ELj16384ELj137ELj32EiifEEvT5_PKS1_S3_NS_24const_host_device_scalarIT6_EEPKT4_S3_PKS5_S9_S3_SB_S6_S9_S3_SB_S9_PS1_PS5_21rocsparse_index_base_SE_SE_SE_bbb, .Lfunc_end18-_ZN9rocsparseL26csrgemm_fill_block_per_rowILj1024ELj64ELj16384ELj137ELj32EiifEEvT5_PKS1_S3_NS_24const_host_device_scalarIT6_EEPKT4_S3_PKS5_S9_S3_SB_S6_S9_S3_SB_S9_PS1_PS5_21rocsparse_index_base_SE_SE_SE_bbb
                                        ; -- End function
	.section	.AMDGPU.csdata,"",@progbits
; Kernel info:
; codeLenInByte = 4432
; NumSgprs: 78
; NumVgprs: 15
; ScratchSize: 0
; MemoryBound: 0
; FloatMode: 240
; IeeeMode: 1
; LDSByteSize: 0 bytes/workgroup (compile time only)
; SGPRBlocks: 9
; VGPRBlocks: 1
; NumSGPRsForWavesPerEU: 78
; NumVGPRsForWavesPerEU: 15
; Occupancy: 16
; WaveLimiterHint : 1
; COMPUTE_PGM_RSRC2:SCRATCH_EN: 0
; COMPUTE_PGM_RSRC2:USER_SGPR: 15
; COMPUTE_PGM_RSRC2:TRAP_HANDLER: 0
; COMPUTE_PGM_RSRC2:TGID_X_EN: 1
; COMPUTE_PGM_RSRC2:TGID_Y_EN: 0
; COMPUTE_PGM_RSRC2:TGID_Z_EN: 0
; COMPUTE_PGM_RSRC2:TIDIG_COMP_CNT: 0
	.section	.text._ZN9rocsparseL26csrgemm_fill_block_per_rowILj1024ELj64ELj16384ELj137ELj64EiifEEvT5_PKS1_S3_NS_24const_host_device_scalarIT6_EEPKT4_S3_PKS5_S9_S3_SB_S6_S9_S3_SB_S9_PS1_PS5_21rocsparse_index_base_SE_SE_SE_bbb,"axG",@progbits,_ZN9rocsparseL26csrgemm_fill_block_per_rowILj1024ELj64ELj16384ELj137ELj64EiifEEvT5_PKS1_S3_NS_24const_host_device_scalarIT6_EEPKT4_S3_PKS5_S9_S3_SB_S6_S9_S3_SB_S9_PS1_PS5_21rocsparse_index_base_SE_SE_SE_bbb,comdat
	.globl	_ZN9rocsparseL26csrgemm_fill_block_per_rowILj1024ELj64ELj16384ELj137ELj64EiifEEvT5_PKS1_S3_NS_24const_host_device_scalarIT6_EEPKT4_S3_PKS5_S9_S3_SB_S6_S9_S3_SB_S9_PS1_PS5_21rocsparse_index_base_SE_SE_SE_bbb ; -- Begin function _ZN9rocsparseL26csrgemm_fill_block_per_rowILj1024ELj64ELj16384ELj137ELj64EiifEEvT5_PKS1_S3_NS_24const_host_device_scalarIT6_EEPKT4_S3_PKS5_S9_S3_SB_S6_S9_S3_SB_S9_PS1_PS5_21rocsparse_index_base_SE_SE_SE_bbb
	.p2align	8
	.type	_ZN9rocsparseL26csrgemm_fill_block_per_rowILj1024ELj64ELj16384ELj137ELj64EiifEEvT5_PKS1_S3_NS_24const_host_device_scalarIT6_EEPKT4_S3_PKS5_S9_S3_SB_S6_S9_S3_SB_S9_PS1_PS5_21rocsparse_index_base_SE_SE_SE_bbb,@function
_ZN9rocsparseL26csrgemm_fill_block_per_rowILj1024ELj64ELj16384ELj137ELj64EiifEEvT5_PKS1_S3_NS_24const_host_device_scalarIT6_EEPKT4_S3_PKS5_S9_S3_SB_S6_S9_S3_SB_S9_PS1_PS5_21rocsparse_index_base_SE_SE_SE_bbb: ; @_ZN9rocsparseL26csrgemm_fill_block_per_rowILj1024ELj64ELj16384ELj137ELj64EiifEEvT5_PKS1_S3_NS_24const_host_device_scalarIT6_EEPKT4_S3_PKS5_S9_S3_SB_S6_S9_S3_SB_S9_PS1_PS5_21rocsparse_index_base_SE_SE_SE_bbb
; %bb.0:
	s_clause 0x3
	s_load_b32 s12, s[0:1], 0x98
	s_load_b128 s[24:27], s[0:1], 0x88
	s_load_b64 s[4:5], s[0:1], 0x18
	s_load_b64 s[2:3], s[0:1], 0x50
	s_waitcnt lgkmcnt(0)
	s_bitcmp1_b32 s12, 0
	s_cselect_b32 s13, -1, 0
	s_bitcmp1_b32 s12, 16
	s_cselect_b32 s14, -1, 0
	s_xor_b32 s6, s13, -1
	s_delay_alu instid0(SALU_CYCLE_1) | instskip(NEXT) | instid1(SALU_CYCLE_1)
	s_or_b32 s6, s6, s14
	s_and_b32 vcc_lo, exec_lo, s6
	s_cbranch_vccnz .LBB19_2
; %bb.1:
	s_load_b32 s4, s[4:5], 0x0
	s_waitcnt lgkmcnt(0)
	v_mov_b32_e32 v9, s4
	s_branch .LBB19_3
.LBB19_2:
	v_cndmask_b32_e64 v9, 0, s4, s13
.LBB19_3:
	s_clause 0x4
	s_load_b128 s[28:31], s[0:1], 0x78
	s_load_b256 s[16:23], s[0:1], 0x58
	s_load_b128 s[36:39], s[0:1], 0x40
	s_load_b128 s[40:43], s[0:1], 0x8
	s_load_b256 s[4:11], s[0:1], 0x20
	s_bitcmp1_b32 s12, 8
	s_cselect_b32 s12, -1, 0
	s_delay_alu instid0(SALU_CYCLE_1) | instskip(NEXT) | instid1(SALU_CYCLE_1)
	s_xor_b32 s33, s12, -1
	s_or_b32 s14, s33, s14
	s_delay_alu instid0(SALU_CYCLE_1)
	s_and_b32 vcc_lo, exec_lo, s14
	s_cbranch_vccnz .LBB19_5
; %bb.4:
	s_load_b32 s2, s[2:3], 0x0
	s_waitcnt lgkmcnt(0)
	v_mov_b32_e32 v7, s2
	s_branch .LBB19_6
.LBB19_5:
	v_cndmask_b32_e64 v7, 0, s2, s12
.LBB19_6:
	s_load_b32 s33, s[0:1], 0x0
	v_lshl_add_u32 v5, v0, 2, 0
	v_or_b32_e32 v6, 0xfffffc00, v0
	v_mov_b32_e32 v1, 0
	s_mov_b32 s0, 0
	s_delay_alu instid0(VALU_DEP_3)
	v_mov_b32_e32 v2, v5
	s_waitcnt lgkmcnt(0)
	v_dual_mov_b32 v4, v6 :: v_dual_mov_b32 v3, s33
.LBB19_7:                               ; =>This Inner Loop Header: Depth=1
	s_delay_alu instid0(VALU_DEP_1) | instskip(NEXT) | instid1(VALU_DEP_3)
	v_add_nc_u32_e32 v4, 0x400, v4
	v_add_nc_u32_e32 v8, 0x10000, v2
	ds_store_b32 v2, v3
	v_add_nc_u32_e32 v2, 0x1000, v2
	v_cmp_lt_u32_e32 vcc_lo, 0x3bff, v4
	ds_store_b32 v8, v1
	s_or_b32 s0, vcc_lo, s0
	s_delay_alu instid0(SALU_CYCLE_1)
	s_and_not1_b32 exec_lo, exec_lo, s0
	s_cbranch_execnz .LBB19_7
; %bb.8:
	s_or_b32 exec_lo, exec_lo, s0
	s_waitcnt lgkmcnt(0)
	s_barrier
	buffer_gl0_inv
	s_load_b32 s0, s[40:41], 0x0
	s_mov_b32 s1, 0
	v_lshrrev_b32_e32 v8, 6, v0
	s_waitcnt lgkmcnt(0)
	s_add_i32 s0, s0, s15
	s_delay_alu instid0(SALU_CYCLE_1) | instskip(NEXT) | instid1(SALU_CYCLE_1)
	s_lshl_b64 s[0:1], s[0:1], 2
	s_add_u32 s0, s42, s0
	s_addc_u32 s1, s43, s1
	s_and_b32 vcc_lo, exec_lo, s13
	s_load_b32 s34, s[0:1], 0x0
	s_cbranch_vccz .LBB19_28
; %bb.9:
	s_waitcnt lgkmcnt(0)
	s_ashr_i32 s35, s34, 31
	v_subrev_nc_u32_e32 v1, s24, v8
	s_lshl_b64 s[0:1], s[34:35], 2
	s_delay_alu instid0(SALU_CYCLE_1)
	s_add_u32 s0, s4, s0
	s_addc_u32 s1, s5, s1
	s_load_b64 s[0:1], s[0:1], 0x0
	s_waitcnt lgkmcnt(0)
	v_add_nc_u32_e32 v1, s0, v1
	s_sub_i32 s0, s1, s24
	s_mov_b32 s1, exec_lo
	s_delay_alu instid0(VALU_DEP_1)
	v_cmpx_gt_i32_e64 s0, v1
	s_cbranch_execz .LBB19_27
; %bb.10:
	v_and_b32_e32 v2, 63, v0
	s_mov_b32 s2, 0
	s_delay_alu instid0(VALU_DEP_1)
	v_subrev_nc_u32_e32 v10, s25, v2
	s_branch .LBB19_12
.LBB19_11:                              ;   in Loop: Header=BB19_12 Depth=1
	s_or_b32 exec_lo, exec_lo, s3
	v_add_nc_u32_e32 v1, 16, v1
	s_delay_alu instid0(VALU_DEP_1) | instskip(SKIP_1) | instid1(SALU_CYCLE_1)
	v_cmp_le_i32_e32 vcc_lo, s0, v1
	s_or_b32 s2, vcc_lo, s2
	s_and_not1_b32 exec_lo, exec_lo, s2
	s_cbranch_execz .LBB19_27
.LBB19_12:                              ; =>This Loop Header: Depth=1
                                        ;     Child Loop BB19_15 Depth 2
                                        ;       Child Loop BB19_17 Depth 3
	v_ashrrev_i32_e32 v2, 31, v1
	s_mov_b32 s3, exec_lo
	s_delay_alu instid0(VALU_DEP_1) | instskip(NEXT) | instid1(VALU_DEP_1)
	v_lshlrev_b64 v[3:4], 2, v[1:2]
	v_add_co_u32 v11, vcc_lo, s6, v3
	s_delay_alu instid0(VALU_DEP_2) | instskip(SKIP_3) | instid1(VALU_DEP_1)
	v_add_co_ci_u32_e32 v12, vcc_lo, s7, v4, vcc_lo
	global_load_b32 v2, v[11:12], off
	s_waitcnt vmcnt(0)
	v_subrev_nc_u32_e32 v11, s24, v2
	v_ashrrev_i32_e32 v12, 31, v11
	s_delay_alu instid0(VALU_DEP_1) | instskip(NEXT) | instid1(VALU_DEP_1)
	v_lshlrev_b64 v[11:12], 2, v[11:12]
	v_add_co_u32 v11, vcc_lo, s10, v11
	s_delay_alu instid0(VALU_DEP_2) | instskip(SKIP_4) | instid1(VALU_DEP_1)
	v_add_co_ci_u32_e32 v12, vcc_lo, s11, v12, vcc_lo
	global_load_b64 v[12:13], v[11:12], off
	s_waitcnt vmcnt(0)
	v_subrev_nc_u32_e32 v11, s25, v13
	v_add_nc_u32_e32 v2, v12, v10
	v_cmpx_lt_i32_e64 v2, v11
	s_cbranch_execz .LBB19_11
; %bb.13:                               ;   in Loop: Header=BB19_12 Depth=1
	v_add_co_u32 v3, vcc_lo, s8, v3
	v_add_co_ci_u32_e32 v4, vcc_lo, s9, v4, vcc_lo
	s_mov_b32 s4, 0
	global_load_b32 v3, v[3:4], off
	s_waitcnt vmcnt(0)
	v_mul_f32_e32 v4, v9, v3
	s_branch .LBB19_15
.LBB19_14:                              ;   in Loop: Header=BB19_15 Depth=2
	s_or_b32 exec_lo, exec_lo, s5
	v_add_nc_u32_e32 v2, 64, v2
	s_delay_alu instid0(VALU_DEP_1) | instskip(SKIP_1) | instid1(SALU_CYCLE_1)
	v_cmp_ge_i32_e32 vcc_lo, v2, v11
	s_or_b32 s4, vcc_lo, s4
	s_and_not1_b32 exec_lo, exec_lo, s4
	s_cbranch_execz .LBB19_11
.LBB19_15:                              ;   Parent Loop BB19_12 Depth=1
                                        ; =>  This Loop Header: Depth=2
                                        ;       Child Loop BB19_17 Depth 3
	v_ashrrev_i32_e32 v3, 31, v2
	s_mov_b32 s5, 0
	s_delay_alu instid0(VALU_DEP_1) | instskip(NEXT) | instid1(VALU_DEP_1)
	v_lshlrev_b64 v[12:13], 2, v[2:3]
	v_add_co_u32 v14, vcc_lo, s36, v12
	s_delay_alu instid0(VALU_DEP_2)
	v_add_co_ci_u32_e32 v15, vcc_lo, s37, v13, vcc_lo
	v_add_co_u32 v12, vcc_lo, s38, v12
	v_add_co_ci_u32_e32 v13, vcc_lo, s39, v13, vcc_lo
	global_load_b32 v3, v[14:15], off
	global_load_b32 v12, v[12:13], off
	s_waitcnt vmcnt(1)
	v_subrev_nc_u32_e32 v3, s25, v3
	s_delay_alu instid0(VALU_DEP_1) | instskip(SKIP_1) | instid1(VALU_DEP_1)
	v_mul_lo_u32 v13, 0x89, v3
	s_waitcnt vmcnt(0)
	v_dual_mul_f32 v12, v4, v12 :: v_dual_and_b32 v13, 0x3fff, v13
	s_branch .LBB19_17
.LBB19_16:                              ;   in Loop: Header=BB19_17 Depth=3
	s_or_b32 exec_lo, exec_lo, s13
	s_xor_b32 s13, s14, -1
	s_delay_alu instid0(SALU_CYCLE_1) | instskip(NEXT) | instid1(SALU_CYCLE_1)
	s_and_b32 s13, exec_lo, s13
	s_or_b32 s5, s13, s5
	s_delay_alu instid0(SALU_CYCLE_1)
	s_and_not1_b32 exec_lo, exec_lo, s5
	s_cbranch_execz .LBB19_14
.LBB19_17:                              ;   Parent Loop BB19_12 Depth=1
                                        ;     Parent Loop BB19_15 Depth=2
                                        ; =>    This Inner Loop Header: Depth=3
	s_delay_alu instid0(VALU_DEP_1)
	v_lshl_add_u32 v14, v13, 2, 0
	s_mov_b32 s13, exec_lo
                                        ; implicit-def: $sgpr14
	ds_load_b32 v15, v14
	s_waitcnt lgkmcnt(0)
	v_cmpx_ne_u32_e64 v15, v3
	s_xor_b32 s13, exec_lo, s13
	s_cbranch_execz .LBB19_25
; %bb.18:                               ;   in Loop: Header=BB19_17 Depth=3
	s_mov_b32 s15, exec_lo
                                        ; implicit-def: $sgpr14
	v_cmpx_ne_u32_e64 s33, v15
	s_xor_b32 s15, exec_lo, s15
; %bb.19:                               ;   in Loop: Header=BB19_17 Depth=3
	v_add_nc_u32_e32 v13, 1, v13
	s_mov_b32 s14, -1
                                        ; implicit-def: $vgpr14
	s_delay_alu instid0(VALU_DEP_1)
	v_and_b32_e32 v13, 0x3fff, v13
; %bb.20:                               ;   in Loop: Header=BB19_17 Depth=3
	s_and_not1_saveexec_b32 s15, s15
	s_cbranch_execz .LBB19_24
; %bb.21:                               ;   in Loop: Header=BB19_17 Depth=3
	v_mov_b32_e32 v15, s33
	s_mov_b32 s35, -1
	s_mov_b32 s40, exec_lo
	ds_cmpstore_rtn_b32 v14, v14, v3, v15
	s_waitcnt lgkmcnt(0)
	v_cmpx_eq_u32_e64 s33, v14
	s_cbranch_execz .LBB19_23
; %bb.22:                               ;   in Loop: Header=BB19_17 Depth=3
	v_lshlrev_b32_e32 v14, 2, v13
	s_xor_b32 s35, exec_lo, -1
	s_delay_alu instid0(VALU_DEP_1)
	v_add3_u32 v14, 0, v14, 0x10000
	ds_add_f32 v14, v12
.LBB19_23:                              ;   in Loop: Header=BB19_17 Depth=3
	s_or_b32 exec_lo, exec_lo, s40
	s_delay_alu instid0(SALU_CYCLE_1) | instskip(SKIP_1) | instid1(SALU_CYCLE_1)
	s_and_not1_b32 s14, s14, exec_lo
	s_and_b32 s35, s35, exec_lo
	s_or_b32 s14, s14, s35
.LBB19_24:                              ;   in Loop: Header=BB19_17 Depth=3
	s_or_b32 exec_lo, exec_lo, s15
	s_delay_alu instid0(SALU_CYCLE_1)
	s_and_b32 s14, s14, exec_lo
.LBB19_25:                              ;   in Loop: Header=BB19_17 Depth=3
	s_and_not1_saveexec_b32 s13, s13
	s_cbranch_execz .LBB19_16
; %bb.26:                               ;   in Loop: Header=BB19_17 Depth=3
	v_lshlrev_b32_e32 v14, 2, v13
	s_and_not1_b32 s14, s14, exec_lo
	s_delay_alu instid0(VALU_DEP_1)
	v_add3_u32 v14, 0, v14, 0x10000
	ds_add_f32 v14, v12
	s_branch .LBB19_16
.LBB19_27:
	s_or_b32 exec_lo, exec_lo, s1
.LBB19_28:
	s_delay_alu instid0(SALU_CYCLE_1)
	s_and_not1_b32 vcc_lo, exec_lo, s12
	s_cbranch_vccnz .LBB19_45
; %bb.29:
	s_waitcnt lgkmcnt(0)
	s_ashr_i32 s35, s34, 31
	v_subrev_nc_u32_e32 v1, s27, v0
	s_lshl_b64 s[0:1], s[34:35], 2
	s_delay_alu instid0(SALU_CYCLE_1)
	s_add_u32 s0, s16, s0
	s_addc_u32 s1, s17, s1
	s_load_b64 s[0:1], s[0:1], 0x0
	s_waitcnt lgkmcnt(0)
	v_add_nc_u32_e32 v1, s0, v1
	s_sub_i32 s0, s1, s27
	s_mov_b32 s1, exec_lo
	s_delay_alu instid0(VALU_DEP_1)
	v_cmpx_gt_i32_e64 s0, v1
	s_cbranch_execz .LBB19_44
; %bb.30:
	s_mov_b32 s2, 0
	s_branch .LBB19_32
.LBB19_31:                              ;   in Loop: Header=BB19_32 Depth=1
	s_or_b32 exec_lo, exec_lo, s3
	v_add_nc_u32_e32 v1, 0x400, v1
	s_delay_alu instid0(VALU_DEP_1) | instskip(SKIP_1) | instid1(SALU_CYCLE_1)
	v_cmp_le_i32_e32 vcc_lo, s0, v1
	s_or_b32 s2, vcc_lo, s2
	s_and_not1_b32 exec_lo, exec_lo, s2
	s_cbranch_execz .LBB19_44
.LBB19_32:                              ; =>This Loop Header: Depth=1
                                        ;     Child Loop BB19_34 Depth 2
	v_ashrrev_i32_e32 v2, 31, v1
	s_mov_b32 s3, 0
	s_delay_alu instid0(VALU_DEP_1) | instskip(NEXT) | instid1(VALU_DEP_1)
	v_lshlrev_b64 v[2:3], 2, v[1:2]
	v_add_co_u32 v9, vcc_lo, s18, v2
	s_delay_alu instid0(VALU_DEP_2)
	v_add_co_ci_u32_e32 v10, vcc_lo, s19, v3, vcc_lo
	v_add_co_u32 v2, vcc_lo, s20, v2
	v_add_co_ci_u32_e32 v3, vcc_lo, s21, v3, vcc_lo
	global_load_b32 v4, v[9:10], off
	global_load_b32 v3, v[2:3], off
	s_waitcnt vmcnt(1)
	v_subrev_nc_u32_e32 v2, s27, v4
	s_delay_alu instid0(VALU_DEP_1) | instskip(SKIP_1) | instid1(VALU_DEP_1)
	v_mul_lo_u32 v4, 0x89, v2
	s_waitcnt vmcnt(0)
	v_dual_mul_f32 v3, v7, v3 :: v_dual_and_b32 v4, 0x3fff, v4
	s_branch .LBB19_34
.LBB19_33:                              ;   in Loop: Header=BB19_34 Depth=2
	s_or_b32 exec_lo, exec_lo, s4
	s_xor_b32 s4, s5, -1
	s_delay_alu instid0(SALU_CYCLE_1) | instskip(NEXT) | instid1(SALU_CYCLE_1)
	s_and_b32 s4, exec_lo, s4
	s_or_b32 s3, s4, s3
	s_delay_alu instid0(SALU_CYCLE_1)
	s_and_not1_b32 exec_lo, exec_lo, s3
	s_cbranch_execz .LBB19_31
.LBB19_34:                              ;   Parent Loop BB19_32 Depth=1
                                        ; =>  This Inner Loop Header: Depth=2
	s_delay_alu instid0(VALU_DEP_1)
	v_lshl_add_u32 v9, v4, 2, 0
	s_mov_b32 s4, exec_lo
                                        ; implicit-def: $sgpr5
	ds_load_b32 v10, v9
	s_waitcnt lgkmcnt(0)
	v_cmpx_ne_u32_e64 v10, v2
	s_xor_b32 s4, exec_lo, s4
	s_cbranch_execz .LBB19_42
; %bb.35:                               ;   in Loop: Header=BB19_34 Depth=2
	s_mov_b32 s6, exec_lo
                                        ; implicit-def: $sgpr5
	v_cmpx_ne_u32_e64 s33, v10
	s_xor_b32 s6, exec_lo, s6
; %bb.36:                               ;   in Loop: Header=BB19_34 Depth=2
	v_add_nc_u32_e32 v4, 1, v4
	s_mov_b32 s5, -1
                                        ; implicit-def: $vgpr9
	s_delay_alu instid0(VALU_DEP_1)
	v_and_b32_e32 v4, 0x3fff, v4
; %bb.37:                               ;   in Loop: Header=BB19_34 Depth=2
	s_and_not1_saveexec_b32 s6, s6
	s_cbranch_execz .LBB19_41
; %bb.38:                               ;   in Loop: Header=BB19_34 Depth=2
	v_mov_b32_e32 v10, s33
	s_mov_b32 s7, -1
	s_mov_b32 s8, exec_lo
	ds_cmpstore_rtn_b32 v9, v9, v2, v10
	s_waitcnt lgkmcnt(0)
	v_cmpx_eq_u32_e64 s33, v9
	s_cbranch_execz .LBB19_40
; %bb.39:                               ;   in Loop: Header=BB19_34 Depth=2
	v_lshlrev_b32_e32 v9, 2, v4
	s_xor_b32 s7, exec_lo, -1
	s_delay_alu instid0(VALU_DEP_1)
	v_add3_u32 v9, 0, v9, 0x10000
	ds_add_f32 v9, v3
.LBB19_40:                              ;   in Loop: Header=BB19_34 Depth=2
	s_or_b32 exec_lo, exec_lo, s8
	s_delay_alu instid0(SALU_CYCLE_1) | instskip(SKIP_1) | instid1(SALU_CYCLE_1)
	s_and_not1_b32 s5, s5, exec_lo
	s_and_b32 s7, s7, exec_lo
	s_or_b32 s5, s5, s7
.LBB19_41:                              ;   in Loop: Header=BB19_34 Depth=2
	s_or_b32 exec_lo, exec_lo, s6
	s_delay_alu instid0(SALU_CYCLE_1)
	s_and_b32 s5, s5, exec_lo
.LBB19_42:                              ;   in Loop: Header=BB19_34 Depth=2
	s_and_not1_saveexec_b32 s4, s4
	s_cbranch_execz .LBB19_33
; %bb.43:                               ;   in Loop: Header=BB19_34 Depth=2
	v_lshlrev_b32_e32 v9, 2, v4
	s_and_not1_b32 s5, s5, exec_lo
	s_delay_alu instid0(VALU_DEP_1)
	v_add3_u32 v9, 0, v9, 0x10000
	ds_add_f32 v9, v3
	s_branch .LBB19_33
.LBB19_44:
	s_or_b32 exec_lo, exec_lo, s1
.LBB19_45:
	v_mbcnt_lo_u32_b32 v1, -1, 0
	v_lshlrev_b32_e32 v2, 2, v8
	s_add_i32 s38, 0, 0x2003c
	v_cmp_eq_u32_e32 vcc_lo, 0x3ff, v0
	v_cmp_lt_u32_e64 s0, 63, v0
	v_xor_b32_e32 v1, 63, v1
	v_add3_u32 v3, 0, 0x20000, v2
	v_cmp_lt_u32_e64 s1, 0x7f, v0
	v_cmp_lt_u32_e64 s2, 0xbf, v0
	;; [unrolled: 1-line block ×3, first 2 shown]
	v_lshrrev_b64 v[1:2], v1, -1
	v_cmp_lt_u32_e64 s4, 0x13f, v0
	v_cmp_lt_u32_e64 s5, 0x17f, v0
	;; [unrolled: 1-line block ×11, first 2 shown]
	v_mov_b32_e32 v2, 0
	v_mov_b32_e32 v4, s38
	s_mov_b32 s16, 0
	s_add_i32 s17, 0, 0x20000
	s_add_i32 s18, 0, 0x20004
	;; [unrolled: 1-line block ×15, first 2 shown]
	s_waitcnt lgkmcnt(0)
	s_barrier
	buffer_gl0_inv
	s_branch .LBB19_47
.LBB19_46:                              ;   in Loop: Header=BB19_47 Depth=1
	s_or_b32 exec_lo, exec_lo, s15
	s_waitcnt lgkmcnt(0)
	s_barrier
	buffer_gl0_inv
	ds_load_b32 v7, v4
	v_add_nc_u32_e32 v6, 0x400, v6
	v_add_nc_u32_e32 v5, 0x1000, v5
	s_delay_alu instid0(VALU_DEP_2) | instskip(NEXT) | instid1(VALU_DEP_1)
	v_cmp_lt_u32_e64 s15, 0x3bff, v6
	s_or_b32 s16, s15, s16
	s_waitcnt lgkmcnt(0)
	v_add_nc_u32_e32 v2, v7, v2
	s_and_not1_b32 exec_lo, exec_lo, s16
	s_cbranch_execz .LBB19_81
.LBB19_47:                              ; =>This Inner Loop Header: Depth=1
	ds_load_b32 v7, v5
	v_add_nc_u32_e32 v8, 0x10000, v5
	ds_load_b32 v8, v8
	s_waitcnt lgkmcnt(0)
	s_barrier
	buffer_gl0_inv
	v_cmp_gt_i32_e64 s15, s33, v7
	s_delay_alu instid0(VALU_DEP_1) | instskip(NEXT) | instid1(SALU_CYCLE_1)
	s_bcnt1_i32_b32 s43, s15
	v_dual_mov_b32 v10, s43 :: v_dual_and_b32 v9, s15, v1
	s_delay_alu instid0(VALU_DEP_1)
	v_bcnt_u32_b32 v9, v9, 0
	ds_store_b32 v3, v10
	s_waitcnt lgkmcnt(0)
	s_barrier
	buffer_gl0_inv
	s_and_saveexec_b32 s43, s0
	s_cbranch_execnz .LBB19_64
; %bb.48:                               ;   in Loop: Header=BB19_47 Depth=1
	s_or_b32 exec_lo, exec_lo, s43
	s_and_saveexec_b32 s43, s1
	s_cbranch_execnz .LBB19_65
.LBB19_49:                              ;   in Loop: Header=BB19_47 Depth=1
	s_or_b32 exec_lo, exec_lo, s43
	s_and_saveexec_b32 s43, s2
	s_cbranch_execnz .LBB19_66
.LBB19_50:                              ;   in Loop: Header=BB19_47 Depth=1
	s_or_b32 exec_lo, exec_lo, s43
	s_and_saveexec_b32 s43, s3
	s_cbranch_execnz .LBB19_67
.LBB19_51:                              ;   in Loop: Header=BB19_47 Depth=1
	s_or_b32 exec_lo, exec_lo, s43
	s_and_saveexec_b32 s43, s4
	s_cbranch_execnz .LBB19_68
.LBB19_52:                              ;   in Loop: Header=BB19_47 Depth=1
	s_or_b32 exec_lo, exec_lo, s43
	s_and_saveexec_b32 s43, s5
	s_cbranch_execnz .LBB19_69
.LBB19_53:                              ;   in Loop: Header=BB19_47 Depth=1
	s_or_b32 exec_lo, exec_lo, s43
	s_and_saveexec_b32 s43, s6
	s_cbranch_execnz .LBB19_70
.LBB19_54:                              ;   in Loop: Header=BB19_47 Depth=1
	s_or_b32 exec_lo, exec_lo, s43
	s_and_saveexec_b32 s43, s7
	s_cbranch_execnz .LBB19_71
.LBB19_55:                              ;   in Loop: Header=BB19_47 Depth=1
	s_or_b32 exec_lo, exec_lo, s43
	s_and_saveexec_b32 s43, s8
	s_cbranch_execnz .LBB19_72
.LBB19_56:                              ;   in Loop: Header=BB19_47 Depth=1
	s_or_b32 exec_lo, exec_lo, s43
	s_and_saveexec_b32 s43, s9
	s_cbranch_execnz .LBB19_73
.LBB19_57:                              ;   in Loop: Header=BB19_47 Depth=1
	s_or_b32 exec_lo, exec_lo, s43
	s_and_saveexec_b32 s43, s10
	s_cbranch_execnz .LBB19_74
.LBB19_58:                              ;   in Loop: Header=BB19_47 Depth=1
	s_or_b32 exec_lo, exec_lo, s43
	s_and_saveexec_b32 s43, s11
	s_cbranch_execnz .LBB19_75
.LBB19_59:                              ;   in Loop: Header=BB19_47 Depth=1
	s_or_b32 exec_lo, exec_lo, s43
	s_and_saveexec_b32 s43, s12
	s_cbranch_execnz .LBB19_76
.LBB19_60:                              ;   in Loop: Header=BB19_47 Depth=1
	s_or_b32 exec_lo, exec_lo, s43
	s_and_saveexec_b32 s43, s13
	s_cbranch_execnz .LBB19_77
.LBB19_61:                              ;   in Loop: Header=BB19_47 Depth=1
	s_or_b32 exec_lo, exec_lo, s43
	s_and_saveexec_b32 s43, s14
	s_cbranch_execnz .LBB19_78
.LBB19_62:                              ;   in Loop: Header=BB19_47 Depth=1
	s_or_b32 exec_lo, exec_lo, s43
	s_and_saveexec_b32 s43, s15
	s_cbranch_execnz .LBB19_79
.LBB19_63:                              ;   in Loop: Header=BB19_47 Depth=1
	s_or_b32 exec_lo, exec_lo, s43
	s_and_saveexec_b32 s15, vcc_lo
	s_cbranch_execz .LBB19_46
	s_branch .LBB19_80
.LBB19_64:                              ;   in Loop: Header=BB19_47 Depth=1
	v_mov_b32_e32 v10, s17
	ds_load_b32 v10, v10
	s_waitcnt lgkmcnt(0)
	v_add_nc_u32_e32 v9, v10, v9
	s_or_b32 exec_lo, exec_lo, s43
	s_and_saveexec_b32 s43, s1
	s_cbranch_execz .LBB19_49
.LBB19_65:                              ;   in Loop: Header=BB19_47 Depth=1
	v_mov_b32_e32 v10, s18
	ds_load_b32 v10, v10
	s_waitcnt lgkmcnt(0)
	v_add_nc_u32_e32 v9, v10, v9
	s_or_b32 exec_lo, exec_lo, s43
	s_and_saveexec_b32 s43, s2
	s_cbranch_execz .LBB19_50
.LBB19_66:                              ;   in Loop: Header=BB19_47 Depth=1
	v_mov_b32_e32 v10, s19
	ds_load_b32 v10, v10
	s_waitcnt lgkmcnt(0)
	v_add_nc_u32_e32 v9, v10, v9
	s_or_b32 exec_lo, exec_lo, s43
	s_and_saveexec_b32 s43, s3
	s_cbranch_execz .LBB19_51
.LBB19_67:                              ;   in Loop: Header=BB19_47 Depth=1
	v_mov_b32_e32 v10, s20
	ds_load_b32 v10, v10
	s_waitcnt lgkmcnt(0)
	v_add_nc_u32_e32 v9, v10, v9
	s_or_b32 exec_lo, exec_lo, s43
	s_and_saveexec_b32 s43, s4
	s_cbranch_execz .LBB19_52
.LBB19_68:                              ;   in Loop: Header=BB19_47 Depth=1
	v_mov_b32_e32 v10, s21
	ds_load_b32 v10, v10
	s_waitcnt lgkmcnt(0)
	v_add_nc_u32_e32 v9, v10, v9
	s_or_b32 exec_lo, exec_lo, s43
	s_and_saveexec_b32 s43, s5
	s_cbranch_execz .LBB19_53
.LBB19_69:                              ;   in Loop: Header=BB19_47 Depth=1
	v_mov_b32_e32 v10, s24
	ds_load_b32 v10, v10
	s_waitcnt lgkmcnt(0)
	v_add_nc_u32_e32 v9, v10, v9
	s_or_b32 exec_lo, exec_lo, s43
	s_and_saveexec_b32 s43, s6
	s_cbranch_execz .LBB19_54
.LBB19_70:                              ;   in Loop: Header=BB19_47 Depth=1
	v_mov_b32_e32 v10, s25
	ds_load_b32 v10, v10
	s_waitcnt lgkmcnt(0)
	v_add_nc_u32_e32 v9, v10, v9
	s_or_b32 exec_lo, exec_lo, s43
	s_and_saveexec_b32 s43, s7
	s_cbranch_execz .LBB19_55
.LBB19_71:                              ;   in Loop: Header=BB19_47 Depth=1
	v_mov_b32_e32 v10, s27
	ds_load_b32 v10, v10
	s_waitcnt lgkmcnt(0)
	v_add_nc_u32_e32 v9, v10, v9
	s_or_b32 exec_lo, exec_lo, s43
	s_and_saveexec_b32 s43, s8
	s_cbranch_execz .LBB19_56
.LBB19_72:                              ;   in Loop: Header=BB19_47 Depth=1
	v_mov_b32_e32 v10, s35
	ds_load_b32 v10, v10
	s_waitcnt lgkmcnt(0)
	v_add_nc_u32_e32 v9, v10, v9
	s_or_b32 exec_lo, exec_lo, s43
	s_and_saveexec_b32 s43, s9
	s_cbranch_execz .LBB19_57
.LBB19_73:                              ;   in Loop: Header=BB19_47 Depth=1
	v_mov_b32_e32 v10, s36
	ds_load_b32 v10, v10
	s_waitcnt lgkmcnt(0)
	v_add_nc_u32_e32 v9, v10, v9
	s_or_b32 exec_lo, exec_lo, s43
	s_and_saveexec_b32 s43, s10
	s_cbranch_execz .LBB19_58
.LBB19_74:                              ;   in Loop: Header=BB19_47 Depth=1
	v_mov_b32_e32 v10, s37
	ds_load_b32 v10, v10
	s_waitcnt lgkmcnt(0)
	v_add_nc_u32_e32 v9, v10, v9
	s_or_b32 exec_lo, exec_lo, s43
	s_and_saveexec_b32 s43, s11
	s_cbranch_execz .LBB19_59
.LBB19_75:                              ;   in Loop: Header=BB19_47 Depth=1
	v_mov_b32_e32 v10, s39
	ds_load_b32 v10, v10
	s_waitcnt lgkmcnt(0)
	v_add_nc_u32_e32 v9, v10, v9
	s_or_b32 exec_lo, exec_lo, s43
	s_and_saveexec_b32 s43, s12
	s_cbranch_execz .LBB19_60
.LBB19_76:                              ;   in Loop: Header=BB19_47 Depth=1
	v_mov_b32_e32 v10, s40
	ds_load_b32 v10, v10
	s_waitcnt lgkmcnt(0)
	v_add_nc_u32_e32 v9, v10, v9
	s_or_b32 exec_lo, exec_lo, s43
	s_and_saveexec_b32 s43, s13
	s_cbranch_execz .LBB19_61
.LBB19_77:                              ;   in Loop: Header=BB19_47 Depth=1
	v_mov_b32_e32 v10, s41
	ds_load_b32 v10, v10
	s_waitcnt lgkmcnt(0)
	v_add_nc_u32_e32 v9, v10, v9
	s_or_b32 exec_lo, exec_lo, s43
	s_and_saveexec_b32 s43, s14
	s_cbranch_execz .LBB19_62
.LBB19_78:                              ;   in Loop: Header=BB19_47 Depth=1
	v_mov_b32_e32 v10, s42
	ds_load_b32 v10, v10
	s_waitcnt lgkmcnt(0)
	v_add_nc_u32_e32 v9, v10, v9
	s_or_b32 exec_lo, exec_lo, s43
	s_and_saveexec_b32 s43, s15
	s_cbranch_execz .LBB19_63
.LBB19_79:                              ;   in Loop: Header=BB19_47 Depth=1
	s_delay_alu instid0(VALU_DEP_1) | instskip(NEXT) | instid1(VALU_DEP_1)
	v_add3_u32 v10, v2, -1, v9
	v_lshl_add_u32 v10, v10, 2, 0
	s_delay_alu instid0(VALU_DEP_1)
	v_add_nc_u32_e32 v11, 0x10000, v10
	ds_store_b32 v10, v7
	ds_store_b32 v11, v8
	s_or_b32 exec_lo, exec_lo, s43
	s_and_saveexec_b32 s15, vcc_lo
	s_cbranch_execz .LBB19_46
.LBB19_80:                              ;   in Loop: Header=BB19_47 Depth=1
	v_mov_b32_e32 v7, s38
	ds_store_b32 v7, v9
	s_branch .LBB19_46
.LBB19_81:
	s_or_b32 exec_lo, exec_lo, s16
	s_ashr_i32 s35, s34, 31
	s_mov_b32 s3, exec_lo
	s_lshl_b64 s[0:1], s[34:35], 2
	s_delay_alu instid0(SALU_CYCLE_1) | instskip(SKIP_4) | instid1(SALU_CYCLE_1)
	s_add_u32 s0, s22, s0
	s_addc_u32 s1, s23, s1
	s_load_b64 s[0:1], s[0:1], 0x0
	s_waitcnt lgkmcnt(0)
	s_sub_i32 s2, s1, s0
	v_cmpx_gt_i32_e64 s2, v0
	s_cbranch_execz .LBB19_91
; %bb.82:
	s_sub_i32 s3, s0, s26
	s_sub_i32 s0, s0, s1
	s_and_b32 s1, s2, 7
	s_cmp_lt_u32 s0, -7
	s_mov_b32 s7, 0
	s_cselect_b32 s4, -1, 0
	s_and_b32 s5, s2, -8
	s_cmp_lg_u32 s1, 0
	s_cselect_b32 s6, -1, 0
	s_branch .LBB19_84
.LBB19_83:                              ;   in Loop: Header=BB19_84 Depth=1
	s_delay_alu instid0(VALU_DEP_1) | instskip(SKIP_3) | instid1(VALU_DEP_3)
	v_ashrrev_i32_e32 v2, 31, v1
	v_add_nc_u32_e32 v0, 0x400, v0
	s_waitcnt lgkmcnt(1)
	v_add_nc_u32_e32 v6, s26, v4
	v_lshlrev_b64 v[1:2], 2, v[1:2]
	s_delay_alu instid0(VALU_DEP_3) | instskip(SKIP_1) | instid1(VALU_DEP_2)
	v_cmp_le_i32_e32 vcc_lo, s2, v0
	s_or_b32 s7, vcc_lo, s7
	v_add_co_u32 v4, s0, s28, v1
	s_delay_alu instid0(VALU_DEP_1) | instskip(SKIP_1) | instid1(VALU_DEP_1)
	v_add_co_ci_u32_e64 v5, s0, s29, v2, s0
	v_add_co_u32 v1, s0, s30, v1
	v_add_co_ci_u32_e64 v2, s0, s31, v2, s0
	global_store_b32 v[4:5], v6, off
	s_waitcnt lgkmcnt(0)
	global_store_b32 v[1:2], v3, off
	s_and_not1_b32 exec_lo, exec_lo, s7
	s_cbranch_execz .LBB19_91
.LBB19_84:                              ; =>This Loop Header: Depth=1
                                        ;     Child Loop BB19_86 Depth 2
                                        ;     Child Loop BB19_90 Depth 2
	v_lshl_add_u32 v1, v0, 2, 0
	s_and_not1_b32 vcc_lo, exec_lo, s4
	s_mov_b32 s0, 0
	s_delay_alu instid0(VALU_DEP_1)
	v_add_nc_u32_e32 v2, 0x10000, v1
	ds_load_b32 v4, v1
	ds_load_b32 v3, v2
	v_mov_b32_e32 v1, s3
	s_cbranch_vccnz .LBB19_88
; %bb.85:                               ;   in Loop: Header=BB19_84 Depth=1
	v_mov_b32_e32 v1, s3
	s_mov_b32 s8, 0
	s_set_inst_prefetch_distance 0x1
	.p2align	6
.LBB19_86:                              ;   Parent Loop BB19_84 Depth=1
                                        ; =>  This Inner Loop Header: Depth=2
	v_mov_b32_e32 v2, s8
	s_add_i32 s0, s0, 8
	s_add_i32 s8, s8, 32
	s_cmp_eq_u32 s5, s0
	ds_load_2addr_b32 v[5:6], v2 offset1:1
	ds_load_2addr_b32 v[7:8], v2 offset0:2 offset1:3
	ds_load_2addr_b32 v[9:10], v2 offset0:4 offset1:5
	;; [unrolled: 1-line block ×3, first 2 shown]
	s_waitcnt lgkmcnt(3)
	v_cmp_gt_i32_e32 vcc_lo, v4, v5
	v_cndmask_b32_e64 v2, 0, 1, vcc_lo
	s_waitcnt lgkmcnt(2)
	v_cmp_gt_i32_e32 vcc_lo, v4, v7
	v_cndmask_b32_e64 v5, 0, 1, vcc_lo
	v_cmp_gt_i32_e32 vcc_lo, v4, v6
	v_add_co_ci_u32_e32 v1, vcc_lo, v1, v2, vcc_lo
	s_waitcnt lgkmcnt(1)
	v_cmp_gt_i32_e32 vcc_lo, v4, v9
	v_cndmask_b32_e64 v2, 0, 1, vcc_lo
	v_cmp_gt_i32_e32 vcc_lo, v4, v8
	v_add_co_ci_u32_e32 v1, vcc_lo, v1, v5, vcc_lo
	;; [unrolled: 5-line block ×3, first 2 shown]
	v_cmp_gt_i32_e32 vcc_lo, v4, v12
	s_delay_alu instid0(VALU_DEP_2)
	v_add_co_ci_u32_e32 v1, vcc_lo, v1, v5, vcc_lo
	s_cbranch_scc0 .LBB19_86
; %bb.87:                               ;   in Loop: Header=BB19_84 Depth=1
	s_set_inst_prefetch_distance 0x2
	s_mov_b32 s0, s5
.LBB19_88:                              ;   in Loop: Header=BB19_84 Depth=1
	s_and_not1_b32 vcc_lo, exec_lo, s6
	s_cbranch_vccnz .LBB19_83
; %bb.89:                               ;   in Loop: Header=BB19_84 Depth=1
	s_lshl_b32 s0, s0, 2
	s_mov_b32 s8, s1
	s_add_i32 s0, s0, 0
.LBB19_90:                              ;   Parent Loop BB19_84 Depth=1
                                        ; =>  This Inner Loop Header: Depth=2
	s_delay_alu instid0(SALU_CYCLE_1)
	v_mov_b32_e32 v2, s0
	s_add_i32 s8, s8, -1
	s_add_i32 s0, s0, 4
	s_cmp_lg_u32 s8, 0
	ds_load_b32 v2, v2
	s_waitcnt lgkmcnt(0)
	v_cmp_gt_i32_e32 vcc_lo, v4, v2
	v_add_co_ci_u32_e32 v1, vcc_lo, 0, v1, vcc_lo
	s_cbranch_scc1 .LBB19_90
	s_branch .LBB19_83
.LBB19_91:
	s_nop 0
	s_sendmsg sendmsg(MSG_DEALLOC_VGPRS)
	s_endpgm
	.section	.rodata,"a",@progbits
	.p2align	6, 0x0
	.amdhsa_kernel _ZN9rocsparseL26csrgemm_fill_block_per_rowILj1024ELj64ELj16384ELj137ELj64EiifEEvT5_PKS1_S3_NS_24const_host_device_scalarIT6_EEPKT4_S3_PKS5_S9_S3_SB_S6_S9_S3_SB_S9_PS1_PS5_21rocsparse_index_base_SE_SE_SE_bbb
		.amdhsa_group_segment_fixed_size 0
		.amdhsa_private_segment_fixed_size 0
		.amdhsa_kernarg_size 156
		.amdhsa_user_sgpr_count 15
		.amdhsa_user_sgpr_dispatch_ptr 0
		.amdhsa_user_sgpr_queue_ptr 0
		.amdhsa_user_sgpr_kernarg_segment_ptr 1
		.amdhsa_user_sgpr_dispatch_id 0
		.amdhsa_user_sgpr_private_segment_size 0
		.amdhsa_wavefront_size32 1
		.amdhsa_uses_dynamic_stack 0
		.amdhsa_enable_private_segment 0
		.amdhsa_system_sgpr_workgroup_id_x 1
		.amdhsa_system_sgpr_workgroup_id_y 0
		.amdhsa_system_sgpr_workgroup_id_z 0
		.amdhsa_system_sgpr_workgroup_info 0
		.amdhsa_system_vgpr_workitem_id 0
		.amdhsa_next_free_vgpr 16
		.amdhsa_next_free_sgpr 44
		.amdhsa_reserve_vcc 1
		.amdhsa_float_round_mode_32 0
		.amdhsa_float_round_mode_16_64 0
		.amdhsa_float_denorm_mode_32 3
		.amdhsa_float_denorm_mode_16_64 3
		.amdhsa_dx10_clamp 1
		.amdhsa_ieee_mode 1
		.amdhsa_fp16_overflow 0
		.amdhsa_workgroup_processor_mode 1
		.amdhsa_memory_ordered 1
		.amdhsa_forward_progress 0
		.amdhsa_shared_vgpr_count 0
		.amdhsa_exception_fp_ieee_invalid_op 0
		.amdhsa_exception_fp_denorm_src 0
		.amdhsa_exception_fp_ieee_div_zero 0
		.amdhsa_exception_fp_ieee_overflow 0
		.amdhsa_exception_fp_ieee_underflow 0
		.amdhsa_exception_fp_ieee_inexact 0
		.amdhsa_exception_int_div_zero 0
	.end_amdhsa_kernel
	.section	.text._ZN9rocsparseL26csrgemm_fill_block_per_rowILj1024ELj64ELj16384ELj137ELj64EiifEEvT5_PKS1_S3_NS_24const_host_device_scalarIT6_EEPKT4_S3_PKS5_S9_S3_SB_S6_S9_S3_SB_S9_PS1_PS5_21rocsparse_index_base_SE_SE_SE_bbb,"axG",@progbits,_ZN9rocsparseL26csrgemm_fill_block_per_rowILj1024ELj64ELj16384ELj137ELj64EiifEEvT5_PKS1_S3_NS_24const_host_device_scalarIT6_EEPKT4_S3_PKS5_S9_S3_SB_S6_S9_S3_SB_S9_PS1_PS5_21rocsparse_index_base_SE_SE_SE_bbb,comdat
.Lfunc_end19:
	.size	_ZN9rocsparseL26csrgemm_fill_block_per_rowILj1024ELj64ELj16384ELj137ELj64EiifEEvT5_PKS1_S3_NS_24const_host_device_scalarIT6_EEPKT4_S3_PKS5_S9_S3_SB_S6_S9_S3_SB_S9_PS1_PS5_21rocsparse_index_base_SE_SE_SE_bbb, .Lfunc_end19-_ZN9rocsparseL26csrgemm_fill_block_per_rowILj1024ELj64ELj16384ELj137ELj64EiifEEvT5_PKS1_S3_NS_24const_host_device_scalarIT6_EEPKT4_S3_PKS5_S9_S3_SB_S6_S9_S3_SB_S9_PS1_PS5_21rocsparse_index_base_SE_SE_SE_bbb
                                        ; -- End function
	.section	.AMDGPU.csdata,"",@progbits
; Kernel info:
; codeLenInByte = 3400
; NumSgprs: 46
; NumVgprs: 16
; ScratchSize: 0
; MemoryBound: 0
; FloatMode: 240
; IeeeMode: 1
; LDSByteSize: 0 bytes/workgroup (compile time only)
; SGPRBlocks: 5
; VGPRBlocks: 1
; NumSGPRsForWavesPerEU: 46
; NumVGPRsForWavesPerEU: 16
; Occupancy: 16
; WaveLimiterHint : 1
; COMPUTE_PGM_RSRC2:SCRATCH_EN: 0
; COMPUTE_PGM_RSRC2:USER_SGPR: 15
; COMPUTE_PGM_RSRC2:TRAP_HANDLER: 0
; COMPUTE_PGM_RSRC2:TGID_X_EN: 1
; COMPUTE_PGM_RSRC2:TGID_Y_EN: 0
; COMPUTE_PGM_RSRC2:TGID_Z_EN: 0
; COMPUTE_PGM_RSRC2:TIDIG_COMP_CNT: 0
	.section	.text._ZN9rocsparseL26csrgemm_fill_block_per_rowILj1024ELj64ELj32768ELj137ELj32EiifEEvT5_PKS1_S3_NS_24const_host_device_scalarIT6_EEPKT4_S3_PKS5_S9_S3_SB_S6_S9_S3_SB_S9_PS1_PS5_21rocsparse_index_base_SE_SE_SE_bbb,"axG",@progbits,_ZN9rocsparseL26csrgemm_fill_block_per_rowILj1024ELj64ELj32768ELj137ELj32EiifEEvT5_PKS1_S3_NS_24const_host_device_scalarIT6_EEPKT4_S3_PKS5_S9_S3_SB_S6_S9_S3_SB_S9_PS1_PS5_21rocsparse_index_base_SE_SE_SE_bbb,comdat
	.globl	_ZN9rocsparseL26csrgemm_fill_block_per_rowILj1024ELj64ELj32768ELj137ELj32EiifEEvT5_PKS1_S3_NS_24const_host_device_scalarIT6_EEPKT4_S3_PKS5_S9_S3_SB_S6_S9_S3_SB_S9_PS1_PS5_21rocsparse_index_base_SE_SE_SE_bbb ; -- Begin function _ZN9rocsparseL26csrgemm_fill_block_per_rowILj1024ELj64ELj32768ELj137ELj32EiifEEvT5_PKS1_S3_NS_24const_host_device_scalarIT6_EEPKT4_S3_PKS5_S9_S3_SB_S6_S9_S3_SB_S9_PS1_PS5_21rocsparse_index_base_SE_SE_SE_bbb
	.p2align	8
	.type	_ZN9rocsparseL26csrgemm_fill_block_per_rowILj1024ELj64ELj32768ELj137ELj32EiifEEvT5_PKS1_S3_NS_24const_host_device_scalarIT6_EEPKT4_S3_PKS5_S9_S3_SB_S6_S9_S3_SB_S9_PS1_PS5_21rocsparse_index_base_SE_SE_SE_bbb,@function
_ZN9rocsparseL26csrgemm_fill_block_per_rowILj1024ELj64ELj32768ELj137ELj32EiifEEvT5_PKS1_S3_NS_24const_host_device_scalarIT6_EEPKT4_S3_PKS5_S9_S3_SB_S6_S9_S3_SB_S9_PS1_PS5_21rocsparse_index_base_SE_SE_SE_bbb: ; @_ZN9rocsparseL26csrgemm_fill_block_per_rowILj1024ELj64ELj32768ELj137ELj32EiifEEvT5_PKS1_S3_NS_24const_host_device_scalarIT6_EEPKT4_S3_PKS5_S9_S3_SB_S6_S9_S3_SB_S9_PS1_PS5_21rocsparse_index_base_SE_SE_SE_bbb
; %bb.0:
	s_clause 0x3
	s_load_b32 s12, s[0:1], 0x98
	s_load_b128 s[44:47], s[0:1], 0x88
	s_load_b64 s[4:5], s[0:1], 0x18
	s_load_b64 s[2:3], s[0:1], 0x50
	s_waitcnt lgkmcnt(0)
	s_bitcmp1_b32 s12, 0
	s_cselect_b32 s13, -1, 0
	s_bitcmp1_b32 s12, 16
	s_cselect_b32 s14, -1, 0
	s_xor_b32 s6, s13, -1
	s_delay_alu instid0(SALU_CYCLE_1) | instskip(NEXT) | instid1(SALU_CYCLE_1)
	s_or_b32 s6, s6, s14
	s_and_b32 vcc_lo, exec_lo, s6
	s_cbranch_vccnz .LBB20_2
; %bb.1:
	s_load_b32 s4, s[4:5], 0x0
	s_waitcnt lgkmcnt(0)
	v_mov_b32_e32 v8, s4
	s_branch .LBB20_3
.LBB20_2:
	v_cndmask_b32_e64 v8, 0, s4, s13
.LBB20_3:
	s_clause 0x4
	s_load_b128 s[48:51], s[0:1], 0x78
	s_load_b256 s[36:43], s[0:1], 0x58
	s_load_b128 s[16:19], s[0:1], 0x40
	s_load_b128 s[20:23], s[0:1], 0x8
	s_load_b256 s[4:11], s[0:1], 0x20
	s_bitcmp1_b32 s12, 8
	s_cselect_b32 s12, -1, 0
	s_delay_alu instid0(SALU_CYCLE_1) | instskip(NEXT) | instid1(SALU_CYCLE_1)
	s_xor_b32 s24, s12, -1
	s_or_b32 s14, s24, s14
	s_delay_alu instid0(SALU_CYCLE_1)
	s_and_b32 vcc_lo, exec_lo, s14
	s_cbranch_vccnz .LBB20_5
; %bb.4:
	s_load_b32 s2, s[2:3], 0x0
	s_waitcnt lgkmcnt(0)
	v_mov_b32_e32 v7, s2
	s_branch .LBB20_6
.LBB20_5:
	v_cndmask_b32_e64 v7, 0, s2, s12
.LBB20_6:
	s_load_b32 s33, s[0:1], 0x0
	v_lshl_add_u32 v5, v0, 2, 0
	v_or_b32_e32 v6, 0xfffffc00, v0
	v_mov_b32_e32 v1, 0
	s_mov_b32 s0, 0
	s_delay_alu instid0(VALU_DEP_3)
	v_mov_b32_e32 v2, v5
	s_waitcnt lgkmcnt(0)
	v_dual_mov_b32 v4, v6 :: v_dual_mov_b32 v3, s33
.LBB20_7:                               ; =>This Inner Loop Header: Depth=1
	s_delay_alu instid0(VALU_DEP_1) | instskip(NEXT) | instid1(VALU_DEP_3)
	v_add_nc_u32_e32 v4, 0x400, v4
	v_add_nc_u32_e32 v9, 0x20000, v2
	ds_store_b32 v2, v3
	v_add_nc_u32_e32 v2, 0x1000, v2
	v_cmp_lt_u32_e32 vcc_lo, 0x7bff, v4
	ds_store_b32 v9, v1
	s_or_b32 s0, vcc_lo, s0
	s_delay_alu instid0(SALU_CYCLE_1)
	s_and_not1_b32 exec_lo, exec_lo, s0
	s_cbranch_execnz .LBB20_7
; %bb.8:
	s_or_b32 exec_lo, exec_lo, s0
	s_waitcnt lgkmcnt(0)
	s_barrier
	buffer_gl0_inv
	s_load_b32 s0, s[20:21], 0x0
	s_mov_b32 s1, 0
	s_waitcnt lgkmcnt(0)
	s_add_i32 s0, s0, s15
	s_delay_alu instid0(SALU_CYCLE_1) | instskip(NEXT) | instid1(SALU_CYCLE_1)
	s_lshl_b64 s[0:1], s[0:1], 2
	s_add_u32 s0, s22, s0
	s_addc_u32 s1, s23, s1
	s_and_b32 vcc_lo, exec_lo, s13
	s_load_b32 s34, s[0:1], 0x0
	s_cbranch_vccz .LBB20_28
; %bb.9:
	s_waitcnt lgkmcnt(0)
	s_ashr_i32 s35, s34, 31
	v_lshrrev_b32_e32 v1, 6, v0
	s_lshl_b64 s[0:1], s[34:35], 2
	s_delay_alu instid0(SALU_CYCLE_1) | instskip(SKIP_1) | instid1(VALU_DEP_1)
	s_add_u32 s0, s4, s0
	s_addc_u32 s1, s5, s1
	v_subrev_nc_u32_e32 v1, s44, v1
	s_load_b64 s[0:1], s[0:1], 0x0
	s_waitcnt lgkmcnt(0)
	s_delay_alu instid0(VALU_DEP_1) | instskip(SKIP_2) | instid1(VALU_DEP_1)
	v_add_nc_u32_e32 v1, s0, v1
	s_sub_i32 s0, s1, s44
	s_mov_b32 s1, exec_lo
	v_cmpx_gt_i32_e64 s0, v1
	s_cbranch_execz .LBB20_27
; %bb.10:
	v_and_b32_e32 v2, 63, v0
	s_mov_b32 s2, 0
	s_delay_alu instid0(VALU_DEP_1)
	v_subrev_nc_u32_e32 v9, s45, v2
	s_branch .LBB20_12
.LBB20_11:                              ;   in Loop: Header=BB20_12 Depth=1
	s_or_b32 exec_lo, exec_lo, s3
	v_add_nc_u32_e32 v1, 16, v1
	s_delay_alu instid0(VALU_DEP_1) | instskip(SKIP_1) | instid1(SALU_CYCLE_1)
	v_cmp_le_i32_e32 vcc_lo, s0, v1
	s_or_b32 s2, vcc_lo, s2
	s_and_not1_b32 exec_lo, exec_lo, s2
	s_cbranch_execz .LBB20_27
.LBB20_12:                              ; =>This Loop Header: Depth=1
                                        ;     Child Loop BB20_15 Depth 2
                                        ;       Child Loop BB20_17 Depth 3
	v_ashrrev_i32_e32 v2, 31, v1
	s_mov_b32 s3, exec_lo
	s_delay_alu instid0(VALU_DEP_1) | instskip(NEXT) | instid1(VALU_DEP_1)
	v_lshlrev_b64 v[3:4], 2, v[1:2]
	v_add_co_u32 v10, vcc_lo, s6, v3
	s_delay_alu instid0(VALU_DEP_2) | instskip(SKIP_3) | instid1(VALU_DEP_1)
	v_add_co_ci_u32_e32 v11, vcc_lo, s7, v4, vcc_lo
	global_load_b32 v2, v[10:11], off
	s_waitcnt vmcnt(0)
	v_subrev_nc_u32_e32 v10, s44, v2
	v_ashrrev_i32_e32 v11, 31, v10
	s_delay_alu instid0(VALU_DEP_1) | instskip(NEXT) | instid1(VALU_DEP_1)
	v_lshlrev_b64 v[10:11], 2, v[10:11]
	v_add_co_u32 v10, vcc_lo, s10, v10
	s_delay_alu instid0(VALU_DEP_2) | instskip(SKIP_4) | instid1(VALU_DEP_1)
	v_add_co_ci_u32_e32 v11, vcc_lo, s11, v11, vcc_lo
	global_load_b64 v[11:12], v[10:11], off
	s_waitcnt vmcnt(0)
	v_subrev_nc_u32_e32 v10, s45, v12
	v_add_nc_u32_e32 v2, v11, v9
	v_cmpx_lt_i32_e64 v2, v10
	s_cbranch_execz .LBB20_11
; %bb.13:                               ;   in Loop: Header=BB20_12 Depth=1
	v_add_co_u32 v3, vcc_lo, s8, v3
	v_add_co_ci_u32_e32 v4, vcc_lo, s9, v4, vcc_lo
	s_mov_b32 s4, 0
	global_load_b32 v3, v[3:4], off
	s_waitcnt vmcnt(0)
	v_mul_f32_e32 v4, v8, v3
	s_branch .LBB20_15
.LBB20_14:                              ;   in Loop: Header=BB20_15 Depth=2
	s_or_b32 exec_lo, exec_lo, s5
	v_add_nc_u32_e32 v2, 64, v2
	s_delay_alu instid0(VALU_DEP_1) | instskip(SKIP_1) | instid1(SALU_CYCLE_1)
	v_cmp_ge_i32_e32 vcc_lo, v2, v10
	s_or_b32 s4, vcc_lo, s4
	s_and_not1_b32 exec_lo, exec_lo, s4
	s_cbranch_execz .LBB20_11
.LBB20_15:                              ;   Parent Loop BB20_12 Depth=1
                                        ; =>  This Loop Header: Depth=2
                                        ;       Child Loop BB20_17 Depth 3
	v_ashrrev_i32_e32 v3, 31, v2
	s_mov_b32 s5, 0
	s_delay_alu instid0(VALU_DEP_1) | instskip(NEXT) | instid1(VALU_DEP_1)
	v_lshlrev_b64 v[11:12], 2, v[2:3]
	v_add_co_u32 v13, vcc_lo, s16, v11
	s_delay_alu instid0(VALU_DEP_2)
	v_add_co_ci_u32_e32 v14, vcc_lo, s17, v12, vcc_lo
	v_add_co_u32 v11, vcc_lo, s18, v11
	v_add_co_ci_u32_e32 v12, vcc_lo, s19, v12, vcc_lo
	global_load_b32 v3, v[13:14], off
	global_load_b32 v11, v[11:12], off
	s_waitcnt vmcnt(1)
	v_subrev_nc_u32_e32 v3, s45, v3
	s_delay_alu instid0(VALU_DEP_1) | instskip(SKIP_1) | instid1(VALU_DEP_1)
	v_mul_lo_u32 v12, 0x89, v3
	s_waitcnt vmcnt(0)
	v_dual_mul_f32 v11, v4, v11 :: v_dual_and_b32 v12, 0x7fff, v12
	s_branch .LBB20_17
.LBB20_16:                              ;   in Loop: Header=BB20_17 Depth=3
	s_or_b32 exec_lo, exec_lo, s13
	s_xor_b32 s13, s14, -1
	s_delay_alu instid0(SALU_CYCLE_1) | instskip(NEXT) | instid1(SALU_CYCLE_1)
	s_and_b32 s13, exec_lo, s13
	s_or_b32 s5, s13, s5
	s_delay_alu instid0(SALU_CYCLE_1)
	s_and_not1_b32 exec_lo, exec_lo, s5
	s_cbranch_execz .LBB20_14
.LBB20_17:                              ;   Parent Loop BB20_12 Depth=1
                                        ;     Parent Loop BB20_15 Depth=2
                                        ; =>    This Inner Loop Header: Depth=3
	s_delay_alu instid0(VALU_DEP_1)
	v_lshl_add_u32 v13, v12, 2, 0
	s_mov_b32 s13, exec_lo
                                        ; implicit-def: $sgpr14
	ds_load_b32 v14, v13
	s_waitcnt lgkmcnt(0)
	v_cmpx_ne_u32_e64 v14, v3
	s_xor_b32 s13, exec_lo, s13
	s_cbranch_execz .LBB20_25
; %bb.18:                               ;   in Loop: Header=BB20_17 Depth=3
	s_mov_b32 s15, exec_lo
                                        ; implicit-def: $sgpr14
	v_cmpx_ne_u32_e64 s33, v14
	s_xor_b32 s15, exec_lo, s15
; %bb.19:                               ;   in Loop: Header=BB20_17 Depth=3
	v_add_nc_u32_e32 v12, 1, v12
	s_mov_b32 s14, -1
                                        ; implicit-def: $vgpr13
	s_delay_alu instid0(VALU_DEP_1)
	v_and_b32_e32 v12, 0x7fff, v12
; %bb.20:                               ;   in Loop: Header=BB20_17 Depth=3
	s_and_not1_saveexec_b32 s15, s15
	s_cbranch_execz .LBB20_24
; %bb.21:                               ;   in Loop: Header=BB20_17 Depth=3
	v_mov_b32_e32 v14, s33
	s_mov_b32 s20, -1
	s_mov_b32 s21, exec_lo
	ds_cmpstore_rtn_b32 v13, v13, v3, v14
	s_waitcnt lgkmcnt(0)
	v_cmpx_eq_u32_e64 s33, v13
	s_cbranch_execz .LBB20_23
; %bb.22:                               ;   in Loop: Header=BB20_17 Depth=3
	v_lshlrev_b32_e32 v13, 2, v12
	s_xor_b32 s20, exec_lo, -1
	s_delay_alu instid0(VALU_DEP_1)
	v_add3_u32 v13, 0, v13, 0x20000
	ds_add_f32 v13, v11
.LBB20_23:                              ;   in Loop: Header=BB20_17 Depth=3
	s_or_b32 exec_lo, exec_lo, s21
	s_delay_alu instid0(SALU_CYCLE_1) | instskip(SKIP_1) | instid1(SALU_CYCLE_1)
	s_and_not1_b32 s14, s14, exec_lo
	s_and_b32 s20, s20, exec_lo
	s_or_b32 s14, s14, s20
.LBB20_24:                              ;   in Loop: Header=BB20_17 Depth=3
	s_or_b32 exec_lo, exec_lo, s15
	s_delay_alu instid0(SALU_CYCLE_1)
	s_and_b32 s14, s14, exec_lo
.LBB20_25:                              ;   in Loop: Header=BB20_17 Depth=3
	s_and_not1_saveexec_b32 s13, s13
	s_cbranch_execz .LBB20_16
; %bb.26:                               ;   in Loop: Header=BB20_17 Depth=3
	v_lshlrev_b32_e32 v13, 2, v12
	s_and_not1_b32 s14, s14, exec_lo
	s_delay_alu instid0(VALU_DEP_1)
	v_add3_u32 v13, 0, v13, 0x20000
	ds_add_f32 v13, v11
	s_branch .LBB20_16
.LBB20_27:
	s_or_b32 exec_lo, exec_lo, s1
.LBB20_28:
	s_delay_alu instid0(SALU_CYCLE_1)
	s_and_not1_b32 vcc_lo, exec_lo, s12
	s_cbranch_vccnz .LBB20_45
; %bb.29:
	s_waitcnt lgkmcnt(0)
	s_ashr_i32 s35, s34, 31
	v_subrev_nc_u32_e32 v1, s47, v0
	s_lshl_b64 s[0:1], s[34:35], 2
	s_delay_alu instid0(SALU_CYCLE_1)
	s_add_u32 s0, s36, s0
	s_addc_u32 s1, s37, s1
	s_load_b64 s[0:1], s[0:1], 0x0
	s_waitcnt lgkmcnt(0)
	v_add_nc_u32_e32 v1, s0, v1
	s_sub_i32 s0, s1, s47
	s_mov_b32 s1, exec_lo
	s_delay_alu instid0(VALU_DEP_1)
	v_cmpx_gt_i32_e64 s0, v1
	s_cbranch_execz .LBB20_44
; %bb.30:
	s_mov_b32 s2, 0
	s_branch .LBB20_32
.LBB20_31:                              ;   in Loop: Header=BB20_32 Depth=1
	s_or_b32 exec_lo, exec_lo, s3
	v_add_nc_u32_e32 v1, 0x400, v1
	s_delay_alu instid0(VALU_DEP_1) | instskip(SKIP_1) | instid1(SALU_CYCLE_1)
	v_cmp_le_i32_e32 vcc_lo, s0, v1
	s_or_b32 s2, vcc_lo, s2
	s_and_not1_b32 exec_lo, exec_lo, s2
	s_cbranch_execz .LBB20_44
.LBB20_32:                              ; =>This Loop Header: Depth=1
                                        ;     Child Loop BB20_34 Depth 2
	v_ashrrev_i32_e32 v2, 31, v1
	s_mov_b32 s3, 0
	s_delay_alu instid0(VALU_DEP_1) | instskip(NEXT) | instid1(VALU_DEP_1)
	v_lshlrev_b64 v[2:3], 2, v[1:2]
	v_add_co_u32 v8, vcc_lo, s38, v2
	s_delay_alu instid0(VALU_DEP_2)
	v_add_co_ci_u32_e32 v9, vcc_lo, s39, v3, vcc_lo
	v_add_co_u32 v2, vcc_lo, s40, v2
	v_add_co_ci_u32_e32 v3, vcc_lo, s41, v3, vcc_lo
	global_load_b32 v4, v[8:9], off
	global_load_b32 v3, v[2:3], off
	s_waitcnt vmcnt(1)
	v_subrev_nc_u32_e32 v2, s47, v4
	s_delay_alu instid0(VALU_DEP_1) | instskip(SKIP_1) | instid1(VALU_DEP_1)
	v_mul_lo_u32 v4, 0x89, v2
	s_waitcnt vmcnt(0)
	v_dual_mul_f32 v3, v7, v3 :: v_dual_and_b32 v4, 0x7fff, v4
	s_branch .LBB20_34
.LBB20_33:                              ;   in Loop: Header=BB20_34 Depth=2
	s_or_b32 exec_lo, exec_lo, s4
	s_xor_b32 s4, s5, -1
	s_delay_alu instid0(SALU_CYCLE_1) | instskip(NEXT) | instid1(SALU_CYCLE_1)
	s_and_b32 s4, exec_lo, s4
	s_or_b32 s3, s4, s3
	s_delay_alu instid0(SALU_CYCLE_1)
	s_and_not1_b32 exec_lo, exec_lo, s3
	s_cbranch_execz .LBB20_31
.LBB20_34:                              ;   Parent Loop BB20_32 Depth=1
                                        ; =>  This Inner Loop Header: Depth=2
	s_delay_alu instid0(VALU_DEP_1)
	v_lshl_add_u32 v8, v4, 2, 0
	s_mov_b32 s4, exec_lo
                                        ; implicit-def: $sgpr5
	ds_load_b32 v9, v8
	s_waitcnt lgkmcnt(0)
	v_cmpx_ne_u32_e64 v9, v2
	s_xor_b32 s4, exec_lo, s4
	s_cbranch_execz .LBB20_42
; %bb.35:                               ;   in Loop: Header=BB20_34 Depth=2
	s_mov_b32 s6, exec_lo
                                        ; implicit-def: $sgpr5
	v_cmpx_ne_u32_e64 s33, v9
	s_xor_b32 s6, exec_lo, s6
; %bb.36:                               ;   in Loop: Header=BB20_34 Depth=2
	v_add_nc_u32_e32 v4, 1, v4
	s_mov_b32 s5, -1
                                        ; implicit-def: $vgpr8
	s_delay_alu instid0(VALU_DEP_1)
	v_and_b32_e32 v4, 0x7fff, v4
; %bb.37:                               ;   in Loop: Header=BB20_34 Depth=2
	s_and_not1_saveexec_b32 s6, s6
	s_cbranch_execz .LBB20_41
; %bb.38:                               ;   in Loop: Header=BB20_34 Depth=2
	v_mov_b32_e32 v9, s33
	s_mov_b32 s7, -1
	s_mov_b32 s8, exec_lo
	ds_cmpstore_rtn_b32 v8, v8, v2, v9
	s_waitcnt lgkmcnt(0)
	v_cmpx_eq_u32_e64 s33, v8
	s_cbranch_execz .LBB20_40
; %bb.39:                               ;   in Loop: Header=BB20_34 Depth=2
	v_lshlrev_b32_e32 v8, 2, v4
	s_xor_b32 s7, exec_lo, -1
	s_delay_alu instid0(VALU_DEP_1)
	v_add3_u32 v8, 0, v8, 0x20000
	ds_add_f32 v8, v3
.LBB20_40:                              ;   in Loop: Header=BB20_34 Depth=2
	s_or_b32 exec_lo, exec_lo, s8
	s_delay_alu instid0(SALU_CYCLE_1) | instskip(SKIP_1) | instid1(SALU_CYCLE_1)
	s_and_not1_b32 s5, s5, exec_lo
	s_and_b32 s7, s7, exec_lo
	s_or_b32 s5, s5, s7
.LBB20_41:                              ;   in Loop: Header=BB20_34 Depth=2
	s_or_b32 exec_lo, exec_lo, s6
	s_delay_alu instid0(SALU_CYCLE_1)
	s_and_b32 s5, s5, exec_lo
.LBB20_42:                              ;   in Loop: Header=BB20_34 Depth=2
	s_and_not1_saveexec_b32 s4, s4
	s_cbranch_execz .LBB20_33
; %bb.43:                               ;   in Loop: Header=BB20_34 Depth=2
	v_lshlrev_b32_e32 v8, 2, v4
	s_and_not1_b32 s5, s5, exec_lo
	s_delay_alu instid0(VALU_DEP_1)
	v_add3_u32 v8, 0, v8, 0x20000
	ds_add_f32 v8, v3
	s_branch .LBB20_33
.LBB20_44:
	s_or_b32 exec_lo, exec_lo, s1
.LBB20_45:
	v_mbcnt_lo_u32_b32 v1, -1, 0
	v_lshrrev_b32_e32 v2, 3, v0
	s_add_i32 s70, 0, 0x4007c
	v_cmp_eq_u32_e32 vcc_lo, 0x3ff, v0
	v_cmp_lt_u32_e64 s0, 31, v0
	v_xor_b32_e32 v1, 63, v1
	v_dual_mov_b32 v4, s70 :: v_dual_and_b32 v3, 0x7c, v2
	v_cmp_lt_u32_e64 s1, 63, v0
	v_cmp_lt_u32_e64 s2, 0x5f, v0
	s_delay_alu instid0(VALU_DEP_4) | instskip(NEXT) | instid1(VALU_DEP_4)
	v_lshrrev_b64 v[1:2], v1, -1
	v_add3_u32 v2, 0, 0x40000, v3
	v_cmp_lt_u32_e64 s3, 0x7f, v0
	v_cmp_lt_u32_e64 s4, 0x9f, v0
	;; [unrolled: 1-line block ×28, first 2 shown]
	v_mov_b32_e32 v3, 0
	s_mov_b32 s35, 0
	s_add_i32 s36, 0, 0x40000
	s_add_i32 s37, 0, 0x40004
	s_add_i32 s38, 0, 0x40008
	s_add_i32 s39, 0, 0x4000c
	s_add_i32 s40, 0, 0x40010
	s_add_i32 s41, 0, 0x40014
	s_add_i32 s44, 0, 0x40018
	s_add_i32 s45, 0, 0x4001c
	s_add_i32 s47, 0, 0x40020
	s_add_i32 s52, 0, 0x40024
	s_add_i32 s53, 0, 0x40028
	s_add_i32 s54, 0, 0x4002c
	s_add_i32 s55, 0, 0x40030
	s_add_i32 s56, 0, 0x40034
	s_add_i32 s57, 0, 0x40038
	s_add_i32 s58, 0, 0x4003c
	s_add_i32 s59, 0, 0x40040
	s_add_i32 s60, 0, 0x40044
	s_add_i32 s61, 0, 0x40048
	s_add_i32 s62, 0, 0x4004c
	s_add_i32 s63, 0, 0x40050
	s_add_i32 s64, 0, 0x40054
	s_add_i32 s65, 0, 0x40058
	s_add_i32 s66, 0, 0x4005c
	s_add_i32 s67, 0, 0x40060
	s_add_i32 s68, 0, 0x40064
	s_add_i32 s69, 0, 0x40068
	s_add_i32 s71, 0, 0x4006c
	s_add_i32 s72, 0, 0x40070
	s_add_i32 s73, 0, 0x40074
	s_add_i32 s74, 0, 0x40078
	s_waitcnt lgkmcnt(0)
	s_barrier
	buffer_gl0_inv
	s_branch .LBB20_47
.LBB20_46:                              ;   in Loop: Header=BB20_47 Depth=1
	s_or_b32 exec_lo, exec_lo, s31
	s_waitcnt lgkmcnt(0)
	s_barrier
	buffer_gl0_inv
	ds_load_b32 v7, v4
	v_add_nc_u32_e32 v6, 0x400, v6
	v_add_nc_u32_e32 v5, 0x1000, v5
	s_delay_alu instid0(VALU_DEP_2) | instskip(NEXT) | instid1(VALU_DEP_1)
	v_cmp_lt_u32_e64 s31, 0x7bff, v6
	s_or_b32 s35, s31, s35
	s_waitcnt lgkmcnt(0)
	v_add_nc_u32_e32 v3, v7, v3
	s_and_not1_b32 exec_lo, exec_lo, s35
	s_cbranch_execz .LBB20_113
.LBB20_47:                              ; =>This Inner Loop Header: Depth=1
	ds_load_b32 v7, v5
	v_add_nc_u32_e32 v8, 0x20000, v5
	ds_load_b32 v8, v8
	s_waitcnt lgkmcnt(0)
	s_barrier
	buffer_gl0_inv
	v_cmp_gt_i32_e64 s31, s33, v7
	s_delay_alu instid0(VALU_DEP_1) | instskip(NEXT) | instid1(SALU_CYCLE_1)
	s_bcnt1_i32_b32 s75, s31
	v_dual_mov_b32 v10, s75 :: v_dual_and_b32 v9, s31, v1
	s_delay_alu instid0(VALU_DEP_1)
	v_bcnt_u32_b32 v9, v9, 0
	ds_store_b32 v2, v10
	s_waitcnt lgkmcnt(0)
	s_barrier
	buffer_gl0_inv
	s_and_saveexec_b32 s75, s0
	s_cbranch_execnz .LBB20_80
; %bb.48:                               ;   in Loop: Header=BB20_47 Depth=1
	s_or_b32 exec_lo, exec_lo, s75
	s_and_saveexec_b32 s75, s1
	s_cbranch_execnz .LBB20_81
.LBB20_49:                              ;   in Loop: Header=BB20_47 Depth=1
	s_or_b32 exec_lo, exec_lo, s75
	s_and_saveexec_b32 s75, s2
	s_cbranch_execnz .LBB20_82
.LBB20_50:                              ;   in Loop: Header=BB20_47 Depth=1
	s_or_b32 exec_lo, exec_lo, s75
	s_and_saveexec_b32 s75, s3
	s_cbranch_execnz .LBB20_83
.LBB20_51:                              ;   in Loop: Header=BB20_47 Depth=1
	s_or_b32 exec_lo, exec_lo, s75
	s_and_saveexec_b32 s75, s4
	s_cbranch_execnz .LBB20_84
.LBB20_52:                              ;   in Loop: Header=BB20_47 Depth=1
	s_or_b32 exec_lo, exec_lo, s75
	s_and_saveexec_b32 s75, s5
	s_cbranch_execnz .LBB20_85
.LBB20_53:                              ;   in Loop: Header=BB20_47 Depth=1
	s_or_b32 exec_lo, exec_lo, s75
	s_and_saveexec_b32 s75, s6
	s_cbranch_execnz .LBB20_86
.LBB20_54:                              ;   in Loop: Header=BB20_47 Depth=1
	s_or_b32 exec_lo, exec_lo, s75
	s_and_saveexec_b32 s75, s7
	s_cbranch_execnz .LBB20_87
.LBB20_55:                              ;   in Loop: Header=BB20_47 Depth=1
	s_or_b32 exec_lo, exec_lo, s75
	s_and_saveexec_b32 s75, s8
	s_cbranch_execnz .LBB20_88
.LBB20_56:                              ;   in Loop: Header=BB20_47 Depth=1
	s_or_b32 exec_lo, exec_lo, s75
	s_and_saveexec_b32 s75, s9
	s_cbranch_execnz .LBB20_89
.LBB20_57:                              ;   in Loop: Header=BB20_47 Depth=1
	s_or_b32 exec_lo, exec_lo, s75
	s_and_saveexec_b32 s75, s10
	s_cbranch_execnz .LBB20_90
.LBB20_58:                              ;   in Loop: Header=BB20_47 Depth=1
	s_or_b32 exec_lo, exec_lo, s75
	s_and_saveexec_b32 s75, s11
	s_cbranch_execnz .LBB20_91
.LBB20_59:                              ;   in Loop: Header=BB20_47 Depth=1
	s_or_b32 exec_lo, exec_lo, s75
	s_and_saveexec_b32 s75, s12
	s_cbranch_execnz .LBB20_92
.LBB20_60:                              ;   in Loop: Header=BB20_47 Depth=1
	s_or_b32 exec_lo, exec_lo, s75
	s_and_saveexec_b32 s75, s13
	s_cbranch_execnz .LBB20_93
.LBB20_61:                              ;   in Loop: Header=BB20_47 Depth=1
	s_or_b32 exec_lo, exec_lo, s75
	s_and_saveexec_b32 s75, s14
	s_cbranch_execnz .LBB20_94
.LBB20_62:                              ;   in Loop: Header=BB20_47 Depth=1
	s_or_b32 exec_lo, exec_lo, s75
	s_and_saveexec_b32 s75, s15
	s_cbranch_execnz .LBB20_95
.LBB20_63:                              ;   in Loop: Header=BB20_47 Depth=1
	s_or_b32 exec_lo, exec_lo, s75
	s_and_saveexec_b32 s75, s16
	s_cbranch_execnz .LBB20_96
.LBB20_64:                              ;   in Loop: Header=BB20_47 Depth=1
	s_or_b32 exec_lo, exec_lo, s75
	s_and_saveexec_b32 s75, s17
	s_cbranch_execnz .LBB20_97
.LBB20_65:                              ;   in Loop: Header=BB20_47 Depth=1
	s_or_b32 exec_lo, exec_lo, s75
	s_and_saveexec_b32 s75, s18
	s_cbranch_execnz .LBB20_98
.LBB20_66:                              ;   in Loop: Header=BB20_47 Depth=1
	s_or_b32 exec_lo, exec_lo, s75
	s_and_saveexec_b32 s75, s19
	s_cbranch_execnz .LBB20_99
.LBB20_67:                              ;   in Loop: Header=BB20_47 Depth=1
	s_or_b32 exec_lo, exec_lo, s75
	s_and_saveexec_b32 s75, s20
	s_cbranch_execnz .LBB20_100
.LBB20_68:                              ;   in Loop: Header=BB20_47 Depth=1
	s_or_b32 exec_lo, exec_lo, s75
	s_and_saveexec_b32 s75, s21
	s_cbranch_execnz .LBB20_101
.LBB20_69:                              ;   in Loop: Header=BB20_47 Depth=1
	s_or_b32 exec_lo, exec_lo, s75
	s_and_saveexec_b32 s75, s22
	s_cbranch_execnz .LBB20_102
.LBB20_70:                              ;   in Loop: Header=BB20_47 Depth=1
	s_or_b32 exec_lo, exec_lo, s75
	s_and_saveexec_b32 s75, s23
	s_cbranch_execnz .LBB20_103
.LBB20_71:                              ;   in Loop: Header=BB20_47 Depth=1
	s_or_b32 exec_lo, exec_lo, s75
	s_and_saveexec_b32 s75, s24
	s_cbranch_execnz .LBB20_104
.LBB20_72:                              ;   in Loop: Header=BB20_47 Depth=1
	s_or_b32 exec_lo, exec_lo, s75
	s_and_saveexec_b32 s75, s25
	s_cbranch_execnz .LBB20_105
.LBB20_73:                              ;   in Loop: Header=BB20_47 Depth=1
	s_or_b32 exec_lo, exec_lo, s75
	s_and_saveexec_b32 s75, s26
	s_cbranch_execnz .LBB20_106
.LBB20_74:                              ;   in Loop: Header=BB20_47 Depth=1
	s_or_b32 exec_lo, exec_lo, s75
	s_and_saveexec_b32 s75, s27
	s_cbranch_execnz .LBB20_107
.LBB20_75:                              ;   in Loop: Header=BB20_47 Depth=1
	s_or_b32 exec_lo, exec_lo, s75
	s_and_saveexec_b32 s75, s28
	s_cbranch_execnz .LBB20_108
.LBB20_76:                              ;   in Loop: Header=BB20_47 Depth=1
	s_or_b32 exec_lo, exec_lo, s75
	s_and_saveexec_b32 s75, s29
	s_cbranch_execnz .LBB20_109
.LBB20_77:                              ;   in Loop: Header=BB20_47 Depth=1
	s_or_b32 exec_lo, exec_lo, s75
	s_and_saveexec_b32 s75, s30
	s_cbranch_execnz .LBB20_110
.LBB20_78:                              ;   in Loop: Header=BB20_47 Depth=1
	s_or_b32 exec_lo, exec_lo, s75
	s_and_saveexec_b32 s75, s31
	s_cbranch_execnz .LBB20_111
.LBB20_79:                              ;   in Loop: Header=BB20_47 Depth=1
	s_or_b32 exec_lo, exec_lo, s75
	s_and_saveexec_b32 s31, vcc_lo
	s_cbranch_execz .LBB20_46
	s_branch .LBB20_112
.LBB20_80:                              ;   in Loop: Header=BB20_47 Depth=1
	v_mov_b32_e32 v10, s36
	ds_load_b32 v10, v10
	s_waitcnt lgkmcnt(0)
	v_add_nc_u32_e32 v9, v10, v9
	s_or_b32 exec_lo, exec_lo, s75
	s_and_saveexec_b32 s75, s1
	s_cbranch_execz .LBB20_49
.LBB20_81:                              ;   in Loop: Header=BB20_47 Depth=1
	v_mov_b32_e32 v10, s37
	ds_load_b32 v10, v10
	s_waitcnt lgkmcnt(0)
	v_add_nc_u32_e32 v9, v10, v9
	s_or_b32 exec_lo, exec_lo, s75
	s_and_saveexec_b32 s75, s2
	s_cbranch_execz .LBB20_50
.LBB20_82:                              ;   in Loop: Header=BB20_47 Depth=1
	v_mov_b32_e32 v10, s38
	ds_load_b32 v10, v10
	s_waitcnt lgkmcnt(0)
	v_add_nc_u32_e32 v9, v10, v9
	s_or_b32 exec_lo, exec_lo, s75
	s_and_saveexec_b32 s75, s3
	s_cbranch_execz .LBB20_51
.LBB20_83:                              ;   in Loop: Header=BB20_47 Depth=1
	v_mov_b32_e32 v10, s39
	ds_load_b32 v10, v10
	s_waitcnt lgkmcnt(0)
	v_add_nc_u32_e32 v9, v10, v9
	s_or_b32 exec_lo, exec_lo, s75
	s_and_saveexec_b32 s75, s4
	s_cbranch_execz .LBB20_52
.LBB20_84:                              ;   in Loop: Header=BB20_47 Depth=1
	v_mov_b32_e32 v10, s40
	ds_load_b32 v10, v10
	s_waitcnt lgkmcnt(0)
	v_add_nc_u32_e32 v9, v10, v9
	s_or_b32 exec_lo, exec_lo, s75
	s_and_saveexec_b32 s75, s5
	s_cbranch_execz .LBB20_53
.LBB20_85:                              ;   in Loop: Header=BB20_47 Depth=1
	v_mov_b32_e32 v10, s41
	ds_load_b32 v10, v10
	s_waitcnt lgkmcnt(0)
	v_add_nc_u32_e32 v9, v10, v9
	s_or_b32 exec_lo, exec_lo, s75
	s_and_saveexec_b32 s75, s6
	s_cbranch_execz .LBB20_54
.LBB20_86:                              ;   in Loop: Header=BB20_47 Depth=1
	v_mov_b32_e32 v10, s44
	ds_load_b32 v10, v10
	s_waitcnt lgkmcnt(0)
	v_add_nc_u32_e32 v9, v10, v9
	s_or_b32 exec_lo, exec_lo, s75
	s_and_saveexec_b32 s75, s7
	s_cbranch_execz .LBB20_55
.LBB20_87:                              ;   in Loop: Header=BB20_47 Depth=1
	v_mov_b32_e32 v10, s45
	ds_load_b32 v10, v10
	s_waitcnt lgkmcnt(0)
	v_add_nc_u32_e32 v9, v10, v9
	s_or_b32 exec_lo, exec_lo, s75
	s_and_saveexec_b32 s75, s8
	s_cbranch_execz .LBB20_56
.LBB20_88:                              ;   in Loop: Header=BB20_47 Depth=1
	v_mov_b32_e32 v10, s47
	ds_load_b32 v10, v10
	s_waitcnt lgkmcnt(0)
	v_add_nc_u32_e32 v9, v10, v9
	s_or_b32 exec_lo, exec_lo, s75
	s_and_saveexec_b32 s75, s9
	s_cbranch_execz .LBB20_57
.LBB20_89:                              ;   in Loop: Header=BB20_47 Depth=1
	v_mov_b32_e32 v10, s52
	ds_load_b32 v10, v10
	s_waitcnt lgkmcnt(0)
	v_add_nc_u32_e32 v9, v10, v9
	s_or_b32 exec_lo, exec_lo, s75
	s_and_saveexec_b32 s75, s10
	s_cbranch_execz .LBB20_58
.LBB20_90:                              ;   in Loop: Header=BB20_47 Depth=1
	v_mov_b32_e32 v10, s53
	ds_load_b32 v10, v10
	s_waitcnt lgkmcnt(0)
	v_add_nc_u32_e32 v9, v10, v9
	s_or_b32 exec_lo, exec_lo, s75
	s_and_saveexec_b32 s75, s11
	s_cbranch_execz .LBB20_59
.LBB20_91:                              ;   in Loop: Header=BB20_47 Depth=1
	v_mov_b32_e32 v10, s54
	ds_load_b32 v10, v10
	s_waitcnt lgkmcnt(0)
	v_add_nc_u32_e32 v9, v10, v9
	s_or_b32 exec_lo, exec_lo, s75
	s_and_saveexec_b32 s75, s12
	s_cbranch_execz .LBB20_60
.LBB20_92:                              ;   in Loop: Header=BB20_47 Depth=1
	v_mov_b32_e32 v10, s55
	ds_load_b32 v10, v10
	s_waitcnt lgkmcnt(0)
	v_add_nc_u32_e32 v9, v10, v9
	s_or_b32 exec_lo, exec_lo, s75
	s_and_saveexec_b32 s75, s13
	s_cbranch_execz .LBB20_61
.LBB20_93:                              ;   in Loop: Header=BB20_47 Depth=1
	v_mov_b32_e32 v10, s56
	ds_load_b32 v10, v10
	s_waitcnt lgkmcnt(0)
	v_add_nc_u32_e32 v9, v10, v9
	s_or_b32 exec_lo, exec_lo, s75
	s_and_saveexec_b32 s75, s14
	s_cbranch_execz .LBB20_62
.LBB20_94:                              ;   in Loop: Header=BB20_47 Depth=1
	v_mov_b32_e32 v10, s57
	ds_load_b32 v10, v10
	s_waitcnt lgkmcnt(0)
	v_add_nc_u32_e32 v9, v10, v9
	s_or_b32 exec_lo, exec_lo, s75
	s_and_saveexec_b32 s75, s15
	s_cbranch_execz .LBB20_63
.LBB20_95:                              ;   in Loop: Header=BB20_47 Depth=1
	v_mov_b32_e32 v10, s58
	ds_load_b32 v10, v10
	s_waitcnt lgkmcnt(0)
	v_add_nc_u32_e32 v9, v10, v9
	s_or_b32 exec_lo, exec_lo, s75
	s_and_saveexec_b32 s75, s16
	s_cbranch_execz .LBB20_64
.LBB20_96:                              ;   in Loop: Header=BB20_47 Depth=1
	v_mov_b32_e32 v10, s59
	ds_load_b32 v10, v10
	s_waitcnt lgkmcnt(0)
	v_add_nc_u32_e32 v9, v10, v9
	s_or_b32 exec_lo, exec_lo, s75
	s_and_saveexec_b32 s75, s17
	s_cbranch_execz .LBB20_65
.LBB20_97:                              ;   in Loop: Header=BB20_47 Depth=1
	v_mov_b32_e32 v10, s60
	ds_load_b32 v10, v10
	s_waitcnt lgkmcnt(0)
	v_add_nc_u32_e32 v9, v10, v9
	s_or_b32 exec_lo, exec_lo, s75
	s_and_saveexec_b32 s75, s18
	s_cbranch_execz .LBB20_66
.LBB20_98:                              ;   in Loop: Header=BB20_47 Depth=1
	v_mov_b32_e32 v10, s61
	ds_load_b32 v10, v10
	s_waitcnt lgkmcnt(0)
	v_add_nc_u32_e32 v9, v10, v9
	s_or_b32 exec_lo, exec_lo, s75
	s_and_saveexec_b32 s75, s19
	s_cbranch_execz .LBB20_67
.LBB20_99:                              ;   in Loop: Header=BB20_47 Depth=1
	v_mov_b32_e32 v10, s62
	ds_load_b32 v10, v10
	s_waitcnt lgkmcnt(0)
	v_add_nc_u32_e32 v9, v10, v9
	s_or_b32 exec_lo, exec_lo, s75
	s_and_saveexec_b32 s75, s20
	s_cbranch_execz .LBB20_68
.LBB20_100:                             ;   in Loop: Header=BB20_47 Depth=1
	v_mov_b32_e32 v10, s63
	ds_load_b32 v10, v10
	s_waitcnt lgkmcnt(0)
	v_add_nc_u32_e32 v9, v10, v9
	s_or_b32 exec_lo, exec_lo, s75
	s_and_saveexec_b32 s75, s21
	s_cbranch_execz .LBB20_69
.LBB20_101:                             ;   in Loop: Header=BB20_47 Depth=1
	v_mov_b32_e32 v10, s64
	ds_load_b32 v10, v10
	s_waitcnt lgkmcnt(0)
	v_add_nc_u32_e32 v9, v10, v9
	s_or_b32 exec_lo, exec_lo, s75
	s_and_saveexec_b32 s75, s22
	s_cbranch_execz .LBB20_70
.LBB20_102:                             ;   in Loop: Header=BB20_47 Depth=1
	v_mov_b32_e32 v10, s65
	ds_load_b32 v10, v10
	s_waitcnt lgkmcnt(0)
	v_add_nc_u32_e32 v9, v10, v9
	s_or_b32 exec_lo, exec_lo, s75
	s_and_saveexec_b32 s75, s23
	s_cbranch_execz .LBB20_71
.LBB20_103:                             ;   in Loop: Header=BB20_47 Depth=1
	v_mov_b32_e32 v10, s66
	ds_load_b32 v10, v10
	s_waitcnt lgkmcnt(0)
	v_add_nc_u32_e32 v9, v10, v9
	s_or_b32 exec_lo, exec_lo, s75
	s_and_saveexec_b32 s75, s24
	s_cbranch_execz .LBB20_72
.LBB20_104:                             ;   in Loop: Header=BB20_47 Depth=1
	v_mov_b32_e32 v10, s67
	ds_load_b32 v10, v10
	s_waitcnt lgkmcnt(0)
	v_add_nc_u32_e32 v9, v10, v9
	s_or_b32 exec_lo, exec_lo, s75
	s_and_saveexec_b32 s75, s25
	s_cbranch_execz .LBB20_73
.LBB20_105:                             ;   in Loop: Header=BB20_47 Depth=1
	v_mov_b32_e32 v10, s68
	ds_load_b32 v10, v10
	s_waitcnt lgkmcnt(0)
	v_add_nc_u32_e32 v9, v10, v9
	s_or_b32 exec_lo, exec_lo, s75
	s_and_saveexec_b32 s75, s26
	s_cbranch_execz .LBB20_74
.LBB20_106:                             ;   in Loop: Header=BB20_47 Depth=1
	v_mov_b32_e32 v10, s69
	ds_load_b32 v10, v10
	s_waitcnt lgkmcnt(0)
	v_add_nc_u32_e32 v9, v10, v9
	s_or_b32 exec_lo, exec_lo, s75
	s_and_saveexec_b32 s75, s27
	s_cbranch_execz .LBB20_75
.LBB20_107:                             ;   in Loop: Header=BB20_47 Depth=1
	v_mov_b32_e32 v10, s71
	ds_load_b32 v10, v10
	s_waitcnt lgkmcnt(0)
	v_add_nc_u32_e32 v9, v10, v9
	s_or_b32 exec_lo, exec_lo, s75
	s_and_saveexec_b32 s75, s28
	s_cbranch_execz .LBB20_76
.LBB20_108:                             ;   in Loop: Header=BB20_47 Depth=1
	v_mov_b32_e32 v10, s72
	ds_load_b32 v10, v10
	s_waitcnt lgkmcnt(0)
	v_add_nc_u32_e32 v9, v10, v9
	s_or_b32 exec_lo, exec_lo, s75
	s_and_saveexec_b32 s75, s29
	s_cbranch_execz .LBB20_77
.LBB20_109:                             ;   in Loop: Header=BB20_47 Depth=1
	v_mov_b32_e32 v10, s73
	ds_load_b32 v10, v10
	s_waitcnt lgkmcnt(0)
	v_add_nc_u32_e32 v9, v10, v9
	s_or_b32 exec_lo, exec_lo, s75
	s_and_saveexec_b32 s75, s30
	s_cbranch_execz .LBB20_78
.LBB20_110:                             ;   in Loop: Header=BB20_47 Depth=1
	v_mov_b32_e32 v10, s74
	ds_load_b32 v10, v10
	s_waitcnt lgkmcnt(0)
	v_add_nc_u32_e32 v9, v10, v9
	s_or_b32 exec_lo, exec_lo, s75
	s_and_saveexec_b32 s75, s31
	s_cbranch_execz .LBB20_79
.LBB20_111:                             ;   in Loop: Header=BB20_47 Depth=1
	s_delay_alu instid0(VALU_DEP_1) | instskip(NEXT) | instid1(VALU_DEP_1)
	v_add3_u32 v10, v3, -1, v9
	v_lshl_add_u32 v10, v10, 2, 0
	s_delay_alu instid0(VALU_DEP_1)
	v_add_nc_u32_e32 v11, 0x20000, v10
	ds_store_b32 v10, v7
	ds_store_b32 v11, v8
	s_or_b32 exec_lo, exec_lo, s75
	s_and_saveexec_b32 s31, vcc_lo
	s_cbranch_execz .LBB20_46
.LBB20_112:                             ;   in Loop: Header=BB20_47 Depth=1
	v_mov_b32_e32 v7, s70
	ds_store_b32 v7, v9
	s_branch .LBB20_46
.LBB20_113:
	s_or_b32 exec_lo, exec_lo, s35
	s_ashr_i32 s35, s34, 31
	s_mov_b32 s3, exec_lo
	s_lshl_b64 s[0:1], s[34:35], 2
	s_delay_alu instid0(SALU_CYCLE_1) | instskip(SKIP_4) | instid1(SALU_CYCLE_1)
	s_add_u32 s0, s42, s0
	s_addc_u32 s1, s43, s1
	s_load_b64 s[0:1], s[0:1], 0x0
	s_waitcnt lgkmcnt(0)
	s_sub_i32 s2, s1, s0
	v_cmpx_gt_i32_e64 s2, v0
	s_cbranch_execz .LBB20_123
; %bb.114:
	s_sub_i32 s3, s0, s46
	s_sub_i32 s0, s0, s1
	s_and_b32 s1, s2, 7
	s_cmp_lt_u32 s0, -7
	s_mov_b32 s7, 0
	s_cselect_b32 s4, -1, 0
	s_and_b32 s5, s2, -8
	s_cmp_lg_u32 s1, 0
	s_cselect_b32 s6, -1, 0
	s_branch .LBB20_116
.LBB20_115:                             ;   in Loop: Header=BB20_116 Depth=1
	s_delay_alu instid0(VALU_DEP_1) | instskip(SKIP_3) | instid1(VALU_DEP_3)
	v_ashrrev_i32_e32 v2, 31, v1
	v_add_nc_u32_e32 v0, 0x400, v0
	s_waitcnt lgkmcnt(1)
	v_add_nc_u32_e32 v6, s46, v4
	v_lshlrev_b64 v[1:2], 2, v[1:2]
	s_delay_alu instid0(VALU_DEP_3) | instskip(SKIP_1) | instid1(VALU_DEP_2)
	v_cmp_le_i32_e32 vcc_lo, s2, v0
	s_or_b32 s7, vcc_lo, s7
	v_add_co_u32 v4, s0, s48, v1
	s_delay_alu instid0(VALU_DEP_1) | instskip(SKIP_1) | instid1(VALU_DEP_1)
	v_add_co_ci_u32_e64 v5, s0, s49, v2, s0
	v_add_co_u32 v1, s0, s50, v1
	v_add_co_ci_u32_e64 v2, s0, s51, v2, s0
	global_store_b32 v[4:5], v6, off
	s_waitcnt lgkmcnt(0)
	global_store_b32 v[1:2], v3, off
	s_and_not1_b32 exec_lo, exec_lo, s7
	s_cbranch_execz .LBB20_123
.LBB20_116:                             ; =>This Loop Header: Depth=1
                                        ;     Child Loop BB20_118 Depth 2
                                        ;     Child Loop BB20_122 Depth 2
	v_lshl_add_u32 v1, v0, 2, 0
	s_and_not1_b32 vcc_lo, exec_lo, s4
	s_mov_b32 s0, 0
	s_delay_alu instid0(VALU_DEP_1)
	v_add_nc_u32_e32 v2, 0x20000, v1
	ds_load_b32 v4, v1
	ds_load_b32 v3, v2
	v_mov_b32_e32 v1, s3
	s_cbranch_vccnz .LBB20_120
; %bb.117:                              ;   in Loop: Header=BB20_116 Depth=1
	v_mov_b32_e32 v1, s3
	s_mov_b32 s8, 0
	s_set_inst_prefetch_distance 0x1
	.p2align	6
.LBB20_118:                             ;   Parent Loop BB20_116 Depth=1
                                        ; =>  This Inner Loop Header: Depth=2
	v_mov_b32_e32 v2, s8
	s_add_i32 s0, s0, 8
	s_add_i32 s8, s8, 32
	s_cmp_eq_u32 s5, s0
	ds_load_2addr_b32 v[5:6], v2 offset1:1
	ds_load_2addr_b32 v[7:8], v2 offset0:2 offset1:3
	ds_load_2addr_b32 v[9:10], v2 offset0:4 offset1:5
	;; [unrolled: 1-line block ×3, first 2 shown]
	s_waitcnt lgkmcnt(3)
	v_cmp_gt_i32_e32 vcc_lo, v4, v5
	v_cndmask_b32_e64 v2, 0, 1, vcc_lo
	s_waitcnt lgkmcnt(2)
	v_cmp_gt_i32_e32 vcc_lo, v4, v7
	v_cndmask_b32_e64 v5, 0, 1, vcc_lo
	v_cmp_gt_i32_e32 vcc_lo, v4, v6
	v_add_co_ci_u32_e32 v1, vcc_lo, v1, v2, vcc_lo
	s_waitcnt lgkmcnt(1)
	v_cmp_gt_i32_e32 vcc_lo, v4, v9
	v_cndmask_b32_e64 v2, 0, 1, vcc_lo
	v_cmp_gt_i32_e32 vcc_lo, v4, v8
	v_add_co_ci_u32_e32 v1, vcc_lo, v1, v5, vcc_lo
	;; [unrolled: 5-line block ×3, first 2 shown]
	v_cmp_gt_i32_e32 vcc_lo, v4, v12
	s_delay_alu instid0(VALU_DEP_2)
	v_add_co_ci_u32_e32 v1, vcc_lo, v1, v5, vcc_lo
	s_cbranch_scc0 .LBB20_118
; %bb.119:                              ;   in Loop: Header=BB20_116 Depth=1
	s_set_inst_prefetch_distance 0x2
	s_mov_b32 s0, s5
.LBB20_120:                             ;   in Loop: Header=BB20_116 Depth=1
	s_and_not1_b32 vcc_lo, exec_lo, s6
	s_cbranch_vccnz .LBB20_115
; %bb.121:                              ;   in Loop: Header=BB20_116 Depth=1
	s_lshl_b32 s0, s0, 2
	s_mov_b32 s8, s1
	s_add_i32 s0, s0, 0
.LBB20_122:                             ;   Parent Loop BB20_116 Depth=1
                                        ; =>  This Inner Loop Header: Depth=2
	s_delay_alu instid0(SALU_CYCLE_1)
	v_mov_b32_e32 v2, s0
	s_add_i32 s8, s8, -1
	s_add_i32 s0, s0, 4
	s_cmp_lg_u32 s8, 0
	ds_load_b32 v2, v2
	s_waitcnt lgkmcnt(0)
	v_cmp_gt_i32_e32 vcc_lo, v4, v2
	v_add_co_ci_u32_e32 v1, vcc_lo, 0, v1, vcc_lo
	s_cbranch_scc1 .LBB20_122
	s_branch .LBB20_115
.LBB20_123:
	s_nop 0
	s_sendmsg sendmsg(MSG_DEALLOC_VGPRS)
	s_endpgm
	.section	.rodata,"a",@progbits
	.p2align	6, 0x0
	.amdhsa_kernel _ZN9rocsparseL26csrgemm_fill_block_per_rowILj1024ELj64ELj32768ELj137ELj32EiifEEvT5_PKS1_S3_NS_24const_host_device_scalarIT6_EEPKT4_S3_PKS5_S9_S3_SB_S6_S9_S3_SB_S9_PS1_PS5_21rocsparse_index_base_SE_SE_SE_bbb
		.amdhsa_group_segment_fixed_size 0
		.amdhsa_private_segment_fixed_size 0
		.amdhsa_kernarg_size 156
		.amdhsa_user_sgpr_count 15
		.amdhsa_user_sgpr_dispatch_ptr 0
		.amdhsa_user_sgpr_queue_ptr 0
		.amdhsa_user_sgpr_kernarg_segment_ptr 1
		.amdhsa_user_sgpr_dispatch_id 0
		.amdhsa_user_sgpr_private_segment_size 0
		.amdhsa_wavefront_size32 1
		.amdhsa_uses_dynamic_stack 0
		.amdhsa_enable_private_segment 0
		.amdhsa_system_sgpr_workgroup_id_x 1
		.amdhsa_system_sgpr_workgroup_id_y 0
		.amdhsa_system_sgpr_workgroup_id_z 0
		.amdhsa_system_sgpr_workgroup_info 0
		.amdhsa_system_vgpr_workitem_id 0
		.amdhsa_next_free_vgpr 15
		.amdhsa_next_free_sgpr 76
		.amdhsa_reserve_vcc 1
		.amdhsa_float_round_mode_32 0
		.amdhsa_float_round_mode_16_64 0
		.amdhsa_float_denorm_mode_32 3
		.amdhsa_float_denorm_mode_16_64 3
		.amdhsa_dx10_clamp 1
		.amdhsa_ieee_mode 1
		.amdhsa_fp16_overflow 0
		.amdhsa_workgroup_processor_mode 1
		.amdhsa_memory_ordered 1
		.amdhsa_forward_progress 0
		.amdhsa_shared_vgpr_count 0
		.amdhsa_exception_fp_ieee_invalid_op 0
		.amdhsa_exception_fp_denorm_src 0
		.amdhsa_exception_fp_ieee_div_zero 0
		.amdhsa_exception_fp_ieee_overflow 0
		.amdhsa_exception_fp_ieee_underflow 0
		.amdhsa_exception_fp_ieee_inexact 0
		.amdhsa_exception_int_div_zero 0
	.end_amdhsa_kernel
	.section	.text._ZN9rocsparseL26csrgemm_fill_block_per_rowILj1024ELj64ELj32768ELj137ELj32EiifEEvT5_PKS1_S3_NS_24const_host_device_scalarIT6_EEPKT4_S3_PKS5_S9_S3_SB_S6_S9_S3_SB_S9_PS1_PS5_21rocsparse_index_base_SE_SE_SE_bbb,"axG",@progbits,_ZN9rocsparseL26csrgemm_fill_block_per_rowILj1024ELj64ELj32768ELj137ELj32EiifEEvT5_PKS1_S3_NS_24const_host_device_scalarIT6_EEPKT4_S3_PKS5_S9_S3_SB_S6_S9_S3_SB_S9_PS1_PS5_21rocsparse_index_base_SE_SE_SE_bbb,comdat
.Lfunc_end20:
	.size	_ZN9rocsparseL26csrgemm_fill_block_per_rowILj1024ELj64ELj32768ELj137ELj32EiifEEvT5_PKS1_S3_NS_24const_host_device_scalarIT6_EEPKT4_S3_PKS5_S9_S3_SB_S6_S9_S3_SB_S9_PS1_PS5_21rocsparse_index_base_SE_SE_SE_bbb, .Lfunc_end20-_ZN9rocsparseL26csrgemm_fill_block_per_rowILj1024ELj64ELj32768ELj137ELj32EiifEEvT5_PKS1_S3_NS_24const_host_device_scalarIT6_EEPKT4_S3_PKS5_S9_S3_SB_S6_S9_S3_SB_S9_PS1_PS5_21rocsparse_index_base_SE_SE_SE_bbb
                                        ; -- End function
	.section	.AMDGPU.csdata,"",@progbits
; Kernel info:
; codeLenInByte = 4432
; NumSgprs: 78
; NumVgprs: 15
; ScratchSize: 0
; MemoryBound: 0
; FloatMode: 240
; IeeeMode: 1
; LDSByteSize: 0 bytes/workgroup (compile time only)
; SGPRBlocks: 9
; VGPRBlocks: 1
; NumSGPRsForWavesPerEU: 78
; NumVGPRsForWavesPerEU: 15
; Occupancy: 16
; WaveLimiterHint : 1
; COMPUTE_PGM_RSRC2:SCRATCH_EN: 0
; COMPUTE_PGM_RSRC2:USER_SGPR: 15
; COMPUTE_PGM_RSRC2:TRAP_HANDLER: 0
; COMPUTE_PGM_RSRC2:TGID_X_EN: 1
; COMPUTE_PGM_RSRC2:TGID_Y_EN: 0
; COMPUTE_PGM_RSRC2:TGID_Z_EN: 0
; COMPUTE_PGM_RSRC2:TIDIG_COMP_CNT: 0
	.section	.text._ZN9rocsparseL26csrgemm_fill_block_per_rowILj1024ELj64ELj32768ELj137ELj64EiifEEvT5_PKS1_S3_NS_24const_host_device_scalarIT6_EEPKT4_S3_PKS5_S9_S3_SB_S6_S9_S3_SB_S9_PS1_PS5_21rocsparse_index_base_SE_SE_SE_bbb,"axG",@progbits,_ZN9rocsparseL26csrgemm_fill_block_per_rowILj1024ELj64ELj32768ELj137ELj64EiifEEvT5_PKS1_S3_NS_24const_host_device_scalarIT6_EEPKT4_S3_PKS5_S9_S3_SB_S6_S9_S3_SB_S9_PS1_PS5_21rocsparse_index_base_SE_SE_SE_bbb,comdat
	.globl	_ZN9rocsparseL26csrgemm_fill_block_per_rowILj1024ELj64ELj32768ELj137ELj64EiifEEvT5_PKS1_S3_NS_24const_host_device_scalarIT6_EEPKT4_S3_PKS5_S9_S3_SB_S6_S9_S3_SB_S9_PS1_PS5_21rocsparse_index_base_SE_SE_SE_bbb ; -- Begin function _ZN9rocsparseL26csrgemm_fill_block_per_rowILj1024ELj64ELj32768ELj137ELj64EiifEEvT5_PKS1_S3_NS_24const_host_device_scalarIT6_EEPKT4_S3_PKS5_S9_S3_SB_S6_S9_S3_SB_S9_PS1_PS5_21rocsparse_index_base_SE_SE_SE_bbb
	.p2align	8
	.type	_ZN9rocsparseL26csrgemm_fill_block_per_rowILj1024ELj64ELj32768ELj137ELj64EiifEEvT5_PKS1_S3_NS_24const_host_device_scalarIT6_EEPKT4_S3_PKS5_S9_S3_SB_S6_S9_S3_SB_S9_PS1_PS5_21rocsparse_index_base_SE_SE_SE_bbb,@function
_ZN9rocsparseL26csrgemm_fill_block_per_rowILj1024ELj64ELj32768ELj137ELj64EiifEEvT5_PKS1_S3_NS_24const_host_device_scalarIT6_EEPKT4_S3_PKS5_S9_S3_SB_S6_S9_S3_SB_S9_PS1_PS5_21rocsparse_index_base_SE_SE_SE_bbb: ; @_ZN9rocsparseL26csrgemm_fill_block_per_rowILj1024ELj64ELj32768ELj137ELj64EiifEEvT5_PKS1_S3_NS_24const_host_device_scalarIT6_EEPKT4_S3_PKS5_S9_S3_SB_S6_S9_S3_SB_S9_PS1_PS5_21rocsparse_index_base_SE_SE_SE_bbb
; %bb.0:
	s_clause 0x3
	s_load_b32 s12, s[0:1], 0x98
	s_load_b128 s[24:27], s[0:1], 0x88
	s_load_b64 s[4:5], s[0:1], 0x18
	s_load_b64 s[2:3], s[0:1], 0x50
	s_waitcnt lgkmcnt(0)
	s_bitcmp1_b32 s12, 0
	s_cselect_b32 s13, -1, 0
	s_bitcmp1_b32 s12, 16
	s_cselect_b32 s14, -1, 0
	s_xor_b32 s6, s13, -1
	s_delay_alu instid0(SALU_CYCLE_1) | instskip(NEXT) | instid1(SALU_CYCLE_1)
	s_or_b32 s6, s6, s14
	s_and_b32 vcc_lo, exec_lo, s6
	s_cbranch_vccnz .LBB21_2
; %bb.1:
	s_load_b32 s4, s[4:5], 0x0
	s_waitcnt lgkmcnt(0)
	v_mov_b32_e32 v9, s4
	s_branch .LBB21_3
.LBB21_2:
	v_cndmask_b32_e64 v9, 0, s4, s13
.LBB21_3:
	s_clause 0x4
	s_load_b128 s[28:31], s[0:1], 0x78
	s_load_b256 s[16:23], s[0:1], 0x58
	s_load_b128 s[36:39], s[0:1], 0x40
	s_load_b128 s[40:43], s[0:1], 0x8
	s_load_b256 s[4:11], s[0:1], 0x20
	s_bitcmp1_b32 s12, 8
	s_cselect_b32 s12, -1, 0
	s_delay_alu instid0(SALU_CYCLE_1) | instskip(NEXT) | instid1(SALU_CYCLE_1)
	s_xor_b32 s33, s12, -1
	s_or_b32 s14, s33, s14
	s_delay_alu instid0(SALU_CYCLE_1)
	s_and_b32 vcc_lo, exec_lo, s14
	s_cbranch_vccnz .LBB21_5
; %bb.4:
	s_load_b32 s2, s[2:3], 0x0
	s_waitcnt lgkmcnt(0)
	v_mov_b32_e32 v7, s2
	s_branch .LBB21_6
.LBB21_5:
	v_cndmask_b32_e64 v7, 0, s2, s12
.LBB21_6:
	s_load_b32 s33, s[0:1], 0x0
	v_lshl_add_u32 v5, v0, 2, 0
	v_or_b32_e32 v6, 0xfffffc00, v0
	v_mov_b32_e32 v1, 0
	s_mov_b32 s0, 0
	s_delay_alu instid0(VALU_DEP_3)
	v_mov_b32_e32 v2, v5
	s_waitcnt lgkmcnt(0)
	v_dual_mov_b32 v4, v6 :: v_dual_mov_b32 v3, s33
.LBB21_7:                               ; =>This Inner Loop Header: Depth=1
	s_delay_alu instid0(VALU_DEP_1) | instskip(NEXT) | instid1(VALU_DEP_3)
	v_add_nc_u32_e32 v4, 0x400, v4
	v_add_nc_u32_e32 v8, 0x20000, v2
	ds_store_b32 v2, v3
	v_add_nc_u32_e32 v2, 0x1000, v2
	v_cmp_lt_u32_e32 vcc_lo, 0x7bff, v4
	ds_store_b32 v8, v1
	s_or_b32 s0, vcc_lo, s0
	s_delay_alu instid0(SALU_CYCLE_1)
	s_and_not1_b32 exec_lo, exec_lo, s0
	s_cbranch_execnz .LBB21_7
; %bb.8:
	s_or_b32 exec_lo, exec_lo, s0
	s_waitcnt lgkmcnt(0)
	s_barrier
	buffer_gl0_inv
	s_load_b32 s0, s[40:41], 0x0
	s_mov_b32 s1, 0
	v_lshrrev_b32_e32 v8, 6, v0
	s_waitcnt lgkmcnt(0)
	s_add_i32 s0, s0, s15
	s_delay_alu instid0(SALU_CYCLE_1) | instskip(NEXT) | instid1(SALU_CYCLE_1)
	s_lshl_b64 s[0:1], s[0:1], 2
	s_add_u32 s0, s42, s0
	s_addc_u32 s1, s43, s1
	s_and_b32 vcc_lo, exec_lo, s13
	s_load_b32 s34, s[0:1], 0x0
	s_cbranch_vccz .LBB21_28
; %bb.9:
	s_waitcnt lgkmcnt(0)
	s_ashr_i32 s35, s34, 31
	v_subrev_nc_u32_e32 v1, s24, v8
	s_lshl_b64 s[0:1], s[34:35], 2
	s_delay_alu instid0(SALU_CYCLE_1)
	s_add_u32 s0, s4, s0
	s_addc_u32 s1, s5, s1
	s_load_b64 s[0:1], s[0:1], 0x0
	s_waitcnt lgkmcnt(0)
	v_add_nc_u32_e32 v1, s0, v1
	s_sub_i32 s0, s1, s24
	s_mov_b32 s1, exec_lo
	s_delay_alu instid0(VALU_DEP_1)
	v_cmpx_gt_i32_e64 s0, v1
	s_cbranch_execz .LBB21_27
; %bb.10:
	v_and_b32_e32 v2, 63, v0
	s_mov_b32 s2, 0
	s_delay_alu instid0(VALU_DEP_1)
	v_subrev_nc_u32_e32 v10, s25, v2
	s_branch .LBB21_12
.LBB21_11:                              ;   in Loop: Header=BB21_12 Depth=1
	s_or_b32 exec_lo, exec_lo, s3
	v_add_nc_u32_e32 v1, 16, v1
	s_delay_alu instid0(VALU_DEP_1) | instskip(SKIP_1) | instid1(SALU_CYCLE_1)
	v_cmp_le_i32_e32 vcc_lo, s0, v1
	s_or_b32 s2, vcc_lo, s2
	s_and_not1_b32 exec_lo, exec_lo, s2
	s_cbranch_execz .LBB21_27
.LBB21_12:                              ; =>This Loop Header: Depth=1
                                        ;     Child Loop BB21_15 Depth 2
                                        ;       Child Loop BB21_17 Depth 3
	v_ashrrev_i32_e32 v2, 31, v1
	s_mov_b32 s3, exec_lo
	s_delay_alu instid0(VALU_DEP_1) | instskip(NEXT) | instid1(VALU_DEP_1)
	v_lshlrev_b64 v[3:4], 2, v[1:2]
	v_add_co_u32 v11, vcc_lo, s6, v3
	s_delay_alu instid0(VALU_DEP_2) | instskip(SKIP_3) | instid1(VALU_DEP_1)
	v_add_co_ci_u32_e32 v12, vcc_lo, s7, v4, vcc_lo
	global_load_b32 v2, v[11:12], off
	s_waitcnt vmcnt(0)
	v_subrev_nc_u32_e32 v11, s24, v2
	v_ashrrev_i32_e32 v12, 31, v11
	s_delay_alu instid0(VALU_DEP_1) | instskip(NEXT) | instid1(VALU_DEP_1)
	v_lshlrev_b64 v[11:12], 2, v[11:12]
	v_add_co_u32 v11, vcc_lo, s10, v11
	s_delay_alu instid0(VALU_DEP_2) | instskip(SKIP_4) | instid1(VALU_DEP_1)
	v_add_co_ci_u32_e32 v12, vcc_lo, s11, v12, vcc_lo
	global_load_b64 v[12:13], v[11:12], off
	s_waitcnt vmcnt(0)
	v_subrev_nc_u32_e32 v11, s25, v13
	v_add_nc_u32_e32 v2, v12, v10
	v_cmpx_lt_i32_e64 v2, v11
	s_cbranch_execz .LBB21_11
; %bb.13:                               ;   in Loop: Header=BB21_12 Depth=1
	v_add_co_u32 v3, vcc_lo, s8, v3
	v_add_co_ci_u32_e32 v4, vcc_lo, s9, v4, vcc_lo
	s_mov_b32 s4, 0
	global_load_b32 v3, v[3:4], off
	s_waitcnt vmcnt(0)
	v_mul_f32_e32 v4, v9, v3
	s_branch .LBB21_15
.LBB21_14:                              ;   in Loop: Header=BB21_15 Depth=2
	s_or_b32 exec_lo, exec_lo, s5
	v_add_nc_u32_e32 v2, 64, v2
	s_delay_alu instid0(VALU_DEP_1) | instskip(SKIP_1) | instid1(SALU_CYCLE_1)
	v_cmp_ge_i32_e32 vcc_lo, v2, v11
	s_or_b32 s4, vcc_lo, s4
	s_and_not1_b32 exec_lo, exec_lo, s4
	s_cbranch_execz .LBB21_11
.LBB21_15:                              ;   Parent Loop BB21_12 Depth=1
                                        ; =>  This Loop Header: Depth=2
                                        ;       Child Loop BB21_17 Depth 3
	v_ashrrev_i32_e32 v3, 31, v2
	s_mov_b32 s5, 0
	s_delay_alu instid0(VALU_DEP_1) | instskip(NEXT) | instid1(VALU_DEP_1)
	v_lshlrev_b64 v[12:13], 2, v[2:3]
	v_add_co_u32 v14, vcc_lo, s36, v12
	s_delay_alu instid0(VALU_DEP_2)
	v_add_co_ci_u32_e32 v15, vcc_lo, s37, v13, vcc_lo
	v_add_co_u32 v12, vcc_lo, s38, v12
	v_add_co_ci_u32_e32 v13, vcc_lo, s39, v13, vcc_lo
	global_load_b32 v3, v[14:15], off
	global_load_b32 v12, v[12:13], off
	s_waitcnt vmcnt(1)
	v_subrev_nc_u32_e32 v3, s25, v3
	s_delay_alu instid0(VALU_DEP_1) | instskip(SKIP_1) | instid1(VALU_DEP_1)
	v_mul_lo_u32 v13, 0x89, v3
	s_waitcnt vmcnt(0)
	v_dual_mul_f32 v12, v4, v12 :: v_dual_and_b32 v13, 0x7fff, v13
	s_branch .LBB21_17
.LBB21_16:                              ;   in Loop: Header=BB21_17 Depth=3
	s_or_b32 exec_lo, exec_lo, s13
	s_xor_b32 s13, s14, -1
	s_delay_alu instid0(SALU_CYCLE_1) | instskip(NEXT) | instid1(SALU_CYCLE_1)
	s_and_b32 s13, exec_lo, s13
	s_or_b32 s5, s13, s5
	s_delay_alu instid0(SALU_CYCLE_1)
	s_and_not1_b32 exec_lo, exec_lo, s5
	s_cbranch_execz .LBB21_14
.LBB21_17:                              ;   Parent Loop BB21_12 Depth=1
                                        ;     Parent Loop BB21_15 Depth=2
                                        ; =>    This Inner Loop Header: Depth=3
	s_delay_alu instid0(VALU_DEP_1)
	v_lshl_add_u32 v14, v13, 2, 0
	s_mov_b32 s13, exec_lo
                                        ; implicit-def: $sgpr14
	ds_load_b32 v15, v14
	s_waitcnt lgkmcnt(0)
	v_cmpx_ne_u32_e64 v15, v3
	s_xor_b32 s13, exec_lo, s13
	s_cbranch_execz .LBB21_25
; %bb.18:                               ;   in Loop: Header=BB21_17 Depth=3
	s_mov_b32 s15, exec_lo
                                        ; implicit-def: $sgpr14
	v_cmpx_ne_u32_e64 s33, v15
	s_xor_b32 s15, exec_lo, s15
; %bb.19:                               ;   in Loop: Header=BB21_17 Depth=3
	v_add_nc_u32_e32 v13, 1, v13
	s_mov_b32 s14, -1
                                        ; implicit-def: $vgpr14
	s_delay_alu instid0(VALU_DEP_1)
	v_and_b32_e32 v13, 0x7fff, v13
; %bb.20:                               ;   in Loop: Header=BB21_17 Depth=3
	s_and_not1_saveexec_b32 s15, s15
	s_cbranch_execz .LBB21_24
; %bb.21:                               ;   in Loop: Header=BB21_17 Depth=3
	v_mov_b32_e32 v15, s33
	s_mov_b32 s35, -1
	s_mov_b32 s40, exec_lo
	ds_cmpstore_rtn_b32 v14, v14, v3, v15
	s_waitcnt lgkmcnt(0)
	v_cmpx_eq_u32_e64 s33, v14
	s_cbranch_execz .LBB21_23
; %bb.22:                               ;   in Loop: Header=BB21_17 Depth=3
	v_lshlrev_b32_e32 v14, 2, v13
	s_xor_b32 s35, exec_lo, -1
	s_delay_alu instid0(VALU_DEP_1)
	v_add3_u32 v14, 0, v14, 0x20000
	ds_add_f32 v14, v12
.LBB21_23:                              ;   in Loop: Header=BB21_17 Depth=3
	s_or_b32 exec_lo, exec_lo, s40
	s_delay_alu instid0(SALU_CYCLE_1) | instskip(SKIP_1) | instid1(SALU_CYCLE_1)
	s_and_not1_b32 s14, s14, exec_lo
	s_and_b32 s35, s35, exec_lo
	s_or_b32 s14, s14, s35
.LBB21_24:                              ;   in Loop: Header=BB21_17 Depth=3
	s_or_b32 exec_lo, exec_lo, s15
	s_delay_alu instid0(SALU_CYCLE_1)
	s_and_b32 s14, s14, exec_lo
.LBB21_25:                              ;   in Loop: Header=BB21_17 Depth=3
	s_and_not1_saveexec_b32 s13, s13
	s_cbranch_execz .LBB21_16
; %bb.26:                               ;   in Loop: Header=BB21_17 Depth=3
	v_lshlrev_b32_e32 v14, 2, v13
	s_and_not1_b32 s14, s14, exec_lo
	s_delay_alu instid0(VALU_DEP_1)
	v_add3_u32 v14, 0, v14, 0x20000
	ds_add_f32 v14, v12
	s_branch .LBB21_16
.LBB21_27:
	s_or_b32 exec_lo, exec_lo, s1
.LBB21_28:
	s_delay_alu instid0(SALU_CYCLE_1)
	s_and_not1_b32 vcc_lo, exec_lo, s12
	s_cbranch_vccnz .LBB21_45
; %bb.29:
	s_waitcnt lgkmcnt(0)
	s_ashr_i32 s35, s34, 31
	v_subrev_nc_u32_e32 v1, s27, v0
	s_lshl_b64 s[0:1], s[34:35], 2
	s_delay_alu instid0(SALU_CYCLE_1)
	s_add_u32 s0, s16, s0
	s_addc_u32 s1, s17, s1
	s_load_b64 s[0:1], s[0:1], 0x0
	s_waitcnt lgkmcnt(0)
	v_add_nc_u32_e32 v1, s0, v1
	s_sub_i32 s0, s1, s27
	s_mov_b32 s1, exec_lo
	s_delay_alu instid0(VALU_DEP_1)
	v_cmpx_gt_i32_e64 s0, v1
	s_cbranch_execz .LBB21_44
; %bb.30:
	s_mov_b32 s2, 0
	s_branch .LBB21_32
.LBB21_31:                              ;   in Loop: Header=BB21_32 Depth=1
	s_or_b32 exec_lo, exec_lo, s3
	v_add_nc_u32_e32 v1, 0x400, v1
	s_delay_alu instid0(VALU_DEP_1) | instskip(SKIP_1) | instid1(SALU_CYCLE_1)
	v_cmp_le_i32_e32 vcc_lo, s0, v1
	s_or_b32 s2, vcc_lo, s2
	s_and_not1_b32 exec_lo, exec_lo, s2
	s_cbranch_execz .LBB21_44
.LBB21_32:                              ; =>This Loop Header: Depth=1
                                        ;     Child Loop BB21_34 Depth 2
	v_ashrrev_i32_e32 v2, 31, v1
	s_mov_b32 s3, 0
	s_delay_alu instid0(VALU_DEP_1) | instskip(NEXT) | instid1(VALU_DEP_1)
	v_lshlrev_b64 v[2:3], 2, v[1:2]
	v_add_co_u32 v9, vcc_lo, s18, v2
	s_delay_alu instid0(VALU_DEP_2)
	v_add_co_ci_u32_e32 v10, vcc_lo, s19, v3, vcc_lo
	v_add_co_u32 v2, vcc_lo, s20, v2
	v_add_co_ci_u32_e32 v3, vcc_lo, s21, v3, vcc_lo
	global_load_b32 v4, v[9:10], off
	global_load_b32 v3, v[2:3], off
	s_waitcnt vmcnt(1)
	v_subrev_nc_u32_e32 v2, s27, v4
	s_delay_alu instid0(VALU_DEP_1) | instskip(SKIP_1) | instid1(VALU_DEP_1)
	v_mul_lo_u32 v4, 0x89, v2
	s_waitcnt vmcnt(0)
	v_dual_mul_f32 v3, v7, v3 :: v_dual_and_b32 v4, 0x7fff, v4
	s_branch .LBB21_34
.LBB21_33:                              ;   in Loop: Header=BB21_34 Depth=2
	s_or_b32 exec_lo, exec_lo, s4
	s_xor_b32 s4, s5, -1
	s_delay_alu instid0(SALU_CYCLE_1) | instskip(NEXT) | instid1(SALU_CYCLE_1)
	s_and_b32 s4, exec_lo, s4
	s_or_b32 s3, s4, s3
	s_delay_alu instid0(SALU_CYCLE_1)
	s_and_not1_b32 exec_lo, exec_lo, s3
	s_cbranch_execz .LBB21_31
.LBB21_34:                              ;   Parent Loop BB21_32 Depth=1
                                        ; =>  This Inner Loop Header: Depth=2
	s_delay_alu instid0(VALU_DEP_1)
	v_lshl_add_u32 v9, v4, 2, 0
	s_mov_b32 s4, exec_lo
                                        ; implicit-def: $sgpr5
	ds_load_b32 v10, v9
	s_waitcnt lgkmcnt(0)
	v_cmpx_ne_u32_e64 v10, v2
	s_xor_b32 s4, exec_lo, s4
	s_cbranch_execz .LBB21_42
; %bb.35:                               ;   in Loop: Header=BB21_34 Depth=2
	s_mov_b32 s6, exec_lo
                                        ; implicit-def: $sgpr5
	v_cmpx_ne_u32_e64 s33, v10
	s_xor_b32 s6, exec_lo, s6
; %bb.36:                               ;   in Loop: Header=BB21_34 Depth=2
	v_add_nc_u32_e32 v4, 1, v4
	s_mov_b32 s5, -1
                                        ; implicit-def: $vgpr9
	s_delay_alu instid0(VALU_DEP_1)
	v_and_b32_e32 v4, 0x7fff, v4
; %bb.37:                               ;   in Loop: Header=BB21_34 Depth=2
	s_and_not1_saveexec_b32 s6, s6
	s_cbranch_execz .LBB21_41
; %bb.38:                               ;   in Loop: Header=BB21_34 Depth=2
	v_mov_b32_e32 v10, s33
	s_mov_b32 s7, -1
	s_mov_b32 s8, exec_lo
	ds_cmpstore_rtn_b32 v9, v9, v2, v10
	s_waitcnt lgkmcnt(0)
	v_cmpx_eq_u32_e64 s33, v9
	s_cbranch_execz .LBB21_40
; %bb.39:                               ;   in Loop: Header=BB21_34 Depth=2
	v_lshlrev_b32_e32 v9, 2, v4
	s_xor_b32 s7, exec_lo, -1
	s_delay_alu instid0(VALU_DEP_1)
	v_add3_u32 v9, 0, v9, 0x20000
	ds_add_f32 v9, v3
.LBB21_40:                              ;   in Loop: Header=BB21_34 Depth=2
	s_or_b32 exec_lo, exec_lo, s8
	s_delay_alu instid0(SALU_CYCLE_1) | instskip(SKIP_1) | instid1(SALU_CYCLE_1)
	s_and_not1_b32 s5, s5, exec_lo
	s_and_b32 s7, s7, exec_lo
	s_or_b32 s5, s5, s7
.LBB21_41:                              ;   in Loop: Header=BB21_34 Depth=2
	s_or_b32 exec_lo, exec_lo, s6
	s_delay_alu instid0(SALU_CYCLE_1)
	s_and_b32 s5, s5, exec_lo
.LBB21_42:                              ;   in Loop: Header=BB21_34 Depth=2
	s_and_not1_saveexec_b32 s4, s4
	s_cbranch_execz .LBB21_33
; %bb.43:                               ;   in Loop: Header=BB21_34 Depth=2
	v_lshlrev_b32_e32 v9, 2, v4
	s_and_not1_b32 s5, s5, exec_lo
	s_delay_alu instid0(VALU_DEP_1)
	v_add3_u32 v9, 0, v9, 0x20000
	ds_add_f32 v9, v3
	s_branch .LBB21_33
.LBB21_44:
	s_or_b32 exec_lo, exec_lo, s1
.LBB21_45:
	v_mbcnt_lo_u32_b32 v1, -1, 0
	v_lshlrev_b32_e32 v2, 2, v8
	s_add_i32 s38, 0, 0x4003c
	v_cmp_eq_u32_e32 vcc_lo, 0x3ff, v0
	v_cmp_lt_u32_e64 s0, 63, v0
	v_xor_b32_e32 v1, 63, v1
	v_add3_u32 v3, 0, 0x40000, v2
	v_cmp_lt_u32_e64 s1, 0x7f, v0
	v_cmp_lt_u32_e64 s2, 0xbf, v0
	;; [unrolled: 1-line block ×3, first 2 shown]
	v_lshrrev_b64 v[1:2], v1, -1
	v_cmp_lt_u32_e64 s4, 0x13f, v0
	v_cmp_lt_u32_e64 s5, 0x17f, v0
	;; [unrolled: 1-line block ×11, first 2 shown]
	v_mov_b32_e32 v2, 0
	v_mov_b32_e32 v4, s38
	s_mov_b32 s16, 0
	s_add_i32 s17, 0, 0x40000
	s_add_i32 s18, 0, 0x40004
	;; [unrolled: 1-line block ×15, first 2 shown]
	s_waitcnt lgkmcnt(0)
	s_barrier
	buffer_gl0_inv
	s_branch .LBB21_47
.LBB21_46:                              ;   in Loop: Header=BB21_47 Depth=1
	s_or_b32 exec_lo, exec_lo, s15
	s_waitcnt lgkmcnt(0)
	s_barrier
	buffer_gl0_inv
	ds_load_b32 v7, v4
	v_add_nc_u32_e32 v6, 0x400, v6
	v_add_nc_u32_e32 v5, 0x1000, v5
	s_delay_alu instid0(VALU_DEP_2) | instskip(NEXT) | instid1(VALU_DEP_1)
	v_cmp_lt_u32_e64 s15, 0x7bff, v6
	s_or_b32 s16, s15, s16
	s_waitcnt lgkmcnt(0)
	v_add_nc_u32_e32 v2, v7, v2
	s_and_not1_b32 exec_lo, exec_lo, s16
	s_cbranch_execz .LBB21_81
.LBB21_47:                              ; =>This Inner Loop Header: Depth=1
	ds_load_b32 v7, v5
	v_add_nc_u32_e32 v8, 0x20000, v5
	ds_load_b32 v8, v8
	s_waitcnt lgkmcnt(0)
	s_barrier
	buffer_gl0_inv
	v_cmp_gt_i32_e64 s15, s33, v7
	s_delay_alu instid0(VALU_DEP_1) | instskip(NEXT) | instid1(SALU_CYCLE_1)
	s_bcnt1_i32_b32 s43, s15
	v_dual_mov_b32 v10, s43 :: v_dual_and_b32 v9, s15, v1
	s_delay_alu instid0(VALU_DEP_1)
	v_bcnt_u32_b32 v9, v9, 0
	ds_store_b32 v3, v10
	s_waitcnt lgkmcnt(0)
	s_barrier
	buffer_gl0_inv
	s_and_saveexec_b32 s43, s0
	s_cbranch_execnz .LBB21_64
; %bb.48:                               ;   in Loop: Header=BB21_47 Depth=1
	s_or_b32 exec_lo, exec_lo, s43
	s_and_saveexec_b32 s43, s1
	s_cbranch_execnz .LBB21_65
.LBB21_49:                              ;   in Loop: Header=BB21_47 Depth=1
	s_or_b32 exec_lo, exec_lo, s43
	s_and_saveexec_b32 s43, s2
	s_cbranch_execnz .LBB21_66
.LBB21_50:                              ;   in Loop: Header=BB21_47 Depth=1
	s_or_b32 exec_lo, exec_lo, s43
	s_and_saveexec_b32 s43, s3
	s_cbranch_execnz .LBB21_67
.LBB21_51:                              ;   in Loop: Header=BB21_47 Depth=1
	s_or_b32 exec_lo, exec_lo, s43
	s_and_saveexec_b32 s43, s4
	s_cbranch_execnz .LBB21_68
.LBB21_52:                              ;   in Loop: Header=BB21_47 Depth=1
	s_or_b32 exec_lo, exec_lo, s43
	s_and_saveexec_b32 s43, s5
	s_cbranch_execnz .LBB21_69
.LBB21_53:                              ;   in Loop: Header=BB21_47 Depth=1
	s_or_b32 exec_lo, exec_lo, s43
	s_and_saveexec_b32 s43, s6
	s_cbranch_execnz .LBB21_70
.LBB21_54:                              ;   in Loop: Header=BB21_47 Depth=1
	s_or_b32 exec_lo, exec_lo, s43
	s_and_saveexec_b32 s43, s7
	s_cbranch_execnz .LBB21_71
.LBB21_55:                              ;   in Loop: Header=BB21_47 Depth=1
	s_or_b32 exec_lo, exec_lo, s43
	s_and_saveexec_b32 s43, s8
	s_cbranch_execnz .LBB21_72
.LBB21_56:                              ;   in Loop: Header=BB21_47 Depth=1
	s_or_b32 exec_lo, exec_lo, s43
	s_and_saveexec_b32 s43, s9
	s_cbranch_execnz .LBB21_73
.LBB21_57:                              ;   in Loop: Header=BB21_47 Depth=1
	s_or_b32 exec_lo, exec_lo, s43
	s_and_saveexec_b32 s43, s10
	s_cbranch_execnz .LBB21_74
.LBB21_58:                              ;   in Loop: Header=BB21_47 Depth=1
	s_or_b32 exec_lo, exec_lo, s43
	s_and_saveexec_b32 s43, s11
	s_cbranch_execnz .LBB21_75
.LBB21_59:                              ;   in Loop: Header=BB21_47 Depth=1
	s_or_b32 exec_lo, exec_lo, s43
	s_and_saveexec_b32 s43, s12
	s_cbranch_execnz .LBB21_76
.LBB21_60:                              ;   in Loop: Header=BB21_47 Depth=1
	s_or_b32 exec_lo, exec_lo, s43
	s_and_saveexec_b32 s43, s13
	s_cbranch_execnz .LBB21_77
.LBB21_61:                              ;   in Loop: Header=BB21_47 Depth=1
	s_or_b32 exec_lo, exec_lo, s43
	s_and_saveexec_b32 s43, s14
	s_cbranch_execnz .LBB21_78
.LBB21_62:                              ;   in Loop: Header=BB21_47 Depth=1
	s_or_b32 exec_lo, exec_lo, s43
	s_and_saveexec_b32 s43, s15
	s_cbranch_execnz .LBB21_79
.LBB21_63:                              ;   in Loop: Header=BB21_47 Depth=1
	s_or_b32 exec_lo, exec_lo, s43
	s_and_saveexec_b32 s15, vcc_lo
	s_cbranch_execz .LBB21_46
	s_branch .LBB21_80
.LBB21_64:                              ;   in Loop: Header=BB21_47 Depth=1
	v_mov_b32_e32 v10, s17
	ds_load_b32 v10, v10
	s_waitcnt lgkmcnt(0)
	v_add_nc_u32_e32 v9, v10, v9
	s_or_b32 exec_lo, exec_lo, s43
	s_and_saveexec_b32 s43, s1
	s_cbranch_execz .LBB21_49
.LBB21_65:                              ;   in Loop: Header=BB21_47 Depth=1
	v_mov_b32_e32 v10, s18
	ds_load_b32 v10, v10
	s_waitcnt lgkmcnt(0)
	v_add_nc_u32_e32 v9, v10, v9
	s_or_b32 exec_lo, exec_lo, s43
	s_and_saveexec_b32 s43, s2
	s_cbranch_execz .LBB21_50
.LBB21_66:                              ;   in Loop: Header=BB21_47 Depth=1
	v_mov_b32_e32 v10, s19
	ds_load_b32 v10, v10
	s_waitcnt lgkmcnt(0)
	v_add_nc_u32_e32 v9, v10, v9
	s_or_b32 exec_lo, exec_lo, s43
	s_and_saveexec_b32 s43, s3
	s_cbranch_execz .LBB21_51
.LBB21_67:                              ;   in Loop: Header=BB21_47 Depth=1
	v_mov_b32_e32 v10, s20
	ds_load_b32 v10, v10
	s_waitcnt lgkmcnt(0)
	v_add_nc_u32_e32 v9, v10, v9
	s_or_b32 exec_lo, exec_lo, s43
	s_and_saveexec_b32 s43, s4
	s_cbranch_execz .LBB21_52
.LBB21_68:                              ;   in Loop: Header=BB21_47 Depth=1
	v_mov_b32_e32 v10, s21
	ds_load_b32 v10, v10
	s_waitcnt lgkmcnt(0)
	v_add_nc_u32_e32 v9, v10, v9
	s_or_b32 exec_lo, exec_lo, s43
	s_and_saveexec_b32 s43, s5
	s_cbranch_execz .LBB21_53
.LBB21_69:                              ;   in Loop: Header=BB21_47 Depth=1
	v_mov_b32_e32 v10, s24
	ds_load_b32 v10, v10
	s_waitcnt lgkmcnt(0)
	v_add_nc_u32_e32 v9, v10, v9
	s_or_b32 exec_lo, exec_lo, s43
	s_and_saveexec_b32 s43, s6
	s_cbranch_execz .LBB21_54
.LBB21_70:                              ;   in Loop: Header=BB21_47 Depth=1
	v_mov_b32_e32 v10, s25
	ds_load_b32 v10, v10
	s_waitcnt lgkmcnt(0)
	v_add_nc_u32_e32 v9, v10, v9
	s_or_b32 exec_lo, exec_lo, s43
	s_and_saveexec_b32 s43, s7
	s_cbranch_execz .LBB21_55
.LBB21_71:                              ;   in Loop: Header=BB21_47 Depth=1
	v_mov_b32_e32 v10, s27
	ds_load_b32 v10, v10
	s_waitcnt lgkmcnt(0)
	v_add_nc_u32_e32 v9, v10, v9
	s_or_b32 exec_lo, exec_lo, s43
	s_and_saveexec_b32 s43, s8
	s_cbranch_execz .LBB21_56
.LBB21_72:                              ;   in Loop: Header=BB21_47 Depth=1
	v_mov_b32_e32 v10, s35
	ds_load_b32 v10, v10
	s_waitcnt lgkmcnt(0)
	v_add_nc_u32_e32 v9, v10, v9
	s_or_b32 exec_lo, exec_lo, s43
	s_and_saveexec_b32 s43, s9
	s_cbranch_execz .LBB21_57
.LBB21_73:                              ;   in Loop: Header=BB21_47 Depth=1
	v_mov_b32_e32 v10, s36
	ds_load_b32 v10, v10
	s_waitcnt lgkmcnt(0)
	v_add_nc_u32_e32 v9, v10, v9
	s_or_b32 exec_lo, exec_lo, s43
	s_and_saveexec_b32 s43, s10
	s_cbranch_execz .LBB21_58
.LBB21_74:                              ;   in Loop: Header=BB21_47 Depth=1
	v_mov_b32_e32 v10, s37
	ds_load_b32 v10, v10
	s_waitcnt lgkmcnt(0)
	v_add_nc_u32_e32 v9, v10, v9
	s_or_b32 exec_lo, exec_lo, s43
	s_and_saveexec_b32 s43, s11
	s_cbranch_execz .LBB21_59
.LBB21_75:                              ;   in Loop: Header=BB21_47 Depth=1
	v_mov_b32_e32 v10, s39
	ds_load_b32 v10, v10
	s_waitcnt lgkmcnt(0)
	v_add_nc_u32_e32 v9, v10, v9
	s_or_b32 exec_lo, exec_lo, s43
	s_and_saveexec_b32 s43, s12
	s_cbranch_execz .LBB21_60
.LBB21_76:                              ;   in Loop: Header=BB21_47 Depth=1
	v_mov_b32_e32 v10, s40
	ds_load_b32 v10, v10
	s_waitcnt lgkmcnt(0)
	v_add_nc_u32_e32 v9, v10, v9
	s_or_b32 exec_lo, exec_lo, s43
	s_and_saveexec_b32 s43, s13
	s_cbranch_execz .LBB21_61
.LBB21_77:                              ;   in Loop: Header=BB21_47 Depth=1
	v_mov_b32_e32 v10, s41
	ds_load_b32 v10, v10
	s_waitcnt lgkmcnt(0)
	v_add_nc_u32_e32 v9, v10, v9
	s_or_b32 exec_lo, exec_lo, s43
	s_and_saveexec_b32 s43, s14
	s_cbranch_execz .LBB21_62
.LBB21_78:                              ;   in Loop: Header=BB21_47 Depth=1
	v_mov_b32_e32 v10, s42
	ds_load_b32 v10, v10
	s_waitcnt lgkmcnt(0)
	v_add_nc_u32_e32 v9, v10, v9
	s_or_b32 exec_lo, exec_lo, s43
	s_and_saveexec_b32 s43, s15
	s_cbranch_execz .LBB21_63
.LBB21_79:                              ;   in Loop: Header=BB21_47 Depth=1
	s_delay_alu instid0(VALU_DEP_1) | instskip(NEXT) | instid1(VALU_DEP_1)
	v_add3_u32 v10, v2, -1, v9
	v_lshl_add_u32 v10, v10, 2, 0
	s_delay_alu instid0(VALU_DEP_1)
	v_add_nc_u32_e32 v11, 0x20000, v10
	ds_store_b32 v10, v7
	ds_store_b32 v11, v8
	s_or_b32 exec_lo, exec_lo, s43
	s_and_saveexec_b32 s15, vcc_lo
	s_cbranch_execz .LBB21_46
.LBB21_80:                              ;   in Loop: Header=BB21_47 Depth=1
	v_mov_b32_e32 v7, s38
	ds_store_b32 v7, v9
	s_branch .LBB21_46
.LBB21_81:
	s_or_b32 exec_lo, exec_lo, s16
	s_ashr_i32 s35, s34, 31
	s_mov_b32 s3, exec_lo
	s_lshl_b64 s[0:1], s[34:35], 2
	s_delay_alu instid0(SALU_CYCLE_1) | instskip(SKIP_4) | instid1(SALU_CYCLE_1)
	s_add_u32 s0, s22, s0
	s_addc_u32 s1, s23, s1
	s_load_b64 s[0:1], s[0:1], 0x0
	s_waitcnt lgkmcnt(0)
	s_sub_i32 s2, s1, s0
	v_cmpx_gt_i32_e64 s2, v0
	s_cbranch_execz .LBB21_91
; %bb.82:
	s_sub_i32 s3, s0, s26
	s_sub_i32 s0, s0, s1
	s_and_b32 s1, s2, 7
	s_cmp_lt_u32 s0, -7
	s_mov_b32 s7, 0
	s_cselect_b32 s4, -1, 0
	s_and_b32 s5, s2, -8
	s_cmp_lg_u32 s1, 0
	s_cselect_b32 s6, -1, 0
	s_branch .LBB21_84
.LBB21_83:                              ;   in Loop: Header=BB21_84 Depth=1
	s_delay_alu instid0(VALU_DEP_1) | instskip(SKIP_3) | instid1(VALU_DEP_3)
	v_ashrrev_i32_e32 v2, 31, v1
	v_add_nc_u32_e32 v0, 0x400, v0
	s_waitcnt lgkmcnt(1)
	v_add_nc_u32_e32 v6, s26, v4
	v_lshlrev_b64 v[1:2], 2, v[1:2]
	s_delay_alu instid0(VALU_DEP_3) | instskip(SKIP_1) | instid1(VALU_DEP_2)
	v_cmp_le_i32_e32 vcc_lo, s2, v0
	s_or_b32 s7, vcc_lo, s7
	v_add_co_u32 v4, s0, s28, v1
	s_delay_alu instid0(VALU_DEP_1) | instskip(SKIP_1) | instid1(VALU_DEP_1)
	v_add_co_ci_u32_e64 v5, s0, s29, v2, s0
	v_add_co_u32 v1, s0, s30, v1
	v_add_co_ci_u32_e64 v2, s0, s31, v2, s0
	global_store_b32 v[4:5], v6, off
	s_waitcnt lgkmcnt(0)
	global_store_b32 v[1:2], v3, off
	s_and_not1_b32 exec_lo, exec_lo, s7
	s_cbranch_execz .LBB21_91
.LBB21_84:                              ; =>This Loop Header: Depth=1
                                        ;     Child Loop BB21_86 Depth 2
                                        ;     Child Loop BB21_90 Depth 2
	v_lshl_add_u32 v1, v0, 2, 0
	s_and_not1_b32 vcc_lo, exec_lo, s4
	s_mov_b32 s0, 0
	s_delay_alu instid0(VALU_DEP_1)
	v_add_nc_u32_e32 v2, 0x20000, v1
	ds_load_b32 v4, v1
	ds_load_b32 v3, v2
	v_mov_b32_e32 v1, s3
	s_cbranch_vccnz .LBB21_88
; %bb.85:                               ;   in Loop: Header=BB21_84 Depth=1
	v_mov_b32_e32 v1, s3
	s_mov_b32 s8, 0
	s_set_inst_prefetch_distance 0x1
	.p2align	6
.LBB21_86:                              ;   Parent Loop BB21_84 Depth=1
                                        ; =>  This Inner Loop Header: Depth=2
	v_mov_b32_e32 v2, s8
	s_add_i32 s0, s0, 8
	s_add_i32 s8, s8, 32
	s_cmp_eq_u32 s5, s0
	ds_load_2addr_b32 v[5:6], v2 offset1:1
	ds_load_2addr_b32 v[7:8], v2 offset0:2 offset1:3
	ds_load_2addr_b32 v[9:10], v2 offset0:4 offset1:5
	;; [unrolled: 1-line block ×3, first 2 shown]
	s_waitcnt lgkmcnt(3)
	v_cmp_gt_i32_e32 vcc_lo, v4, v5
	v_cndmask_b32_e64 v2, 0, 1, vcc_lo
	s_waitcnt lgkmcnt(2)
	v_cmp_gt_i32_e32 vcc_lo, v4, v7
	v_cndmask_b32_e64 v5, 0, 1, vcc_lo
	v_cmp_gt_i32_e32 vcc_lo, v4, v6
	v_add_co_ci_u32_e32 v1, vcc_lo, v1, v2, vcc_lo
	s_waitcnt lgkmcnt(1)
	v_cmp_gt_i32_e32 vcc_lo, v4, v9
	v_cndmask_b32_e64 v2, 0, 1, vcc_lo
	v_cmp_gt_i32_e32 vcc_lo, v4, v8
	v_add_co_ci_u32_e32 v1, vcc_lo, v1, v5, vcc_lo
	s_waitcnt lgkmcnt(0)
	v_cmp_gt_i32_e32 vcc_lo, v4, v11
	v_cndmask_b32_e64 v5, 0, 1, vcc_lo
	v_cmp_gt_i32_e32 vcc_lo, v4, v10
	v_add_co_ci_u32_e32 v1, vcc_lo, v1, v2, vcc_lo
	v_cmp_gt_i32_e32 vcc_lo, v4, v12
	s_delay_alu instid0(VALU_DEP_2)
	v_add_co_ci_u32_e32 v1, vcc_lo, v1, v5, vcc_lo
	s_cbranch_scc0 .LBB21_86
; %bb.87:                               ;   in Loop: Header=BB21_84 Depth=1
	s_set_inst_prefetch_distance 0x2
	s_mov_b32 s0, s5
.LBB21_88:                              ;   in Loop: Header=BB21_84 Depth=1
	s_and_not1_b32 vcc_lo, exec_lo, s6
	s_cbranch_vccnz .LBB21_83
; %bb.89:                               ;   in Loop: Header=BB21_84 Depth=1
	s_lshl_b32 s0, s0, 2
	s_mov_b32 s8, s1
	s_add_i32 s0, s0, 0
.LBB21_90:                              ;   Parent Loop BB21_84 Depth=1
                                        ; =>  This Inner Loop Header: Depth=2
	s_delay_alu instid0(SALU_CYCLE_1)
	v_mov_b32_e32 v2, s0
	s_add_i32 s8, s8, -1
	s_add_i32 s0, s0, 4
	s_cmp_lg_u32 s8, 0
	ds_load_b32 v2, v2
	s_waitcnt lgkmcnt(0)
	v_cmp_gt_i32_e32 vcc_lo, v4, v2
	v_add_co_ci_u32_e32 v1, vcc_lo, 0, v1, vcc_lo
	s_cbranch_scc1 .LBB21_90
	s_branch .LBB21_83
.LBB21_91:
	s_nop 0
	s_sendmsg sendmsg(MSG_DEALLOC_VGPRS)
	s_endpgm
	.section	.rodata,"a",@progbits
	.p2align	6, 0x0
	.amdhsa_kernel _ZN9rocsparseL26csrgemm_fill_block_per_rowILj1024ELj64ELj32768ELj137ELj64EiifEEvT5_PKS1_S3_NS_24const_host_device_scalarIT6_EEPKT4_S3_PKS5_S9_S3_SB_S6_S9_S3_SB_S9_PS1_PS5_21rocsparse_index_base_SE_SE_SE_bbb
		.amdhsa_group_segment_fixed_size 0
		.amdhsa_private_segment_fixed_size 0
		.amdhsa_kernarg_size 156
		.amdhsa_user_sgpr_count 15
		.amdhsa_user_sgpr_dispatch_ptr 0
		.amdhsa_user_sgpr_queue_ptr 0
		.amdhsa_user_sgpr_kernarg_segment_ptr 1
		.amdhsa_user_sgpr_dispatch_id 0
		.amdhsa_user_sgpr_private_segment_size 0
		.amdhsa_wavefront_size32 1
		.amdhsa_uses_dynamic_stack 0
		.amdhsa_enable_private_segment 0
		.amdhsa_system_sgpr_workgroup_id_x 1
		.amdhsa_system_sgpr_workgroup_id_y 0
		.amdhsa_system_sgpr_workgroup_id_z 0
		.amdhsa_system_sgpr_workgroup_info 0
		.amdhsa_system_vgpr_workitem_id 0
		.amdhsa_next_free_vgpr 16
		.amdhsa_next_free_sgpr 44
		.amdhsa_reserve_vcc 1
		.amdhsa_float_round_mode_32 0
		.amdhsa_float_round_mode_16_64 0
		.amdhsa_float_denorm_mode_32 3
		.amdhsa_float_denorm_mode_16_64 3
		.amdhsa_dx10_clamp 1
		.amdhsa_ieee_mode 1
		.amdhsa_fp16_overflow 0
		.amdhsa_workgroup_processor_mode 1
		.amdhsa_memory_ordered 1
		.amdhsa_forward_progress 0
		.amdhsa_shared_vgpr_count 0
		.amdhsa_exception_fp_ieee_invalid_op 0
		.amdhsa_exception_fp_denorm_src 0
		.amdhsa_exception_fp_ieee_div_zero 0
		.amdhsa_exception_fp_ieee_overflow 0
		.amdhsa_exception_fp_ieee_underflow 0
		.amdhsa_exception_fp_ieee_inexact 0
		.amdhsa_exception_int_div_zero 0
	.end_amdhsa_kernel
	.section	.text._ZN9rocsparseL26csrgemm_fill_block_per_rowILj1024ELj64ELj32768ELj137ELj64EiifEEvT5_PKS1_S3_NS_24const_host_device_scalarIT6_EEPKT4_S3_PKS5_S9_S3_SB_S6_S9_S3_SB_S9_PS1_PS5_21rocsparse_index_base_SE_SE_SE_bbb,"axG",@progbits,_ZN9rocsparseL26csrgemm_fill_block_per_rowILj1024ELj64ELj32768ELj137ELj64EiifEEvT5_PKS1_S3_NS_24const_host_device_scalarIT6_EEPKT4_S3_PKS5_S9_S3_SB_S6_S9_S3_SB_S9_PS1_PS5_21rocsparse_index_base_SE_SE_SE_bbb,comdat
.Lfunc_end21:
	.size	_ZN9rocsparseL26csrgemm_fill_block_per_rowILj1024ELj64ELj32768ELj137ELj64EiifEEvT5_PKS1_S3_NS_24const_host_device_scalarIT6_EEPKT4_S3_PKS5_S9_S3_SB_S6_S9_S3_SB_S9_PS1_PS5_21rocsparse_index_base_SE_SE_SE_bbb, .Lfunc_end21-_ZN9rocsparseL26csrgemm_fill_block_per_rowILj1024ELj64ELj32768ELj137ELj64EiifEEvT5_PKS1_S3_NS_24const_host_device_scalarIT6_EEPKT4_S3_PKS5_S9_S3_SB_S6_S9_S3_SB_S9_PS1_PS5_21rocsparse_index_base_SE_SE_SE_bbb
                                        ; -- End function
	.section	.AMDGPU.csdata,"",@progbits
; Kernel info:
; codeLenInByte = 3400
; NumSgprs: 46
; NumVgprs: 16
; ScratchSize: 0
; MemoryBound: 0
; FloatMode: 240
; IeeeMode: 1
; LDSByteSize: 0 bytes/workgroup (compile time only)
; SGPRBlocks: 5
; VGPRBlocks: 1
; NumSGPRsForWavesPerEU: 46
; NumVGPRsForWavesPerEU: 16
; Occupancy: 16
; WaveLimiterHint : 1
; COMPUTE_PGM_RSRC2:SCRATCH_EN: 0
; COMPUTE_PGM_RSRC2:USER_SGPR: 15
; COMPUTE_PGM_RSRC2:TRAP_HANDLER: 0
; COMPUTE_PGM_RSRC2:TGID_X_EN: 1
; COMPUTE_PGM_RSRC2:TGID_Y_EN: 0
; COMPUTE_PGM_RSRC2:TGID_Z_EN: 0
; COMPUTE_PGM_RSRC2:TIDIG_COMP_CNT: 0
	.section	.text._ZN9rocsparseL36csrgemm_fill_block_per_row_multipassILj512ELj16ELj2048ELj32EiifEEvT4_PKS1_S3_NS_24const_host_device_scalarIT5_EEPKT3_S3_PKS5_S9_S3_SB_S6_S9_S3_SB_S9_PS1_PS5_PS7_21rocsparse_index_base_SF_SF_SF_bbb,"axG",@progbits,_ZN9rocsparseL36csrgemm_fill_block_per_row_multipassILj512ELj16ELj2048ELj32EiifEEvT4_PKS1_S3_NS_24const_host_device_scalarIT5_EEPKT3_S3_PKS5_S9_S3_SB_S6_S9_S3_SB_S9_PS1_PS5_PS7_21rocsparse_index_base_SF_SF_SF_bbb,comdat
	.globl	_ZN9rocsparseL36csrgemm_fill_block_per_row_multipassILj512ELj16ELj2048ELj32EiifEEvT4_PKS1_S3_NS_24const_host_device_scalarIT5_EEPKT3_S3_PKS5_S9_S3_SB_S6_S9_S3_SB_S9_PS1_PS5_PS7_21rocsparse_index_base_SF_SF_SF_bbb ; -- Begin function _ZN9rocsparseL36csrgemm_fill_block_per_row_multipassILj512ELj16ELj2048ELj32EiifEEvT4_PKS1_S3_NS_24const_host_device_scalarIT5_EEPKT3_S3_PKS5_S9_S3_SB_S6_S9_S3_SB_S9_PS1_PS5_PS7_21rocsparse_index_base_SF_SF_SF_bbb
	.p2align	8
	.type	_ZN9rocsparseL36csrgemm_fill_block_per_row_multipassILj512ELj16ELj2048ELj32EiifEEvT4_PKS1_S3_NS_24const_host_device_scalarIT5_EEPKT3_S3_PKS5_S9_S3_SB_S6_S9_S3_SB_S9_PS1_PS5_PS7_21rocsparse_index_base_SF_SF_SF_bbb,@function
_ZN9rocsparseL36csrgemm_fill_block_per_row_multipassILj512ELj16ELj2048ELj32EiifEEvT4_PKS1_S3_NS_24const_host_device_scalarIT5_EEPKT3_S3_PKS5_S9_S3_SB_S6_S9_S3_SB_S9_PS1_PS5_PS7_21rocsparse_index_base_SF_SF_SF_bbb: ; @_ZN9rocsparseL36csrgemm_fill_block_per_row_multipassILj512ELj16ELj2048ELj32EiifEEvT4_PKS1_S3_NS_24const_host_device_scalarIT5_EEPKT3_S3_PKS5_S9_S3_SB_S6_S9_S3_SB_S9_PS1_PS5_PS7_21rocsparse_index_base_SF_SF_SF_bbb
; %bb.0:
	s_clause 0x4
	s_load_b32 s10, s[0:1], 0xa0
	s_load_b128 s[4:7], s[0:1], 0x8
	s_load_b64 s[2:3], s[0:1], 0x18
	s_load_b128 s[28:31], s[0:1], 0x90
	s_load_b64 s[8:9], s[0:1], 0x50
	s_waitcnt lgkmcnt(0)
	s_bitcmp1_b32 s10, 0
	s_cselect_b32 s18, -1, 0
	s_bitcmp1_b32 s10, 16
	s_cselect_b32 s11, -1, 0
	s_xor_b32 s12, s18, -1
	s_delay_alu instid0(SALU_CYCLE_1) | instskip(NEXT) | instid1(SALU_CYCLE_1)
	s_or_b32 s12, s12, s11
	s_and_b32 vcc_lo, exec_lo, s12
	s_cbranch_vccnz .LBB22_2
; %bb.1:
	s_load_b32 s2, s[2:3], 0x0
	s_waitcnt lgkmcnt(0)
	v_mov_b32_e32 v8, s2
	s_branch .LBB22_3
.LBB22_2:
	v_cndmask_b32_e64 v8, 0, s2, s18
.LBB22_3:
	s_load_b64 s[2:3], s[0:1], 0x20
	s_bitcmp1_b32 s10, 8
	s_cselect_b32 s33, -1, 0
	s_delay_alu instid0(SALU_CYCLE_1) | instskip(NEXT) | instid1(SALU_CYCLE_1)
	s_xor_b32 s10, s33, -1
	s_or_b32 s10, s10, s11
	s_delay_alu instid0(SALU_CYCLE_1)
	s_and_b32 vcc_lo, exec_lo, s10
	s_cbranch_vccnz .LBB22_5
; %bb.4:
	s_load_b32 s8, s[8:9], 0x0
	s_waitcnt lgkmcnt(0)
	v_mov_b32_e32 v9, s8
	s_branch .LBB22_6
.LBB22_5:
	v_cndmask_b32_e64 v9, 0, s8, s33
.LBB22_6:
	s_load_b32 s4, s[4:5], 0x0
	s_mov_b32 s35, 0
	s_mov_b32 s8, 0
	s_waitcnt lgkmcnt(0)
	s_add_i32 s34, s4, s15
	s_delay_alu instid0(SALU_CYCLE_1) | instskip(NEXT) | instid1(SALU_CYCLE_1)
	s_lshl_b64 s[4:5], s[34:35], 2
	s_add_u32 s4, s6, s4
	s_addc_u32 s5, s7, s5
	s_and_not1_b32 vcc_lo, exec_lo, s18
	s_load_b32 s6, s[4:5], 0x0
	s_cbranch_vccz .LBB22_9
; %bb.7:
	s_and_not1_b32 vcc_lo, exec_lo, s18
	s_cbranch_vccz .LBB22_10
.LBB22_8:
	s_load_b32 s34, s[0:1], 0x0
	s_waitcnt lgkmcnt(0)
	s_cmp_lt_i32 s34, 1
	s_cbranch_scc0 .LBB22_11
	s_branch .LBB22_64
.LBB22_9:
	s_waitcnt lgkmcnt(0)
	s_ashr_i32 s7, s6, 31
	s_delay_alu instid0(SALU_CYCLE_1) | instskip(NEXT) | instid1(SALU_CYCLE_1)
	s_lshl_b64 s[4:5], s[6:7], 2
	s_add_u32 s4, s2, s4
	s_addc_u32 s5, s3, s5
	s_load_b32 s4, s[4:5], 0x0
	s_waitcnt lgkmcnt(0)
	s_sub_i32 s8, s4, s28
	s_and_not1_b32 vcc_lo, exec_lo, s18
	s_cbranch_vccnz .LBB22_8
.LBB22_10:
	s_waitcnt lgkmcnt(0)
	s_ashr_i32 s7, s6, 31
	s_delay_alu instid0(SALU_CYCLE_1) | instskip(NEXT) | instid1(SALU_CYCLE_1)
	s_lshl_b64 s[4:5], s[6:7], 2
	s_add_u32 s2, s2, s4
	s_addc_u32 s3, s3, s5
	s_load_b32 s2, s[2:3], 0x4
	s_waitcnt lgkmcnt(0)
	s_sub_i32 s35, s2, s28
	s_load_b32 s34, s[0:1], 0x0
	s_waitcnt lgkmcnt(0)
	s_cmp_lt_i32 s34, 1
	s_cbranch_scc1 .LBB22_64
.LBB22_11:
	s_clause 0x4
	s_load_b256 s[20:27], s[0:1], 0x58
	s_load_b64 s[48:49], s[0:1], 0x88
	s_load_b128 s[44:47], s[0:1], 0x78
	s_load_b64 s[50:51], s[0:1], 0x48
	s_load_b256 s[36:43], s[0:1], 0x28
	v_lshrrev_b32_e32 v1, 4, v0
	v_mbcnt_lo_u32_b32 v2, -1, 0
	s_ashr_i32 s7, s6, 31
	v_lshrrev_b32_e32 v3, 3, v0
	s_lshl_b64 s[10:11], s[6:7], 2
	v_add_nc_u32_e32 v12, s8, v1
	v_xor_b32_e32 v1, 8, v2
	v_xor_b32_e32 v4, 4, v2
	;; [unrolled: 1-line block ×3, first 2 shown]
	v_dual_mov_b32 v20, 0 :: v_dual_and_b32 v13, 60, v3
	s_delay_alu instid0(VALU_DEP_4)
	v_cmp_gt_i32_e64 s7, 32, v1
	v_xor_b32_e32 v6, 1, v2
	v_xor_b32_e32 v7, 63, v2
	v_dual_mov_b32 v25, 0x800 :: v_dual_and_b32 v10, 15, v0
	s_waitcnt lgkmcnt(0)
	s_add_u32 s8, s26, s10
	s_addc_u32 s9, s27, s11
	v_cndmask_b32_e64 v3, v2, v1, s7
	s_load_b32 s8, s[8:9], 0x0
	v_cmp_gt_i32_e64 s7, 32, v4
	v_cmp_eq_u32_e64 s0, 0, v0
	v_subrev_nc_u32_e32 v11, s31, v0
	v_cmp_eq_u32_e64 s1, 0x1ff, v0
	v_cmp_gt_u32_e64 s2, 32, v0
	v_cndmask_b32_e64 v4, v2, v4, s7
	v_cmp_gt_i32_e64 s7, 32, v5
	v_cmp_gt_u32_e64 s3, 64, v0
	v_cmp_gt_u32_e64 s4, 0x60, v0
	;; [unrolled: 1-line block ×3, first 2 shown]
	v_cmp_eq_u32_e64 s6, 15, v10
	v_cndmask_b32_e64 v5, v2, v5, s7
	v_cmp_gt_i32_e64 s7, 32, v6
	v_dual_mov_b32 v23, 1 :: v_dual_lshlrev_b32 v14, 2, v3
	v_dual_mov_b32 v22, 0 :: v_dual_lshlrev_b32 v15, 2, v4
	s_delay_alu instid0(VALU_DEP_3)
	v_cndmask_b32_e64 v6, v2, v6, s7
	v_lshrrev_b64 v[1:2], v7, -1
	s_waitcnt lgkmcnt(0)
	s_sub_i32 s19, s8, s30
	s_add_u32 s26, s20, s10
	v_mov_b32_e32 v21, s19
	v_cmp_gt_i32_e32 vcc_lo, s35, v12
	v_lshlrev_b32_e32 v16, 2, v5
	v_dual_mov_b32 v24, 0 :: v_dual_lshlrev_b32 v17, 2, v6
	s_addc_u32 s27, s21, s11
	v_cmp_gt_u32_e64 s7, 0xa0, v0
	v_cmp_gt_u32_e64 s8, 0xc0, v0
	;; [unrolled: 1-line block ×11, first 2 shown]
	v_or_b32_e32 v18, 0xfffffe00, v0
	v_lshlrev_b32_e32 v19, 2, v0
	s_and_b32 s21, s18, vcc_lo
	s_add_u32 s52, s40, 4
	s_addc_u32 s53, s41, 0
	s_branch .LBB22_13
.LBB22_12:                              ;   in Loop: Header=BB22_13 Depth=1
	s_or_b32 exec_lo, exec_lo, s18
	ds_load_b32 v24, v22 offset:10240
	s_waitcnt lgkmcnt(0)
	s_barrier
	buffer_gl0_inv
	v_cmp_le_i32_e32 vcc_lo, s34, v24
	v_add_nc_u32_e32 v25, 0x800, v24
	s_cbranch_vccnz .LBB22_64
.LBB22_13:                              ; =>This Loop Header: Depth=1
                                        ;     Child Loop BB22_14 Depth 2
                                        ;     Child Loop BB22_20 Depth 2
                                        ;       Child Loop BB22_26 Depth 3
                                        ;     Child Loop BB22_43 Depth 2
                                        ;     Child Loop BB22_55 Depth 2
	;; [unrolled: 1-line block ×3, first 2 shown]
	v_dual_mov_b32 v2, v19 :: v_dual_mov_b32 v3, v18
	s_mov_b32 s18, 0
.LBB22_14:                              ;   Parent Loop BB22_13 Depth=1
                                        ; =>  This Inner Loop Header: Depth=2
	ds_store_b8 v3, v20 offset:8704
	v_add_nc_u32_e32 v3, 0x200, v3
	ds_store_b32 v2, v22
	v_add_nc_u32_e32 v2, 0x800, v2
	v_cmp_lt_u32_e32 vcc_lo, 0x5ff, v3
	s_or_b32 s18, vcc_lo, s18
	s_delay_alu instid0(SALU_CYCLE_1)
	s_and_not1_b32 exec_lo, exec_lo, s18
	s_cbranch_execnz .LBB22_14
; %bb.15:                               ;   in Loop: Header=BB22_13 Depth=1
	s_or_b32 exec_lo, exec_lo, s18
	s_and_saveexec_b32 s18, s0
	s_cbranch_execz .LBB22_17
; %bb.16:                               ;   in Loop: Header=BB22_13 Depth=1
	v_mov_b32_e32 v2, s34
	ds_store_b32 v22, v2 offset:10240
.LBB22_17:                              ;   in Loop: Header=BB22_13 Depth=1
	s_or_b32 exec_lo, exec_lo, s18
	v_mov_b32_e32 v26, s34
	s_waitcnt lgkmcnt(0)
	s_barrier
	buffer_gl0_inv
	s_and_saveexec_b32 s54, s21
	s_cbranch_execz .LBB22_39
; %bb.18:                               ;   in Loop: Header=BB22_13 Depth=1
	v_cmp_ne_u32_e64 s18, 0, v24
	v_mov_b32_e32 v26, s34
	v_mov_b32_e32 v2, v12
	s_mov_b32 s55, 0
	s_branch .LBB22_20
.LBB22_19:                              ;   in Loop: Header=BB22_20 Depth=2
	s_or_b32 exec_lo, exec_lo, s19
	v_add_nc_u32_e32 v2, 32, v2
	s_delay_alu instid0(VALU_DEP_1) | instskip(SKIP_1) | instid1(SALU_CYCLE_1)
	v_cmp_le_i32_e32 vcc_lo, s35, v2
	s_or_b32 s55, vcc_lo, s55
	s_and_not1_b32 exec_lo, exec_lo, s55
	s_cbranch_execz .LBB22_38
.LBB22_20:                              ;   Parent Loop BB22_13 Depth=1
                                        ; =>  This Loop Header: Depth=2
                                        ;       Child Loop BB22_26 Depth 3
	s_delay_alu instid0(VALU_DEP_1) | instskip(NEXT) | instid1(VALU_DEP_1)
	v_ashrrev_i32_e32 v3, 31, v2
	v_lshlrev_b64 v[3:4], 2, v[2:3]
	s_delay_alu instid0(VALU_DEP_1) | instskip(SKIP_1) | instid1(VALU_DEP_2)
	v_add_co_u32 v5, vcc_lo, s36, v3
	s_waitcnt lgkmcnt(0)
	v_add_co_ci_u32_e32 v6, vcc_lo, s37, v4, vcc_lo
	global_load_b32 v27, v[5:6], off
	v_add_co_u32 v5, vcc_lo, s38, v3
	v_add_co_ci_u32_e32 v6, vcc_lo, s39, v4, vcc_lo
	s_and_b32 vcc_lo, exec_lo, s18
	global_load_b32 v7, v[5:6], off
	s_waitcnt vmcnt(1)
	v_subrev_nc_u32_e32 v5, s28, v27
	s_delay_alu instid0(VALU_DEP_1)
	v_ashrrev_i32_e32 v6, 31, v5
	s_cbranch_vccz .LBB22_37
; %bb.21:                               ;   in Loop: Header=BB22_20 Depth=2
	v_add_co_u32 v27, vcc_lo, s48, v3
	v_add_co_ci_u32_e32 v28, vcc_lo, s49, v4, vcc_lo
	global_load_b32 v27, v[27:28], off
	s_cbranch_execnz .LBB22_23
.LBB22_22:                              ;   in Loop: Header=BB22_20 Depth=2
	s_waitcnt vmcnt(0)
	s_delay_alu instid0(VALU_DEP_1) | instskip(NEXT) | instid1(VALU_DEP_1)
	v_lshlrev_b64 v[27:28], 2, v[5:6]
	v_add_co_u32 v27, vcc_lo, s40, v27
	s_delay_alu instid0(VALU_DEP_2)
	v_add_co_ci_u32_e32 v28, vcc_lo, s41, v28, vcc_lo
	global_load_b32 v27, v[27:28], off
	s_waitcnt vmcnt(0)
	v_subrev_nc_u32_e32 v27, s29, v27
.LBB22_23:                              ;   in Loop: Header=BB22_20 Depth=2
	v_lshlrev_b64 v[5:6], 2, v[5:6]
	s_waitcnt vmcnt(0)
	s_delay_alu instid0(VALU_DEP_2) | instskip(SKIP_1) | instid1(VALU_DEP_2)
	v_add_nc_u32_e32 v27, v27, v10
	s_mov_b32 s56, exec_lo
	v_add_co_u32 v5, vcc_lo, s52, v5
	s_delay_alu instid0(VALU_DEP_3) | instskip(SKIP_3) | instid1(VALU_DEP_1)
	v_add_co_ci_u32_e32 v6, vcc_lo, s53, v6, vcc_lo
	global_load_b32 v5, v[5:6], off
	s_waitcnt vmcnt(0)
	v_subrev_nc_u32_e32 v28, s29, v5
	v_cmpx_lt_i32_e64 v27, v28
	s_cbranch_execz .LBB22_35
; %bb.24:                               ;   in Loop: Header=BB22_20 Depth=2
	v_mul_f32_e32 v29, v8, v7
	v_mov_b32_e32 v5, v27
	s_mov_b32 s58, 0
                                        ; implicit-def: $sgpr57
                                        ; implicit-def: $sgpr59
	s_branch .LBB22_26
.LBB22_25:                              ;   in Loop: Header=BB22_26 Depth=3
	s_or_b32 exec_lo, exec_lo, s20
	s_delay_alu instid0(SALU_CYCLE_1) | instskip(SKIP_4) | instid1(SALU_CYCLE_1)
	s_and_b32 s19, exec_lo, s60
	v_mov_b32_e32 v5, v7
	s_or_b32 s58, s19, s58
	s_and_not1_b32 s19, s57, exec_lo
	s_and_b32 s20, s59, exec_lo
	s_or_b32 s57, s19, s20
	s_and_not1_b32 exec_lo, exec_lo, s58
	s_cbranch_execz .LBB22_32
.LBB22_26:                              ;   Parent Loop BB22_13 Depth=1
                                        ;     Parent Loop BB22_20 Depth=2
                                        ; =>    This Inner Loop Header: Depth=3
	s_delay_alu instid0(VALU_DEP_1) | instskip(NEXT) | instid1(VALU_DEP_1)
	v_ashrrev_i32_e32 v6, 31, v5
	v_lshlrev_b64 v[6:7], 2, v[5:6]
	s_delay_alu instid0(VALU_DEP_1) | instskip(NEXT) | instid1(VALU_DEP_2)
	v_add_co_u32 v30, vcc_lo, s42, v6
	v_add_co_ci_u32_e32 v31, vcc_lo, s43, v7, vcc_lo
	global_load_b32 v30, v[30:31], off
	s_waitcnt vmcnt(0)
	v_subrev_nc_u32_e32 v30, s29, v30
	s_delay_alu instid0(VALU_DEP_1) | instskip(SKIP_2) | instid1(VALU_DEP_2)
	v_cmp_lt_i32_e64 s19, v30, v24
	v_cmp_ge_i32_e64 s20, v30, v25
	v_cmp_lt_i32_e32 vcc_lo, v30, v25
	s_or_b32 s60, s19, s20
	s_mov_b32 s19, 0
                                        ; implicit-def: $sgpr20
	s_and_saveexec_b32 s61, s60
	s_delay_alu instid0(SALU_CYCLE_1)
	s_xor_b32 s60, exec_lo, s61
; %bb.27:                               ;   in Loop: Header=BB22_26 Depth=3
	s_mov_b32 s20, -1
	s_and_b32 s19, vcc_lo, exec_lo
                                        ; implicit-def: $vgpr6_vgpr7
; %bb.28:                               ;   in Loop: Header=BB22_26 Depth=3
	s_and_not1_saveexec_b32 s60, s60
	s_cbranch_execz .LBB22_30
; %bb.29:                               ;   in Loop: Header=BB22_26 Depth=3
	v_add_co_u32 v6, vcc_lo, s50, v6
	v_add_co_ci_u32_e32 v7, vcc_lo, s51, v7, vcc_lo
	s_or_b32 s19, s19, exec_lo
	global_load_b32 v6, v[6:7], off
	v_sub_nc_u32_e32 v7, v30, v24
	s_delay_alu instid0(VALU_DEP_1)
	v_lshlrev_b32_e32 v31, 2, v7
	ds_store_b8 v7, v23 offset:8192
	s_waitcnt vmcnt(0)
	v_mul_f32_e32 v6, v29, v6
	ds_add_f32 v31, v6
.LBB22_30:                              ;   in Loop: Header=BB22_26 Depth=3
	s_or_b32 exec_lo, exec_lo, s60
	v_mov_b32_e32 v6, v5
	s_and_not1_b32 s59, s59, exec_lo
	s_and_b32 s20, s20, exec_lo
	s_mov_b32 s60, -1
	s_or_b32 s59, s59, s20
                                        ; implicit-def: $vgpr7
	s_and_saveexec_b32 s20, s19
	s_cbranch_execz .LBB22_25
; %bb.31:                               ;   in Loop: Header=BB22_26 Depth=3
	v_dual_mov_b32 v6, v5 :: v_dual_add_nc_u32 v7, 16, v5
	s_and_not1_b32 s59, s59, exec_lo
	s_delay_alu instid0(VALU_DEP_1)
	v_cmp_ge_i32_e32 vcc_lo, v7, v28
	s_or_not1_b32 s60, vcc_lo, exec_lo
	s_branch .LBB22_25
.LBB22_32:                              ;   in Loop: Header=BB22_20 Depth=2
	s_or_b32 exec_lo, exec_lo, s58
	s_and_saveexec_b32 s19, s57
	s_delay_alu instid0(SALU_CYCLE_1)
	s_xor_b32 s19, exec_lo, s19
; %bb.33:                               ;   in Loop: Header=BB22_20 Depth=2
	v_min_i32_e32 v26, v30, v26
	v_mov_b32_e32 v27, v6
; %bb.34:                               ;   in Loop: Header=BB22_20 Depth=2
	s_or_b32 exec_lo, exec_lo, s19
.LBB22_35:                              ;   in Loop: Header=BB22_20 Depth=2
	s_delay_alu instid0(SALU_CYCLE_1)
	s_or_b32 exec_lo, exec_lo, s56
	ds_bpermute_b32 v5, v14, v27
	s_waitcnt lgkmcnt(0)
	v_min_i32_e32 v5, v5, v27
	ds_bpermute_b32 v6, v15, v5
	s_waitcnt lgkmcnt(0)
	v_min_i32_e32 v5, v6, v5
	;; [unrolled: 3-line block ×3, first 2 shown]
	ds_bpermute_b32 v6, v17, v5
	s_and_saveexec_b32 s19, s6
	s_cbranch_execz .LBB22_19
; %bb.36:                               ;   in Loop: Header=BB22_20 Depth=2
	v_add_co_u32 v3, vcc_lo, s48, v3
	s_waitcnt lgkmcnt(0)
	v_min_i32_e32 v5, v6, v5
	v_add_co_ci_u32_e32 v4, vcc_lo, s49, v4, vcc_lo
	global_store_b32 v[3:4], v5, off
	s_branch .LBB22_19
.LBB22_37:                              ;   in Loop: Header=BB22_20 Depth=2
                                        ; implicit-def: $vgpr27
	s_branch .LBB22_22
.LBB22_38:                              ;   in Loop: Header=BB22_13 Depth=1
	s_or_b32 exec_lo, exec_lo, s55
.LBB22_39:                              ;   in Loop: Header=BB22_13 Depth=1
	s_delay_alu instid0(SALU_CYCLE_1) | instskip(NEXT) | instid1(SALU_CYCLE_1)
	s_or_b32 exec_lo, exec_lo, s54
	s_and_not1_b32 vcc_lo, exec_lo, s33
	s_cbranch_vccnz .LBB22_53
; %bb.40:                               ;   in Loop: Header=BB22_13 Depth=1
	s_load_b64 s[18:19], s[26:27], 0x0
	s_mov_b32 s20, exec_lo
	s_waitcnt lgkmcnt(0)
	v_add_nc_u32_e32 v2, s18, v11
	s_sub_i32 s54, s19, s31
	s_delay_alu instid0(VALU_DEP_1) | instid1(SALU_CYCLE_1)
	v_cmpx_gt_i32_e64 s54, v2
	s_cbranch_execz .LBB22_52
; %bb.41:                               ;   in Loop: Header=BB22_13 Depth=1
	s_mov_b32 s55, 0
                                        ; implicit-def: $sgpr56
                                        ; implicit-def: $sgpr57
	s_branch .LBB22_43
.LBB22_42:                              ;   in Loop: Header=BB22_43 Depth=2
	s_or_b32 exec_lo, exec_lo, s58
	s_delay_alu instid0(SALU_CYCLE_1) | instskip(NEXT) | instid1(SALU_CYCLE_1)
	s_and_b32 s18, exec_lo, s19
	s_or_b32 s55, s18, s55
	s_and_not1_b32 s18, s56, exec_lo
	s_and_b32 s19, s57, exec_lo
	s_delay_alu instid0(SALU_CYCLE_1)
	s_or_b32 s56, s18, s19
	s_and_not1_b32 exec_lo, exec_lo, s55
	s_cbranch_execz .LBB22_49
.LBB22_43:                              ;   Parent Loop BB22_13 Depth=1
                                        ; =>  This Inner Loop Header: Depth=2
	v_ashrrev_i32_e32 v3, 31, v2
	s_delay_alu instid0(VALU_DEP_1) | instskip(NEXT) | instid1(VALU_DEP_1)
	v_lshlrev_b64 v[3:4], 2, v[2:3]
	v_add_co_u32 v5, vcc_lo, s22, v3
	s_delay_alu instid0(VALU_DEP_2) | instskip(SKIP_3) | instid1(VALU_DEP_1)
	v_add_co_ci_u32_e32 v6, vcc_lo, s23, v4, vcc_lo
	global_load_b32 v5, v[5:6], off
	s_waitcnt vmcnt(0)
	v_subrev_nc_u32_e32 v5, s31, v5
	v_cmp_lt_i32_e64 s18, v5, v24
	v_cmp_ge_i32_e64 s19, v5, v25
	v_cmp_lt_i32_e32 vcc_lo, v5, v25
	s_delay_alu instid0(VALU_DEP_2) | instskip(SKIP_2) | instid1(SALU_CYCLE_1)
	s_or_b32 s58, s18, s19
	s_mov_b32 s18, 0
                                        ; implicit-def: $sgpr19
	s_and_saveexec_b32 s59, s58
	s_xor_b32 s58, exec_lo, s59
; %bb.44:                               ;   in Loop: Header=BB22_43 Depth=2
	s_mov_b32 s19, -1
	s_and_b32 s18, vcc_lo, exec_lo
                                        ; implicit-def: $vgpr3_vgpr4
; %bb.45:                               ;   in Loop: Header=BB22_43 Depth=2
	s_and_not1_saveexec_b32 s58, s58
	s_cbranch_execz .LBB22_47
; %bb.46:                               ;   in Loop: Header=BB22_43 Depth=2
	v_add_co_u32 v3, vcc_lo, s24, v3
	v_add_co_ci_u32_e32 v4, vcc_lo, s25, v4, vcc_lo
	s_or_b32 s18, s18, exec_lo
	global_load_b32 v3, v[3:4], off
	v_sub_nc_u32_e32 v4, v5, v24
	s_delay_alu instid0(VALU_DEP_1)
	v_lshlrev_b32_e32 v6, 2, v4
	ds_store_b8 v4, v23 offset:8192
	s_waitcnt vmcnt(0)
	v_mul_f32_e32 v3, v9, v3
	ds_add_f32 v6, v3
.LBB22_47:                              ;   in Loop: Header=BB22_43 Depth=2
	s_or_b32 exec_lo, exec_lo, s58
	s_delay_alu instid0(SALU_CYCLE_1)
	s_and_not1_b32 s57, s57, exec_lo
	s_and_b32 s58, s19, exec_lo
	s_mov_b32 s19, -1
	s_or_b32 s57, s57, s58
	s_and_saveexec_b32 s58, s18
	s_cbranch_execz .LBB22_42
; %bb.48:                               ;   in Loop: Header=BB22_43 Depth=2
	v_add_nc_u32_e32 v2, 0x200, v2
	s_and_not1_b32 s57, s57, exec_lo
	s_delay_alu instid0(VALU_DEP_1)
	v_cmp_le_i32_e32 vcc_lo, s54, v2
	s_or_not1_b32 s19, vcc_lo, exec_lo
	s_branch .LBB22_42
.LBB22_49:                              ;   in Loop: Header=BB22_13 Depth=1
	s_or_b32 exec_lo, exec_lo, s55
	s_and_saveexec_b32 s18, s56
	s_delay_alu instid0(SALU_CYCLE_1)
	s_xor_b32 s18, exec_lo, s18
; %bb.50:                               ;   in Loop: Header=BB22_13 Depth=1
	v_min_i32_e32 v26, v5, v26
; %bb.51:                               ;   in Loop: Header=BB22_13 Depth=1
	s_or_b32 exec_lo, exec_lo, s18
.LBB22_52:                              ;   in Loop: Header=BB22_13 Depth=1
	s_delay_alu instid0(SALU_CYCLE_1)
	s_or_b32 exec_lo, exec_lo, s20
.LBB22_53:                              ;   in Loop: Header=BB22_13 Depth=1
	ds_bpermute_b32 v2, v14, v26
	s_waitcnt lgkmcnt(0)
	v_min_i32_e32 v2, v2, v26
	ds_bpermute_b32 v3, v15, v2
	s_waitcnt lgkmcnt(0)
	v_min_i32_e32 v2, v3, v2
	;; [unrolled: 3-line block ×3, first 2 shown]
	ds_bpermute_b32 v3, v17, v2
	s_and_saveexec_b32 s18, s6
	s_cbranch_execz .LBB22_58
; %bb.54:                               ;   in Loop: Header=BB22_13 Depth=1
	s_waitcnt lgkmcnt(0)
	v_min_i32_e32 v2, v3, v2
	s_mov_b32 s20, exec_lo
	s_brev_b32 s19, -2
.LBB22_55:                              ;   Parent Loop BB22_13 Depth=1
                                        ; =>  This Inner Loop Header: Depth=2
	s_ctz_i32_b32 s54, s20
	s_delay_alu instid0(VALU_DEP_1) | instid1(SALU_CYCLE_1)
	v_readlane_b32 s55, v2, s54
	s_lshl_b32 s54, 1, s54
	s_delay_alu instid0(SALU_CYCLE_1) | instskip(NEXT) | instid1(VALU_DEP_1)
	s_and_not1_b32 s20, s20, s54
	s_min_i32 s19, s19, s55
	s_cmp_lg_u32 s20, 0
	s_cbranch_scc1 .LBB22_55
; %bb.56:                               ;   in Loop: Header=BB22_13 Depth=1
	v_mbcnt_lo_u32_b32 v2, exec_lo, 0
	s_mov_b32 s20, exec_lo
	s_delay_alu instid0(VALU_DEP_1)
	v_cmpx_eq_u32_e32 0, v2
	s_xor_b32 s20, exec_lo, s20
	s_cbranch_execz .LBB22_58
; %bb.57:                               ;   in Loop: Header=BB22_13 Depth=1
	v_mov_b32_e32 v2, s19
	ds_min_i32 v22, v2 offset:10240
.LBB22_58:                              ;   in Loop: Header=BB22_13 Depth=1
	s_or_b32 exec_lo, exec_lo, s18
	s_waitcnt lgkmcnt(0)
	v_dual_mov_b32 v3, v19 :: v_dual_add_nc_u32 v2, s30, v24
	v_mov_b32_e32 v4, v0
	s_mov_b32 s18, 0
	s_waitcnt_vscnt null, 0x0
	s_barrier
	buffer_gl0_inv
	s_branch .LBB22_60
.LBB22_59:                              ;   in Loop: Header=BB22_60 Depth=2
	s_or_b32 exec_lo, exec_lo, s19
	s_waitcnt lgkmcnt(0)
	s_waitcnt_vscnt null, 0x0
	s_barrier
	buffer_gl0_inv
	ds_load_b32 v5, v22 offset:60
	v_add_nc_u32_e32 v6, 0x200, v4
	v_cmp_lt_u32_e32 vcc_lo, 0x5ff, v4
	s_delay_alu instid0(VALU_DEP_2)
	v_dual_mov_b32 v4, v6 :: v_dual_add_nc_u32 v3, 0x800, v3
	s_or_b32 s18, vcc_lo, s18
	s_waitcnt lgkmcnt(0)
	v_add_nc_u32_e32 v21, v5, v21
	s_and_not1_b32 exec_lo, exec_lo, s18
	s_cbranch_execz .LBB22_12
.LBB22_60:                              ;   Parent Loop BB22_13 Depth=1
                                        ; =>  This Inner Loop Header: Depth=2
	ds_load_u8 v6, v4 offset:8192
	ds_load_b32 v5, v3
	s_waitcnt lgkmcnt(0)
	s_barrier
	buffer_gl0_inv
	v_cmp_ne_u16_e32 vcc_lo, 0, v6
	s_bcnt1_i32_b32 s19, vcc_lo
	s_delay_alu instid0(SALU_CYCLE_1)
	v_mov_b32_e32 v7, s19
	s_mov_b32 s19, exec_lo
	ds_store_b32 v13, v7
	s_waitcnt lgkmcnt(0)
	s_barrier
	buffer_gl0_inv
	ds_load_b128 v[24:27], v22
	ds_load_b128 v[28:31], v22 offset:16
	v_and_b32_e32 v7, vcc_lo, v1
	ds_load_b128 v[32:35], v22 offset:32
	s_waitcnt lgkmcnt(2)
	v_cndmask_b32_e64 v24, v24, 0, s2
	v_cndmask_b32_e64 v36, v25, 0, s3
	v_cndmask_b32_e64 v37, v26, 0, s4
	v_cndmask_b32_e64 v27, v27, 0, s5
	s_waitcnt lgkmcnt(1)
	v_cndmask_b32_e64 v28, v28, 0, s7
	v_bcnt_u32_b32 v7, v7, v24
	ds_load_b96 v[24:26], v22 offset:48
	v_cndmask_b32_e64 v29, v29, 0, s8
	v_cndmask_b32_e64 v30, v30, 0, s9
	v_add3_u32 v7, v7, v36, v37
	s_delay_alu instid0(VALU_DEP_1) | instskip(SKIP_3) | instid1(VALU_DEP_3)
	v_add3_u32 v7, v7, v27, v28
	v_cndmask_b32_e64 v27, v31, 0, s10
	s_waitcnt lgkmcnt(1)
	v_cndmask_b32_e64 v28, v32, 0, s11
	v_add3_u32 v7, v7, v29, v30
	v_cndmask_b32_e64 v29, v33, 0, s12
	v_cndmask_b32_e64 v30, v34, 0, s13
	s_delay_alu instid0(VALU_DEP_3)
	v_add3_u32 v7, v7, v27, v28
	v_cndmask_b32_e64 v27, v35, 0, s14
	s_waitcnt lgkmcnt(0)
	v_cndmask_b32_e64 v24, v24, 0, s15
	v_cndmask_b32_e64 v25, v25, 0, s16
	;; [unrolled: 1-line block ×3, first 2 shown]
	v_add3_u32 v7, v7, v29, v30
	s_delay_alu instid0(VALU_DEP_1) | instskip(SKIP_1) | instid1(VALU_DEP_2)
	v_add3_u32 v7, v7, v27, v24
	v_and_b32_e32 v24, 1, v6
	v_add3_u32 v6, v7, v25, v26
	s_delay_alu instid0(VALU_DEP_2)
	v_cmpx_eq_u32_e32 1, v24
	s_cbranch_execz .LBB22_62
; %bb.61:                               ;   in Loop: Header=BB22_60 Depth=2
	s_delay_alu instid0(VALU_DEP_2) | instskip(SKIP_1) | instid1(VALU_DEP_2)
	v_add3_u32 v24, v21, v6, -1
	v_add_nc_u32_e32 v7, v2, v4
	v_ashrrev_i32_e32 v25, 31, v24
	s_delay_alu instid0(VALU_DEP_1) | instskip(NEXT) | instid1(VALU_DEP_1)
	v_lshlrev_b64 v[24:25], 2, v[24:25]
	v_add_co_u32 v26, vcc_lo, s44, v24
	s_delay_alu instid0(VALU_DEP_2)
	v_add_co_ci_u32_e32 v27, vcc_lo, s45, v25, vcc_lo
	v_add_co_u32 v24, vcc_lo, s46, v24
	v_add_co_ci_u32_e32 v25, vcc_lo, s47, v25, vcc_lo
	global_store_b32 v[26:27], v7, off
	global_store_b32 v[24:25], v5, off
.LBB22_62:                              ;   in Loop: Header=BB22_60 Depth=2
	s_or_b32 exec_lo, exec_lo, s19
	s_and_saveexec_b32 s19, s1
	s_cbranch_execz .LBB22_59
; %bb.63:                               ;   in Loop: Header=BB22_60 Depth=2
	ds_store_b32 v22, v6 offset:60
	s_branch .LBB22_59
.LBB22_64:
	s_endpgm
	.section	.rodata,"a",@progbits
	.p2align	6, 0x0
	.amdhsa_kernel _ZN9rocsparseL36csrgemm_fill_block_per_row_multipassILj512ELj16ELj2048ELj32EiifEEvT4_PKS1_S3_NS_24const_host_device_scalarIT5_EEPKT3_S3_PKS5_S9_S3_SB_S6_S9_S3_SB_S9_PS1_PS5_PS7_21rocsparse_index_base_SF_SF_SF_bbb
		.amdhsa_group_segment_fixed_size 10244
		.amdhsa_private_segment_fixed_size 0
		.amdhsa_kernarg_size 164
		.amdhsa_user_sgpr_count 15
		.amdhsa_user_sgpr_dispatch_ptr 0
		.amdhsa_user_sgpr_queue_ptr 0
		.amdhsa_user_sgpr_kernarg_segment_ptr 1
		.amdhsa_user_sgpr_dispatch_id 0
		.amdhsa_user_sgpr_private_segment_size 0
		.amdhsa_wavefront_size32 1
		.amdhsa_uses_dynamic_stack 0
		.amdhsa_enable_private_segment 0
		.amdhsa_system_sgpr_workgroup_id_x 1
		.amdhsa_system_sgpr_workgroup_id_y 0
		.amdhsa_system_sgpr_workgroup_id_z 0
		.amdhsa_system_sgpr_workgroup_info 0
		.amdhsa_system_vgpr_workitem_id 0
		.amdhsa_next_free_vgpr 38
		.amdhsa_next_free_sgpr 62
		.amdhsa_reserve_vcc 1
		.amdhsa_float_round_mode_32 0
		.amdhsa_float_round_mode_16_64 0
		.amdhsa_float_denorm_mode_32 3
		.amdhsa_float_denorm_mode_16_64 3
		.amdhsa_dx10_clamp 1
		.amdhsa_ieee_mode 1
		.amdhsa_fp16_overflow 0
		.amdhsa_workgroup_processor_mode 1
		.amdhsa_memory_ordered 1
		.amdhsa_forward_progress 0
		.amdhsa_shared_vgpr_count 0
		.amdhsa_exception_fp_ieee_invalid_op 0
		.amdhsa_exception_fp_denorm_src 0
		.amdhsa_exception_fp_ieee_div_zero 0
		.amdhsa_exception_fp_ieee_overflow 0
		.amdhsa_exception_fp_ieee_underflow 0
		.amdhsa_exception_fp_ieee_inexact 0
		.amdhsa_exception_int_div_zero 0
	.end_amdhsa_kernel
	.section	.text._ZN9rocsparseL36csrgemm_fill_block_per_row_multipassILj512ELj16ELj2048ELj32EiifEEvT4_PKS1_S3_NS_24const_host_device_scalarIT5_EEPKT3_S3_PKS5_S9_S3_SB_S6_S9_S3_SB_S9_PS1_PS5_PS7_21rocsparse_index_base_SF_SF_SF_bbb,"axG",@progbits,_ZN9rocsparseL36csrgemm_fill_block_per_row_multipassILj512ELj16ELj2048ELj32EiifEEvT4_PKS1_S3_NS_24const_host_device_scalarIT5_EEPKT3_S3_PKS5_S9_S3_SB_S6_S9_S3_SB_S9_PS1_PS5_PS7_21rocsparse_index_base_SF_SF_SF_bbb,comdat
.Lfunc_end22:
	.size	_ZN9rocsparseL36csrgemm_fill_block_per_row_multipassILj512ELj16ELj2048ELj32EiifEEvT4_PKS1_S3_NS_24const_host_device_scalarIT5_EEPKT3_S3_PKS5_S9_S3_SB_S6_S9_S3_SB_S9_PS1_PS5_PS7_21rocsparse_index_base_SF_SF_SF_bbb, .Lfunc_end22-_ZN9rocsparseL36csrgemm_fill_block_per_row_multipassILj512ELj16ELj2048ELj32EiifEEvT4_PKS1_S3_NS_24const_host_device_scalarIT5_EEPKT3_S3_PKS5_S9_S3_SB_S6_S9_S3_SB_S9_PS1_PS5_PS7_21rocsparse_index_base_SF_SF_SF_bbb
                                        ; -- End function
	.section	.AMDGPU.csdata,"",@progbits
; Kernel info:
; codeLenInByte = 2836
; NumSgprs: 64
; NumVgprs: 38
; ScratchSize: 0
; MemoryBound: 0
; FloatMode: 240
; IeeeMode: 1
; LDSByteSize: 10244 bytes/workgroup (compile time only)
; SGPRBlocks: 7
; VGPRBlocks: 4
; NumSGPRsForWavesPerEU: 64
; NumVGPRsForWavesPerEU: 38
; Occupancy: 16
; WaveLimiterHint : 1
; COMPUTE_PGM_RSRC2:SCRATCH_EN: 0
; COMPUTE_PGM_RSRC2:USER_SGPR: 15
; COMPUTE_PGM_RSRC2:TRAP_HANDLER: 0
; COMPUTE_PGM_RSRC2:TGID_X_EN: 1
; COMPUTE_PGM_RSRC2:TGID_Y_EN: 0
; COMPUTE_PGM_RSRC2:TGID_Z_EN: 0
; COMPUTE_PGM_RSRC2:TIDIG_COMP_CNT: 0
	.section	.text._ZN9rocsparseL36csrgemm_fill_block_per_row_multipassILj512ELj16ELj2048ELj64EiifEEvT4_PKS1_S3_NS_24const_host_device_scalarIT5_EEPKT3_S3_PKS5_S9_S3_SB_S6_S9_S3_SB_S9_PS1_PS5_PS7_21rocsparse_index_base_SF_SF_SF_bbb,"axG",@progbits,_ZN9rocsparseL36csrgemm_fill_block_per_row_multipassILj512ELj16ELj2048ELj64EiifEEvT4_PKS1_S3_NS_24const_host_device_scalarIT5_EEPKT3_S3_PKS5_S9_S3_SB_S6_S9_S3_SB_S9_PS1_PS5_PS7_21rocsparse_index_base_SF_SF_SF_bbb,comdat
	.globl	_ZN9rocsparseL36csrgemm_fill_block_per_row_multipassILj512ELj16ELj2048ELj64EiifEEvT4_PKS1_S3_NS_24const_host_device_scalarIT5_EEPKT3_S3_PKS5_S9_S3_SB_S6_S9_S3_SB_S9_PS1_PS5_PS7_21rocsparse_index_base_SF_SF_SF_bbb ; -- Begin function _ZN9rocsparseL36csrgemm_fill_block_per_row_multipassILj512ELj16ELj2048ELj64EiifEEvT4_PKS1_S3_NS_24const_host_device_scalarIT5_EEPKT3_S3_PKS5_S9_S3_SB_S6_S9_S3_SB_S9_PS1_PS5_PS7_21rocsparse_index_base_SF_SF_SF_bbb
	.p2align	8
	.type	_ZN9rocsparseL36csrgemm_fill_block_per_row_multipassILj512ELj16ELj2048ELj64EiifEEvT4_PKS1_S3_NS_24const_host_device_scalarIT5_EEPKT3_S3_PKS5_S9_S3_SB_S6_S9_S3_SB_S9_PS1_PS5_PS7_21rocsparse_index_base_SF_SF_SF_bbb,@function
_ZN9rocsparseL36csrgemm_fill_block_per_row_multipassILj512ELj16ELj2048ELj64EiifEEvT4_PKS1_S3_NS_24const_host_device_scalarIT5_EEPKT3_S3_PKS5_S9_S3_SB_S6_S9_S3_SB_S9_PS1_PS5_PS7_21rocsparse_index_base_SF_SF_SF_bbb: ; @_ZN9rocsparseL36csrgemm_fill_block_per_row_multipassILj512ELj16ELj2048ELj64EiifEEvT4_PKS1_S3_NS_24const_host_device_scalarIT5_EEPKT3_S3_PKS5_S9_S3_SB_S6_S9_S3_SB_S9_PS1_PS5_PS7_21rocsparse_index_base_SF_SF_SF_bbb
; %bb.0:
	s_clause 0x4
	s_load_b32 s11, s[0:1], 0xa0
	s_load_b128 s[4:7], s[0:1], 0x8
	s_load_b64 s[2:3], s[0:1], 0x18
	s_load_b128 s[28:31], s[0:1], 0x90
	s_load_b64 s[8:9], s[0:1], 0x50
	s_waitcnt lgkmcnt(0)
	s_bitcmp1_b32 s11, 0
	s_cselect_b32 s10, -1, 0
	s_bitcmp1_b32 s11, 16
	s_cselect_b32 s12, -1, 0
	s_xor_b32 s13, s10, -1
	s_delay_alu instid0(SALU_CYCLE_1) | instskip(NEXT) | instid1(SALU_CYCLE_1)
	s_or_b32 s13, s13, s12
	s_and_b32 vcc_lo, exec_lo, s13
	s_cbranch_vccnz .LBB23_2
; %bb.1:
	s_load_b32 s2, s[2:3], 0x0
	s_waitcnt lgkmcnt(0)
	v_mov_b32_e32 v8, s2
	s_branch .LBB23_3
.LBB23_2:
	v_cndmask_b32_e64 v8, 0, s2, s10
.LBB23_3:
	s_load_b64 s[2:3], s[0:1], 0x20
	s_bitcmp1_b32 s11, 8
	s_cselect_b32 s33, -1, 0
	s_delay_alu instid0(SALU_CYCLE_1) | instskip(NEXT) | instid1(SALU_CYCLE_1)
	s_xor_b32 s11, s33, -1
	s_or_b32 s11, s11, s12
	s_delay_alu instid0(SALU_CYCLE_1)
	s_and_b32 vcc_lo, exec_lo, s11
	s_cbranch_vccnz .LBB23_5
; %bb.4:
	s_load_b32 s8, s[8:9], 0x0
	s_waitcnt lgkmcnt(0)
	v_mov_b32_e32 v9, s8
	s_branch .LBB23_6
.LBB23_5:
	v_cndmask_b32_e64 v9, 0, s8, s33
.LBB23_6:
	s_load_b32 s4, s[4:5], 0x0
	s_mov_b32 s35, 0
	s_waitcnt lgkmcnt(0)
	s_add_i32 s34, s4, s15
	s_delay_alu instid0(SALU_CYCLE_1) | instskip(NEXT) | instid1(SALU_CYCLE_1)
	s_lshl_b64 s[4:5], s[34:35], 2
	s_add_u32 s4, s6, s4
	s_addc_u32 s5, s7, s5
	s_and_not1_b32 vcc_lo, exec_lo, s10
	s_load_b32 s8, s[4:5], 0x0
	s_mov_b32 s7, 0
	s_cbranch_vccz .LBB23_9
; %bb.7:
	s_and_not1_b32 vcc_lo, exec_lo, s10
	s_cbranch_vccz .LBB23_10
.LBB23_8:
	s_load_b32 s34, s[0:1], 0x0
	s_waitcnt lgkmcnt(0)
	s_cmp_lt_i32 s34, 1
	s_cbranch_scc0 .LBB23_11
	s_branch .LBB23_64
.LBB23_9:
	s_waitcnt lgkmcnt(0)
	s_ashr_i32 s9, s8, 31
	s_delay_alu instid0(SALU_CYCLE_1) | instskip(NEXT) | instid1(SALU_CYCLE_1)
	s_lshl_b64 s[4:5], s[8:9], 2
	s_add_u32 s4, s2, s4
	s_addc_u32 s5, s3, s5
	s_load_b32 s4, s[4:5], 0x0
	s_waitcnt lgkmcnt(0)
	s_sub_i32 s7, s4, s28
	s_and_not1_b32 vcc_lo, exec_lo, s10
	s_cbranch_vccnz .LBB23_8
.LBB23_10:
	s_waitcnt lgkmcnt(0)
	s_ashr_i32 s9, s8, 31
	s_delay_alu instid0(SALU_CYCLE_1) | instskip(NEXT) | instid1(SALU_CYCLE_1)
	s_lshl_b64 s[4:5], s[8:9], 2
	s_add_u32 s2, s2, s4
	s_addc_u32 s3, s3, s5
	s_load_b32 s2, s[2:3], 0x4
	s_waitcnt lgkmcnt(0)
	s_sub_i32 s35, s2, s28
	s_load_b32 s34, s[0:1], 0x0
	s_waitcnt lgkmcnt(0)
	s_cmp_lt_i32 s34, 1
	s_cbranch_scc1 .LBB23_64
.LBB23_11:
	s_clause 0x4
	s_load_b256 s[12:19], s[0:1], 0x58
	s_load_b64 s[40:41], s[0:1], 0x88
	s_load_b128 s[36:39], s[0:1], 0x78
	s_load_b64 s[42:43], s[0:1], 0x48
	s_load_b256 s[20:27], s[0:1], 0x28
	s_ashr_i32 s9, s8, 31
	v_mbcnt_lo_u32_b32 v2, -1, 0
	s_lshl_b64 s[44:45], s[8:9], 2
	v_lshrrev_b32_e32 v1, 4, v0
	v_dual_mov_b32 v25, 0x800 :: v_dual_and_b32 v10, 15, v0
	s_delay_alu instid0(VALU_DEP_3)
	v_xor_b32_e32 v3, 8, v2
	v_xor_b32_e32 v4, 4, v2
	v_xor_b32_e32 v5, 2, v2
	v_xor_b32_e32 v6, 1, v2
	v_xor_b32_e32 v7, 63, v2
	v_dual_mov_b32 v20, 0 :: v_dual_and_b32 v13, 28, v1
	v_cmp_eq_u32_e64 s0, 0, v0
	v_subrev_nc_u32_e32 v11, s31, v0
	s_waitcnt lgkmcnt(0)
	s_add_u32 s8, s18, s44
	s_addc_u32 s9, s19, s45
	v_cmp_eq_u32_e64 s1, 0x1ff, v0
	s_load_b32 s9, s[8:9], 0x0
	v_cmp_gt_i32_e64 s8, 32, v3
	v_cmp_gt_u32_e64 s2, 64, v0
	v_cmp_gt_u32_e64 s3, 0x80, v0
	;; [unrolled: 1-line block ×4, first 2 shown]
	v_cndmask_b32_e64 v3, v2, v3, s8
	v_cmp_gt_i32_e64 s8, 32, v4
	v_cmp_gt_u32_e64 s6, 0x140, v0
	v_or_b32_e32 v18, 0xfffffe00, v0
	v_lshlrev_b32_e32 v19, 2, v0
	v_dual_mov_b32 v23, 1 :: v_dual_lshlrev_b32 v14, 2, v3
	v_cndmask_b32_e64 v4, v2, v4, s8
	v_cmp_gt_i32_e64 s8, 32, v5
	v_mov_b32_e32 v22, 0
	s_delay_alu instid0(VALU_DEP_3) | instskip(NEXT) | instid1(VALU_DEP_3)
	v_dual_mov_b32 v24, 0 :: v_dual_lshlrev_b32 v15, 2, v4
	v_cndmask_b32_e64 v5, v2, v5, s8
	v_cmp_gt_i32_e64 s8, 32, v6
	s_waitcnt lgkmcnt(0)
	s_sub_i32 s11, s9, s30
	s_delay_alu instid0(SALU_CYCLE_1) | instskip(SKIP_3) | instid1(VALU_DEP_4)
	v_dual_mov_b32 v21, s11 :: v_dual_add_nc_u32 v12, s7, v1
	v_cmp_eq_u32_e64 s7, 15, v10
	v_cndmask_b32_e64 v6, v2, v6, s8
	v_lshrrev_b64 v[1:2], v7, -1
	v_cmp_gt_i32_e32 vcc_lo, s35, v12
	v_lshlrev_b32_e32 v16, 2, v5
	s_add_u32 s18, s12, s44
	v_lshlrev_b32_e32 v17, 2, v6
	v_cmp_gt_u32_e64 s8, 0x180, v0
	v_cmp_gt_u32_e64 s9, 0x1c0, v0
	s_addc_u32 s19, s13, s45
	s_and_b32 s13, s10, vcc_lo
	s_add_u32 s44, s24, 4
	s_addc_u32 s45, s25, 0
	s_branch .LBB23_13
.LBB23_12:                              ;   in Loop: Header=BB23_13 Depth=1
	s_or_b32 exec_lo, exec_lo, s10
	ds_load_b32 v24, v22 offset:10240
	s_waitcnt lgkmcnt(0)
	s_barrier
	buffer_gl0_inv
	v_cmp_le_i32_e32 vcc_lo, s34, v24
	v_add_nc_u32_e32 v25, 0x800, v24
	s_cbranch_vccnz .LBB23_64
.LBB23_13:                              ; =>This Loop Header: Depth=1
                                        ;     Child Loop BB23_14 Depth 2
                                        ;     Child Loop BB23_20 Depth 2
                                        ;       Child Loop BB23_26 Depth 3
                                        ;     Child Loop BB23_43 Depth 2
                                        ;     Child Loop BB23_55 Depth 2
	;; [unrolled: 1-line block ×3, first 2 shown]
	v_dual_mov_b32 v2, v19 :: v_dual_mov_b32 v3, v18
	s_mov_b32 s10, 0
.LBB23_14:                              ;   Parent Loop BB23_13 Depth=1
                                        ; =>  This Inner Loop Header: Depth=2
	ds_store_b8 v3, v20 offset:8704
	v_add_nc_u32_e32 v3, 0x200, v3
	ds_store_b32 v2, v22
	v_add_nc_u32_e32 v2, 0x800, v2
	v_cmp_lt_u32_e32 vcc_lo, 0x5ff, v3
	s_or_b32 s10, vcc_lo, s10
	s_delay_alu instid0(SALU_CYCLE_1)
	s_and_not1_b32 exec_lo, exec_lo, s10
	s_cbranch_execnz .LBB23_14
; %bb.15:                               ;   in Loop: Header=BB23_13 Depth=1
	s_or_b32 exec_lo, exec_lo, s10
	s_and_saveexec_b32 s10, s0
	s_cbranch_execz .LBB23_17
; %bb.16:                               ;   in Loop: Header=BB23_13 Depth=1
	v_mov_b32_e32 v2, s34
	ds_store_b32 v22, v2 offset:10240
.LBB23_17:                              ;   in Loop: Header=BB23_13 Depth=1
	s_or_b32 exec_lo, exec_lo, s10
	v_mov_b32_e32 v26, s34
	s_waitcnt lgkmcnt(0)
	s_barrier
	buffer_gl0_inv
	s_and_saveexec_b32 s46, s13
	s_cbranch_execz .LBB23_39
; %bb.18:                               ;   in Loop: Header=BB23_13 Depth=1
	v_cmp_ne_u32_e64 s10, 0, v24
	v_mov_b32_e32 v26, s34
	v_mov_b32_e32 v2, v12
	s_mov_b32 s47, 0
	s_branch .LBB23_20
.LBB23_19:                              ;   in Loop: Header=BB23_20 Depth=2
	s_or_b32 exec_lo, exec_lo, s11
	v_add_nc_u32_e32 v2, 32, v2
	s_delay_alu instid0(VALU_DEP_1) | instskip(SKIP_1) | instid1(SALU_CYCLE_1)
	v_cmp_le_i32_e32 vcc_lo, s35, v2
	s_or_b32 s47, vcc_lo, s47
	s_and_not1_b32 exec_lo, exec_lo, s47
	s_cbranch_execz .LBB23_38
.LBB23_20:                              ;   Parent Loop BB23_13 Depth=1
                                        ; =>  This Loop Header: Depth=2
                                        ;       Child Loop BB23_26 Depth 3
	s_delay_alu instid0(VALU_DEP_1) | instskip(NEXT) | instid1(VALU_DEP_1)
	v_ashrrev_i32_e32 v3, 31, v2
	v_lshlrev_b64 v[3:4], 2, v[2:3]
	s_delay_alu instid0(VALU_DEP_1) | instskip(SKIP_1) | instid1(VALU_DEP_2)
	v_add_co_u32 v5, vcc_lo, s20, v3
	s_waitcnt lgkmcnt(0)
	v_add_co_ci_u32_e32 v6, vcc_lo, s21, v4, vcc_lo
	global_load_b32 v27, v[5:6], off
	v_add_co_u32 v5, vcc_lo, s22, v3
	v_add_co_ci_u32_e32 v6, vcc_lo, s23, v4, vcc_lo
	s_and_b32 vcc_lo, exec_lo, s10
	global_load_b32 v7, v[5:6], off
	s_waitcnt vmcnt(1)
	v_subrev_nc_u32_e32 v5, s28, v27
	s_delay_alu instid0(VALU_DEP_1)
	v_ashrrev_i32_e32 v6, 31, v5
	s_cbranch_vccz .LBB23_37
; %bb.21:                               ;   in Loop: Header=BB23_20 Depth=2
	v_add_co_u32 v27, vcc_lo, s40, v3
	v_add_co_ci_u32_e32 v28, vcc_lo, s41, v4, vcc_lo
	global_load_b32 v27, v[27:28], off
	s_cbranch_execnz .LBB23_23
.LBB23_22:                              ;   in Loop: Header=BB23_20 Depth=2
	s_waitcnt vmcnt(0)
	s_delay_alu instid0(VALU_DEP_1) | instskip(NEXT) | instid1(VALU_DEP_1)
	v_lshlrev_b64 v[27:28], 2, v[5:6]
	v_add_co_u32 v27, vcc_lo, s24, v27
	s_delay_alu instid0(VALU_DEP_2)
	v_add_co_ci_u32_e32 v28, vcc_lo, s25, v28, vcc_lo
	global_load_b32 v27, v[27:28], off
	s_waitcnt vmcnt(0)
	v_subrev_nc_u32_e32 v27, s29, v27
.LBB23_23:                              ;   in Loop: Header=BB23_20 Depth=2
	v_lshlrev_b64 v[5:6], 2, v[5:6]
	s_waitcnt vmcnt(0)
	s_delay_alu instid0(VALU_DEP_2) | instskip(SKIP_1) | instid1(VALU_DEP_2)
	v_add_nc_u32_e32 v27, v27, v10
	s_mov_b32 s48, exec_lo
	v_add_co_u32 v5, vcc_lo, s44, v5
	s_delay_alu instid0(VALU_DEP_3) | instskip(SKIP_3) | instid1(VALU_DEP_1)
	v_add_co_ci_u32_e32 v6, vcc_lo, s45, v6, vcc_lo
	global_load_b32 v5, v[5:6], off
	s_waitcnt vmcnt(0)
	v_subrev_nc_u32_e32 v28, s29, v5
	v_cmpx_lt_i32_e64 v27, v28
	s_cbranch_execz .LBB23_35
; %bb.24:                               ;   in Loop: Header=BB23_20 Depth=2
	v_mul_f32_e32 v29, v8, v7
	v_mov_b32_e32 v5, v27
	s_mov_b32 s50, 0
                                        ; implicit-def: $sgpr49
                                        ; implicit-def: $sgpr51
	s_branch .LBB23_26
.LBB23_25:                              ;   in Loop: Header=BB23_26 Depth=3
	s_or_b32 exec_lo, exec_lo, s12
	s_delay_alu instid0(SALU_CYCLE_1) | instskip(SKIP_4) | instid1(SALU_CYCLE_1)
	s_and_b32 s11, exec_lo, s52
	v_mov_b32_e32 v5, v7
	s_or_b32 s50, s11, s50
	s_and_not1_b32 s11, s49, exec_lo
	s_and_b32 s12, s51, exec_lo
	s_or_b32 s49, s11, s12
	s_and_not1_b32 exec_lo, exec_lo, s50
	s_cbranch_execz .LBB23_32
.LBB23_26:                              ;   Parent Loop BB23_13 Depth=1
                                        ;     Parent Loop BB23_20 Depth=2
                                        ; =>    This Inner Loop Header: Depth=3
	s_delay_alu instid0(VALU_DEP_1) | instskip(NEXT) | instid1(VALU_DEP_1)
	v_ashrrev_i32_e32 v6, 31, v5
	v_lshlrev_b64 v[6:7], 2, v[5:6]
	s_delay_alu instid0(VALU_DEP_1) | instskip(NEXT) | instid1(VALU_DEP_2)
	v_add_co_u32 v30, vcc_lo, s26, v6
	v_add_co_ci_u32_e32 v31, vcc_lo, s27, v7, vcc_lo
	global_load_b32 v30, v[30:31], off
	s_waitcnt vmcnt(0)
	v_subrev_nc_u32_e32 v30, s29, v30
	s_delay_alu instid0(VALU_DEP_1) | instskip(SKIP_2) | instid1(VALU_DEP_2)
	v_cmp_lt_i32_e64 s11, v30, v24
	v_cmp_ge_i32_e64 s12, v30, v25
	v_cmp_lt_i32_e32 vcc_lo, v30, v25
	s_or_b32 s52, s11, s12
	s_mov_b32 s11, 0
                                        ; implicit-def: $sgpr12
	s_and_saveexec_b32 s53, s52
	s_delay_alu instid0(SALU_CYCLE_1)
	s_xor_b32 s52, exec_lo, s53
; %bb.27:                               ;   in Loop: Header=BB23_26 Depth=3
	s_mov_b32 s12, -1
	s_and_b32 s11, vcc_lo, exec_lo
                                        ; implicit-def: $vgpr6_vgpr7
; %bb.28:                               ;   in Loop: Header=BB23_26 Depth=3
	s_and_not1_saveexec_b32 s52, s52
	s_cbranch_execz .LBB23_30
; %bb.29:                               ;   in Loop: Header=BB23_26 Depth=3
	v_add_co_u32 v6, vcc_lo, s42, v6
	v_add_co_ci_u32_e32 v7, vcc_lo, s43, v7, vcc_lo
	s_or_b32 s11, s11, exec_lo
	global_load_b32 v6, v[6:7], off
	v_sub_nc_u32_e32 v7, v30, v24
	s_delay_alu instid0(VALU_DEP_1)
	v_lshlrev_b32_e32 v31, 2, v7
	ds_store_b8 v7, v23 offset:8192
	s_waitcnt vmcnt(0)
	v_mul_f32_e32 v6, v29, v6
	ds_add_f32 v31, v6
.LBB23_30:                              ;   in Loop: Header=BB23_26 Depth=3
	s_or_b32 exec_lo, exec_lo, s52
	v_mov_b32_e32 v6, v5
	s_and_not1_b32 s51, s51, exec_lo
	s_and_b32 s12, s12, exec_lo
	s_mov_b32 s52, -1
	s_or_b32 s51, s51, s12
                                        ; implicit-def: $vgpr7
	s_and_saveexec_b32 s12, s11
	s_cbranch_execz .LBB23_25
; %bb.31:                               ;   in Loop: Header=BB23_26 Depth=3
	v_dual_mov_b32 v6, v5 :: v_dual_add_nc_u32 v7, 16, v5
	s_and_not1_b32 s51, s51, exec_lo
	s_delay_alu instid0(VALU_DEP_1)
	v_cmp_ge_i32_e32 vcc_lo, v7, v28
	s_or_not1_b32 s52, vcc_lo, exec_lo
	s_branch .LBB23_25
.LBB23_32:                              ;   in Loop: Header=BB23_20 Depth=2
	s_or_b32 exec_lo, exec_lo, s50
	s_and_saveexec_b32 s11, s49
	s_delay_alu instid0(SALU_CYCLE_1)
	s_xor_b32 s11, exec_lo, s11
; %bb.33:                               ;   in Loop: Header=BB23_20 Depth=2
	v_min_i32_e32 v26, v30, v26
	v_mov_b32_e32 v27, v6
; %bb.34:                               ;   in Loop: Header=BB23_20 Depth=2
	s_or_b32 exec_lo, exec_lo, s11
.LBB23_35:                              ;   in Loop: Header=BB23_20 Depth=2
	s_delay_alu instid0(SALU_CYCLE_1)
	s_or_b32 exec_lo, exec_lo, s48
	ds_bpermute_b32 v5, v14, v27
	s_waitcnt lgkmcnt(0)
	v_min_i32_e32 v5, v5, v27
	ds_bpermute_b32 v6, v15, v5
	s_waitcnt lgkmcnt(0)
	v_min_i32_e32 v5, v6, v5
	;; [unrolled: 3-line block ×3, first 2 shown]
	ds_bpermute_b32 v6, v17, v5
	s_and_saveexec_b32 s11, s7
	s_cbranch_execz .LBB23_19
; %bb.36:                               ;   in Loop: Header=BB23_20 Depth=2
	v_add_co_u32 v3, vcc_lo, s40, v3
	s_waitcnt lgkmcnt(0)
	v_min_i32_e32 v5, v6, v5
	v_add_co_ci_u32_e32 v4, vcc_lo, s41, v4, vcc_lo
	global_store_b32 v[3:4], v5, off
	s_branch .LBB23_19
.LBB23_37:                              ;   in Loop: Header=BB23_20 Depth=2
                                        ; implicit-def: $vgpr27
	s_branch .LBB23_22
.LBB23_38:                              ;   in Loop: Header=BB23_13 Depth=1
	s_or_b32 exec_lo, exec_lo, s47
.LBB23_39:                              ;   in Loop: Header=BB23_13 Depth=1
	s_delay_alu instid0(SALU_CYCLE_1) | instskip(NEXT) | instid1(SALU_CYCLE_1)
	s_or_b32 exec_lo, exec_lo, s46
	s_and_not1_b32 vcc_lo, exec_lo, s33
	s_cbranch_vccnz .LBB23_53
; %bb.40:                               ;   in Loop: Header=BB23_13 Depth=1
	s_load_b64 s[10:11], s[18:19], 0x0
	s_mov_b32 s12, exec_lo
	s_waitcnt lgkmcnt(0)
	v_add_nc_u32_e32 v2, s10, v11
	s_sub_i32 s46, s11, s31
	s_delay_alu instid0(VALU_DEP_1) | instid1(SALU_CYCLE_1)
	v_cmpx_gt_i32_e64 s46, v2
	s_cbranch_execz .LBB23_52
; %bb.41:                               ;   in Loop: Header=BB23_13 Depth=1
	s_mov_b32 s47, 0
                                        ; implicit-def: $sgpr48
                                        ; implicit-def: $sgpr49
	s_branch .LBB23_43
.LBB23_42:                              ;   in Loop: Header=BB23_43 Depth=2
	s_or_b32 exec_lo, exec_lo, s50
	s_delay_alu instid0(SALU_CYCLE_1) | instskip(NEXT) | instid1(SALU_CYCLE_1)
	s_and_b32 s10, exec_lo, s11
	s_or_b32 s47, s10, s47
	s_and_not1_b32 s10, s48, exec_lo
	s_and_b32 s11, s49, exec_lo
	s_delay_alu instid0(SALU_CYCLE_1)
	s_or_b32 s48, s10, s11
	s_and_not1_b32 exec_lo, exec_lo, s47
	s_cbranch_execz .LBB23_49
.LBB23_43:                              ;   Parent Loop BB23_13 Depth=1
                                        ; =>  This Inner Loop Header: Depth=2
	v_ashrrev_i32_e32 v3, 31, v2
	s_delay_alu instid0(VALU_DEP_1) | instskip(NEXT) | instid1(VALU_DEP_1)
	v_lshlrev_b64 v[3:4], 2, v[2:3]
	v_add_co_u32 v5, vcc_lo, s14, v3
	s_delay_alu instid0(VALU_DEP_2) | instskip(SKIP_3) | instid1(VALU_DEP_1)
	v_add_co_ci_u32_e32 v6, vcc_lo, s15, v4, vcc_lo
	global_load_b32 v5, v[5:6], off
	s_waitcnt vmcnt(0)
	v_subrev_nc_u32_e32 v5, s31, v5
	v_cmp_lt_i32_e64 s10, v5, v24
	v_cmp_ge_i32_e64 s11, v5, v25
	v_cmp_lt_i32_e32 vcc_lo, v5, v25
	s_delay_alu instid0(VALU_DEP_2) | instskip(SKIP_2) | instid1(SALU_CYCLE_1)
	s_or_b32 s50, s10, s11
	s_mov_b32 s10, 0
                                        ; implicit-def: $sgpr11
	s_and_saveexec_b32 s51, s50
	s_xor_b32 s50, exec_lo, s51
; %bb.44:                               ;   in Loop: Header=BB23_43 Depth=2
	s_mov_b32 s11, -1
	s_and_b32 s10, vcc_lo, exec_lo
                                        ; implicit-def: $vgpr3_vgpr4
; %bb.45:                               ;   in Loop: Header=BB23_43 Depth=2
	s_and_not1_saveexec_b32 s50, s50
	s_cbranch_execz .LBB23_47
; %bb.46:                               ;   in Loop: Header=BB23_43 Depth=2
	v_add_co_u32 v3, vcc_lo, s16, v3
	v_add_co_ci_u32_e32 v4, vcc_lo, s17, v4, vcc_lo
	s_or_b32 s10, s10, exec_lo
	global_load_b32 v3, v[3:4], off
	v_sub_nc_u32_e32 v4, v5, v24
	s_delay_alu instid0(VALU_DEP_1)
	v_lshlrev_b32_e32 v6, 2, v4
	ds_store_b8 v4, v23 offset:8192
	s_waitcnt vmcnt(0)
	v_mul_f32_e32 v3, v9, v3
	ds_add_f32 v6, v3
.LBB23_47:                              ;   in Loop: Header=BB23_43 Depth=2
	s_or_b32 exec_lo, exec_lo, s50
	s_delay_alu instid0(SALU_CYCLE_1)
	s_and_not1_b32 s49, s49, exec_lo
	s_and_b32 s50, s11, exec_lo
	s_mov_b32 s11, -1
	s_or_b32 s49, s49, s50
	s_and_saveexec_b32 s50, s10
	s_cbranch_execz .LBB23_42
; %bb.48:                               ;   in Loop: Header=BB23_43 Depth=2
	v_add_nc_u32_e32 v2, 0x200, v2
	s_and_not1_b32 s49, s49, exec_lo
	s_delay_alu instid0(VALU_DEP_1)
	v_cmp_le_i32_e32 vcc_lo, s46, v2
	s_or_not1_b32 s11, vcc_lo, exec_lo
	s_branch .LBB23_42
.LBB23_49:                              ;   in Loop: Header=BB23_13 Depth=1
	s_or_b32 exec_lo, exec_lo, s47
	s_and_saveexec_b32 s10, s48
	s_delay_alu instid0(SALU_CYCLE_1)
	s_xor_b32 s10, exec_lo, s10
; %bb.50:                               ;   in Loop: Header=BB23_13 Depth=1
	v_min_i32_e32 v26, v5, v26
; %bb.51:                               ;   in Loop: Header=BB23_13 Depth=1
	s_or_b32 exec_lo, exec_lo, s10
.LBB23_52:                              ;   in Loop: Header=BB23_13 Depth=1
	s_delay_alu instid0(SALU_CYCLE_1)
	s_or_b32 exec_lo, exec_lo, s12
.LBB23_53:                              ;   in Loop: Header=BB23_13 Depth=1
	ds_bpermute_b32 v2, v14, v26
	s_waitcnt lgkmcnt(0)
	v_min_i32_e32 v2, v2, v26
	ds_bpermute_b32 v3, v15, v2
	s_waitcnt lgkmcnt(0)
	v_min_i32_e32 v2, v3, v2
	;; [unrolled: 3-line block ×3, first 2 shown]
	ds_bpermute_b32 v3, v17, v2
	s_and_saveexec_b32 s10, s7
	s_cbranch_execz .LBB23_58
; %bb.54:                               ;   in Loop: Header=BB23_13 Depth=1
	s_waitcnt lgkmcnt(0)
	v_min_i32_e32 v2, v3, v2
	s_mov_b32 s12, exec_lo
	s_brev_b32 s11, -2
.LBB23_55:                              ;   Parent Loop BB23_13 Depth=1
                                        ; =>  This Inner Loop Header: Depth=2
	s_ctz_i32_b32 s46, s12
	s_delay_alu instid0(VALU_DEP_1) | instid1(SALU_CYCLE_1)
	v_readlane_b32 s47, v2, s46
	s_lshl_b32 s46, 1, s46
	s_delay_alu instid0(SALU_CYCLE_1) | instskip(NEXT) | instid1(VALU_DEP_1)
	s_and_not1_b32 s12, s12, s46
	s_min_i32 s11, s11, s47
	s_cmp_lg_u32 s12, 0
	s_cbranch_scc1 .LBB23_55
; %bb.56:                               ;   in Loop: Header=BB23_13 Depth=1
	v_mbcnt_lo_u32_b32 v2, exec_lo, 0
	s_mov_b32 s12, exec_lo
	s_delay_alu instid0(VALU_DEP_1)
	v_cmpx_eq_u32_e32 0, v2
	s_xor_b32 s12, exec_lo, s12
	s_cbranch_execz .LBB23_58
; %bb.57:                               ;   in Loop: Header=BB23_13 Depth=1
	v_mov_b32_e32 v2, s11
	ds_min_i32 v22, v2 offset:10240
.LBB23_58:                              ;   in Loop: Header=BB23_13 Depth=1
	s_or_b32 exec_lo, exec_lo, s10
	s_waitcnt lgkmcnt(0)
	v_dual_mov_b32 v3, v19 :: v_dual_add_nc_u32 v2, s30, v24
	v_mov_b32_e32 v4, v0
	s_mov_b32 s10, 0
	s_waitcnt_vscnt null, 0x0
	s_barrier
	buffer_gl0_inv
	s_branch .LBB23_60
.LBB23_59:                              ;   in Loop: Header=BB23_60 Depth=2
	s_or_b32 exec_lo, exec_lo, s11
	s_waitcnt lgkmcnt(0)
	s_waitcnt_vscnt null, 0x0
	s_barrier
	buffer_gl0_inv
	ds_load_b32 v5, v22 offset:28
	v_add_nc_u32_e32 v6, 0x200, v4
	v_cmp_lt_u32_e32 vcc_lo, 0x5ff, v4
	s_delay_alu instid0(VALU_DEP_2)
	v_dual_mov_b32 v4, v6 :: v_dual_add_nc_u32 v3, 0x800, v3
	s_or_b32 s10, vcc_lo, s10
	s_waitcnt lgkmcnt(0)
	v_add_nc_u32_e32 v21, v5, v21
	s_and_not1_b32 exec_lo, exec_lo, s10
	s_cbranch_execz .LBB23_12
.LBB23_60:                              ;   Parent Loop BB23_13 Depth=1
                                        ; =>  This Inner Loop Header: Depth=2
	ds_load_u8 v6, v4 offset:8192
	ds_load_b32 v5, v3
	s_waitcnt lgkmcnt(0)
	s_barrier
	buffer_gl0_inv
	v_cmp_ne_u16_e32 vcc_lo, 0, v6
	s_bcnt1_i32_b32 s11, vcc_lo
	s_delay_alu instid0(SALU_CYCLE_1)
	v_mov_b32_e32 v7, s11
	s_mov_b32 s11, exec_lo
	ds_store_b32 v13, v7
	s_waitcnt lgkmcnt(0)
	s_barrier
	buffer_gl0_inv
	ds_load_b128 v[24:27], v22
	ds_load_b96 v[28:30], v22 offset:16
	v_and_b32_e32 v7, vcc_lo, v1
	s_waitcnt lgkmcnt(1)
	v_cndmask_b32_e64 v24, v24, 0, s2
	v_cndmask_b32_e64 v25, v25, 0, s3
	;; [unrolled: 1-line block ×3, first 2 shown]
	s_delay_alu instid0(VALU_DEP_3) | instskip(SKIP_3) | instid1(VALU_DEP_3)
	v_bcnt_u32_b32 v7, v7, v24
	v_cndmask_b32_e64 v24, v27, 0, s5
	s_waitcnt lgkmcnt(0)
	v_cndmask_b32_e64 v27, v28, 0, s6
	v_add3_u32 v7, v7, v25, v26
	v_cndmask_b32_e64 v25, v29, 0, s8
	v_cndmask_b32_e64 v26, v30, 0, s9
	s_delay_alu instid0(VALU_DEP_3) | instskip(SKIP_1) | instid1(VALU_DEP_2)
	v_add3_u32 v7, v7, v24, v27
	v_and_b32_e32 v24, 1, v6
	v_add3_u32 v6, v7, v25, v26
	s_delay_alu instid0(VALU_DEP_2)
	v_cmpx_eq_u32_e32 1, v24
	s_cbranch_execz .LBB23_62
; %bb.61:                               ;   in Loop: Header=BB23_60 Depth=2
	s_delay_alu instid0(VALU_DEP_2) | instskip(SKIP_1) | instid1(VALU_DEP_2)
	v_add3_u32 v24, v21, v6, -1
	v_add_nc_u32_e32 v7, v2, v4
	v_ashrrev_i32_e32 v25, 31, v24
	s_delay_alu instid0(VALU_DEP_1) | instskip(NEXT) | instid1(VALU_DEP_1)
	v_lshlrev_b64 v[24:25], 2, v[24:25]
	v_add_co_u32 v26, vcc_lo, s36, v24
	s_delay_alu instid0(VALU_DEP_2)
	v_add_co_ci_u32_e32 v27, vcc_lo, s37, v25, vcc_lo
	v_add_co_u32 v24, vcc_lo, s38, v24
	v_add_co_ci_u32_e32 v25, vcc_lo, s39, v25, vcc_lo
	global_store_b32 v[26:27], v7, off
	global_store_b32 v[24:25], v5, off
.LBB23_62:                              ;   in Loop: Header=BB23_60 Depth=2
	s_or_b32 exec_lo, exec_lo, s11
	s_and_saveexec_b32 s11, s1
	s_cbranch_execz .LBB23_59
; %bb.63:                               ;   in Loop: Header=BB23_60 Depth=2
	ds_store_b32 v22, v6 offset:28
	s_branch .LBB23_59
.LBB23_64:
	s_endpgm
	.section	.rodata,"a",@progbits
	.p2align	6, 0x0
	.amdhsa_kernel _ZN9rocsparseL36csrgemm_fill_block_per_row_multipassILj512ELj16ELj2048ELj64EiifEEvT4_PKS1_S3_NS_24const_host_device_scalarIT5_EEPKT3_S3_PKS5_S9_S3_SB_S6_S9_S3_SB_S9_PS1_PS5_PS7_21rocsparse_index_base_SF_SF_SF_bbb
		.amdhsa_group_segment_fixed_size 10244
		.amdhsa_private_segment_fixed_size 0
		.amdhsa_kernarg_size 164
		.amdhsa_user_sgpr_count 15
		.amdhsa_user_sgpr_dispatch_ptr 0
		.amdhsa_user_sgpr_queue_ptr 0
		.amdhsa_user_sgpr_kernarg_segment_ptr 1
		.amdhsa_user_sgpr_dispatch_id 0
		.amdhsa_user_sgpr_private_segment_size 0
		.amdhsa_wavefront_size32 1
		.amdhsa_uses_dynamic_stack 0
		.amdhsa_enable_private_segment 0
		.amdhsa_system_sgpr_workgroup_id_x 1
		.amdhsa_system_sgpr_workgroup_id_y 0
		.amdhsa_system_sgpr_workgroup_id_z 0
		.amdhsa_system_sgpr_workgroup_info 0
		.amdhsa_system_vgpr_workitem_id 0
		.amdhsa_next_free_vgpr 32
		.amdhsa_next_free_sgpr 54
		.amdhsa_reserve_vcc 1
		.amdhsa_float_round_mode_32 0
		.amdhsa_float_round_mode_16_64 0
		.amdhsa_float_denorm_mode_32 3
		.amdhsa_float_denorm_mode_16_64 3
		.amdhsa_dx10_clamp 1
		.amdhsa_ieee_mode 1
		.amdhsa_fp16_overflow 0
		.amdhsa_workgroup_processor_mode 1
		.amdhsa_memory_ordered 1
		.amdhsa_forward_progress 0
		.amdhsa_shared_vgpr_count 0
		.amdhsa_exception_fp_ieee_invalid_op 0
		.amdhsa_exception_fp_denorm_src 0
		.amdhsa_exception_fp_ieee_div_zero 0
		.amdhsa_exception_fp_ieee_overflow 0
		.amdhsa_exception_fp_ieee_underflow 0
		.amdhsa_exception_fp_ieee_inexact 0
		.amdhsa_exception_int_div_zero 0
	.end_amdhsa_kernel
	.section	.text._ZN9rocsparseL36csrgemm_fill_block_per_row_multipassILj512ELj16ELj2048ELj64EiifEEvT4_PKS1_S3_NS_24const_host_device_scalarIT5_EEPKT3_S3_PKS5_S9_S3_SB_S6_S9_S3_SB_S9_PS1_PS5_PS7_21rocsparse_index_base_SF_SF_SF_bbb,"axG",@progbits,_ZN9rocsparseL36csrgemm_fill_block_per_row_multipassILj512ELj16ELj2048ELj64EiifEEvT4_PKS1_S3_NS_24const_host_device_scalarIT5_EEPKT3_S3_PKS5_S9_S3_SB_S6_S9_S3_SB_S9_PS1_PS5_PS7_21rocsparse_index_base_SF_SF_SF_bbb,comdat
.Lfunc_end23:
	.size	_ZN9rocsparseL36csrgemm_fill_block_per_row_multipassILj512ELj16ELj2048ELj64EiifEEvT4_PKS1_S3_NS_24const_host_device_scalarIT5_EEPKT3_S3_PKS5_S9_S3_SB_S6_S9_S3_SB_S9_PS1_PS5_PS7_21rocsparse_index_base_SF_SF_SF_bbb, .Lfunc_end23-_ZN9rocsparseL36csrgemm_fill_block_per_row_multipassILj512ELj16ELj2048ELj64EiifEEvT4_PKS1_S3_NS_24const_host_device_scalarIT5_EEPKT3_S3_PKS5_S9_S3_SB_S6_S9_S3_SB_S9_PS1_PS5_PS7_21rocsparse_index_base_SF_SF_SF_bbb
                                        ; -- End function
	.section	.AMDGPU.csdata,"",@progbits
; Kernel info:
; codeLenInByte = 2620
; NumSgprs: 56
; NumVgprs: 32
; ScratchSize: 0
; MemoryBound: 0
; FloatMode: 240
; IeeeMode: 1
; LDSByteSize: 10244 bytes/workgroup (compile time only)
; SGPRBlocks: 6
; VGPRBlocks: 3
; NumSGPRsForWavesPerEU: 56
; NumVGPRsForWavesPerEU: 32
; Occupancy: 16
; WaveLimiterHint : 1
; COMPUTE_PGM_RSRC2:SCRATCH_EN: 0
; COMPUTE_PGM_RSRC2:USER_SGPR: 15
; COMPUTE_PGM_RSRC2:TRAP_HANDLER: 0
; COMPUTE_PGM_RSRC2:TGID_X_EN: 1
; COMPUTE_PGM_RSRC2:TGID_Y_EN: 0
; COMPUTE_PGM_RSRC2:TGID_Z_EN: 0
; COMPUTE_PGM_RSRC2:TIDIG_COMP_CNT: 0
	.section	.text._ZN9rocsparseL26csrgemm_group_reduce_part2ILj256ELj11EdiiEEvT3_PKT2_PS1_Pij,"axG",@progbits,_ZN9rocsparseL26csrgemm_group_reduce_part2ILj256ELj11EdiiEEvT3_PKT2_PS1_Pij,comdat
	.globl	_ZN9rocsparseL26csrgemm_group_reduce_part2ILj256ELj11EdiiEEvT3_PKT2_PS1_Pij ; -- Begin function _ZN9rocsparseL26csrgemm_group_reduce_part2ILj256ELj11EdiiEEvT3_PKT2_PS1_Pij
	.p2align	8
	.type	_ZN9rocsparseL26csrgemm_group_reduce_part2ILj256ELj11EdiiEEvT3_PKT2_PS1_Pij,@function
_ZN9rocsparseL26csrgemm_group_reduce_part2ILj256ELj11EdiiEEvT3_PKT2_PS1_Pij: ; @_ZN9rocsparseL26csrgemm_group_reduce_part2ILj256ELj11EdiiEEvT3_PKT2_PS1_Pij
; %bb.0:
	s_clause 0x1
	s_load_b32 s8, s[0:1], 0x0
	s_load_b64 s[2:3], s[0:1], 0x10
	v_mul_u32_u24_e32 v2, 11, v0
	v_mov_b32_e32 v5, 0
	v_lshl_or_b32 v1, s15, 8, v0
	s_mov_b32 s9, 0
	s_mov_b32 s10, exec_lo
	v_lshlrev_b32_e32 v4, 2, v2
	ds_store_2addr_b32 v4, v5, v5 offset1:1
	ds_store_2addr_b32 v4, v5, v5 offset0:2 offset1:3
	ds_store_2addr_b32 v4, v5, v5 offset0:4 offset1:5
	;; [unrolled: 1-line block ×4, first 2 shown]
	ds_store_b32 v4, v5 offset:40
	s_waitcnt lgkmcnt(0)
	buffer_gl0_inv
	v_cmpx_gt_i32_e64 s8, v1
	s_cbranch_execz .LBB24_43
; %bb.1:
	s_clause 0x3
	s_load_b32 s11, s[0:1], 0x20
	s_load_b32 s12, s[0:1], 0x28
	s_load_b64 s[4:5], s[0:1], 0x8
	s_load_b64 s[6:7], s[0:1], 0x18
	v_dual_mov_b32 v6, 6 :: v_dual_mov_b32 v7, 7
	v_dual_mov_b32 v8, 8 :: v_dual_mov_b32 v9, 9
	;; [unrolled: 1-line block ×5, first 2 shown]
	s_waitcnt lgkmcnt(0)
	s_cmpk_lt_u32 s11, 0xc084
	s_cselect_b32 s0, -1, 0
	s_cmp_lt_u32 s11, 0x18084
	s_cselect_b32 s13, -1, 0
	s_cmp_lt_u32 s11, 0x30084
	;; [unrolled: 2-line block ×3, first 2 shown]
	s_cselect_b32 s16, -1, 0
	s_lshl_b32 s1, s12, 8
	s_xor_b32 s11, s0, -1
	s_xor_b32 s12, s13, -1
	;; [unrolled: 1-line block ×4, first 2 shown]
	s_branch .LBB24_3
.LBB24_2:                               ;   in Loop: Header=BB24_3 Depth=1
	s_or_b32 exec_lo, exec_lo, s0
	v_add_nc_u32_e32 v1, s1, v1
	s_delay_alu instid0(VALU_DEP_1) | instskip(SKIP_1) | instid1(SALU_CYCLE_1)
	v_cmp_le_i32_e32 vcc_lo, s8, v1
	s_or_b32 s9, vcc_lo, s9
	s_and_not1_b32 exec_lo, exec_lo, s9
	s_cbranch_execz .LBB24_43
.LBB24_3:                               ; =>This Inner Loop Header: Depth=1
	v_ashrrev_i32_e32 v2, 31, v1
	s_mov_b32 s0, exec_lo
	s_delay_alu instid0(VALU_DEP_1) | instskip(NEXT) | instid1(VALU_DEP_1)
	v_lshlrev_b64 v[2:3], 2, v[1:2]
	v_add_co_u32 v16, vcc_lo, s4, v2
	s_delay_alu instid0(VALU_DEP_2) | instskip(SKIP_3) | instid1(VALU_DEP_1)
	v_add_co_ci_u32_e32 v17, vcc_lo, s5, v3, vcc_lo
	global_load_b64 v[16:17], v[16:17], off
	s_waitcnt vmcnt(0)
	v_sub_nc_u32_e32 v16, v17, v16
	v_cmpx_lt_i32_e32 16, v16
	s_xor_b32 s16, exec_lo, s0
	s_cbranch_execz .LBB24_41
; %bb.4:                                ;   in Loop: Header=BB24_3 Depth=1
	s_mov_b32 s0, exec_lo
	v_cmpx_lt_u32_e32 32, v16
	s_xor_b32 s17, exec_lo, s0
	s_cbranch_execz .LBB24_38
; %bb.5:                                ;   in Loop: Header=BB24_3 Depth=1
	s_mov_b32 s0, exec_lo
	v_cmpx_lt_u32_e32 0x100, v16
	;; [unrolled: 5-line block ×5, first 2 shown]
	s_xor_b32 s21, exec_lo, s0
	s_cbranch_execz .LBB24_26
; %bb.9:                                ;   in Loop: Header=BB24_3 Depth=1
	v_cmp_gt_u32_e32 vcc_lo, 0x1001, v16
	s_and_b32 s0, s11, vcc_lo
	s_delay_alu instid0(SALU_CYCLE_1) | instskip(NEXT) | instid1(SALU_CYCLE_1)
	s_and_saveexec_b32 s22, s0
	s_xor_b32 s0, exec_lo, s22
	s_cbranch_execz .LBB24_11
; %bb.10:                               ;   in Loop: Header=BB24_3 Depth=1
	ds_load_b32 v16, v4 offset:24
	v_add_co_u32 v2, vcc_lo, s6, v2
	v_add_co_ci_u32_e32 v3, vcc_lo, s7, v3, vcc_lo
	global_store_b32 v[2:3], v6, off
                                        ; implicit-def: $vgpr2_vgpr3
	s_waitcnt lgkmcnt(0)
	v_add_nc_u32_e32 v16, 1, v16
	ds_store_b32 v4, v16 offset:24
                                        ; implicit-def: $vgpr16
.LBB24_11:                              ;   in Loop: Header=BB24_3 Depth=1
	s_and_not1_saveexec_b32 s22, s0
	s_cbranch_execz .LBB24_25
; %bb.12:                               ;   in Loop: Header=BB24_3 Depth=1
	v_cmp_gt_u32_e32 vcc_lo, 0x2001, v16
	s_and_b32 s0, s12, vcc_lo
	s_delay_alu instid0(SALU_CYCLE_1) | instskip(NEXT) | instid1(SALU_CYCLE_1)
	s_and_saveexec_b32 s23, s0
	s_xor_b32 s0, exec_lo, s23
	s_cbranch_execz .LBB24_14
; %bb.13:                               ;   in Loop: Header=BB24_3 Depth=1
	ds_load_b32 v16, v4 offset:28
	v_add_co_u32 v2, vcc_lo, s6, v2
	v_add_co_ci_u32_e32 v3, vcc_lo, s7, v3, vcc_lo
	global_store_b32 v[2:3], v7, off
                                        ; implicit-def: $vgpr2_vgpr3
	s_waitcnt lgkmcnt(0)
	v_add_nc_u32_e32 v16, 1, v16
	ds_store_b32 v4, v16 offset:28
                                        ; implicit-def: $vgpr16
.LBB24_14:                              ;   in Loop: Header=BB24_3 Depth=1
	s_and_not1_saveexec_b32 s23, s0
	s_cbranch_execz .LBB24_24
; %bb.15:                               ;   in Loop: Header=BB24_3 Depth=1
	;; [unrolled: 20-line block ×3, first 2 shown]
	v_cmp_gt_u32_e32 vcc_lo, 0x8001, v16
	v_add_co_u32 v2, s0, s6, v2
	s_delay_alu instid0(VALU_DEP_1) | instskip(SKIP_1) | instid1(SALU_CYCLE_1)
	v_add_co_ci_u32_e64 v3, s0, s7, v3, s0
	s_and_b32 s0, s14, vcc_lo
	s_and_saveexec_b32 s25, s0
	s_delay_alu instid0(SALU_CYCLE_1)
	s_xor_b32 s0, exec_lo, s25
	s_cbranch_execz .LBB24_20
; %bb.19:                               ;   in Loop: Header=BB24_3 Depth=1
	ds_load_b32 v16, v4 offset:36
	global_store_b32 v[2:3], v9, off
                                        ; implicit-def: $vgpr2_vgpr3
	s_waitcnt lgkmcnt(0)
	v_add_nc_u32_e32 v16, 1, v16
	ds_store_b32 v4, v16 offset:36
.LBB24_20:                              ;   in Loop: Header=BB24_3 Depth=1
	s_and_not1_saveexec_b32 s0, s0
	s_cbranch_execz .LBB24_22
; %bb.21:                               ;   in Loop: Header=BB24_3 Depth=1
	ds_load_b32 v16, v4 offset:40
	global_store_b32 v[2:3], v10, off
	s_waitcnt lgkmcnt(0)
	v_add_nc_u32_e32 v16, 1, v16
	ds_store_b32 v4, v16 offset:40
.LBB24_22:                              ;   in Loop: Header=BB24_3 Depth=1
	s_or_b32 exec_lo, exec_lo, s0
.LBB24_23:                              ;   in Loop: Header=BB24_3 Depth=1
	s_delay_alu instid0(SALU_CYCLE_1)
	s_or_b32 exec_lo, exec_lo, s24
.LBB24_24:                              ;   in Loop: Header=BB24_3 Depth=1
	s_delay_alu instid0(SALU_CYCLE_1)
	s_or_b32 exec_lo, exec_lo, s23
.LBB24_25:                              ;   in Loop: Header=BB24_3 Depth=1
	s_delay_alu instid0(SALU_CYCLE_1)
	s_or_b32 exec_lo, exec_lo, s22
                                        ; implicit-def: $vgpr2_vgpr3
.LBB24_26:                              ;   in Loop: Header=BB24_3 Depth=1
	s_and_not1_saveexec_b32 s0, s21
	s_cbranch_execz .LBB24_28
; %bb.27:                               ;   in Loop: Header=BB24_3 Depth=1
	ds_load_b32 v16, v4 offset:20
	v_add_co_u32 v2, vcc_lo, s6, v2
	v_add_co_ci_u32_e32 v3, vcc_lo, s7, v3, vcc_lo
	global_store_b32 v[2:3], v11, off
	s_waitcnt lgkmcnt(0)
	v_add_nc_u32_e32 v16, 1, v16
	ds_store_b32 v4, v16 offset:20
.LBB24_28:                              ;   in Loop: Header=BB24_3 Depth=1
	s_or_b32 exec_lo, exec_lo, s0
                                        ; implicit-def: $vgpr2_vgpr3
.LBB24_29:                              ;   in Loop: Header=BB24_3 Depth=1
	s_and_not1_saveexec_b32 s0, s20
	s_cbranch_execz .LBB24_31
; %bb.30:                               ;   in Loop: Header=BB24_3 Depth=1
	ds_load_b32 v16, v4 offset:16
	v_add_co_u32 v2, vcc_lo, s6, v2
	v_add_co_ci_u32_e32 v3, vcc_lo, s7, v3, vcc_lo
	global_store_b32 v[2:3], v12, off
	s_waitcnt lgkmcnt(0)
	v_add_nc_u32_e32 v16, 1, v16
	ds_store_b32 v4, v16 offset:16
.LBB24_31:                              ;   in Loop: Header=BB24_3 Depth=1
	s_or_b32 exec_lo, exec_lo, s0
                                        ; implicit-def: $vgpr2_vgpr3
.LBB24_32:                              ;   in Loop: Header=BB24_3 Depth=1
	s_and_not1_saveexec_b32 s0, s19
	s_cbranch_execz .LBB24_34
; %bb.33:                               ;   in Loop: Header=BB24_3 Depth=1
	ds_load_b32 v16, v4 offset:12
	v_add_co_u32 v2, vcc_lo, s6, v2
	v_add_co_ci_u32_e32 v3, vcc_lo, s7, v3, vcc_lo
	global_store_b32 v[2:3], v13, off
	s_waitcnt lgkmcnt(0)
	v_add_nc_u32_e32 v16, 1, v16
	ds_store_b32 v4, v16 offset:12
.LBB24_34:                              ;   in Loop: Header=BB24_3 Depth=1
	s_or_b32 exec_lo, exec_lo, s0
                                        ; implicit-def: $vgpr2_vgpr3
.LBB24_35:                              ;   in Loop: Header=BB24_3 Depth=1
	s_and_not1_saveexec_b32 s0, s18
	s_cbranch_execz .LBB24_37
; %bb.36:                               ;   in Loop: Header=BB24_3 Depth=1
	ds_load_b32 v16, v4 offset:8
	v_add_co_u32 v2, vcc_lo, s6, v2
	v_add_co_ci_u32_e32 v3, vcc_lo, s7, v3, vcc_lo
	global_store_b32 v[2:3], v14, off
	s_waitcnt lgkmcnt(0)
	v_add_nc_u32_e32 v16, 1, v16
	ds_store_b32 v4, v16 offset:8
.LBB24_37:                              ;   in Loop: Header=BB24_3 Depth=1
	s_or_b32 exec_lo, exec_lo, s0
                                        ; implicit-def: $vgpr2_vgpr3
.LBB24_38:                              ;   in Loop: Header=BB24_3 Depth=1
	s_and_not1_saveexec_b32 s0, s17
	s_cbranch_execz .LBB24_40
; %bb.39:                               ;   in Loop: Header=BB24_3 Depth=1
	ds_load_b32 v16, v4 offset:4
	v_add_co_u32 v2, vcc_lo, s6, v2
	v_add_co_ci_u32_e32 v3, vcc_lo, s7, v3, vcc_lo
	global_store_b32 v[2:3], v15, off
	s_waitcnt lgkmcnt(0)
	v_add_nc_u32_e32 v16, 1, v16
	ds_store_b32 v4, v16 offset:4
.LBB24_40:                              ;   in Loop: Header=BB24_3 Depth=1
	s_or_b32 exec_lo, exec_lo, s0
                                        ; implicit-def: $vgpr2_vgpr3
.LBB24_41:                              ;   in Loop: Header=BB24_3 Depth=1
	s_and_not1_saveexec_b32 s0, s16
	s_cbranch_execz .LBB24_2
; %bb.42:                               ;   in Loop: Header=BB24_3 Depth=1
	ds_load_b32 v16, v4
	v_add_co_u32 v2, vcc_lo, s6, v2
	v_add_co_ci_u32_e32 v3, vcc_lo, s7, v3, vcc_lo
	global_store_b32 v[2:3], v5, off
	s_waitcnt lgkmcnt(0)
	v_add_nc_u32_e32 v16, 1, v16
	ds_store_b32 v4, v16
	s_branch .LBB24_2
.LBB24_43:
	s_or_b32 exec_lo, exec_lo, s10
	s_delay_alu instid0(SALU_CYCLE_1)
	s_mov_b32 s0, exec_lo
	s_waitcnt lgkmcnt(0)
	s_waitcnt_vscnt null, 0x0
	s_barrier
	buffer_gl0_inv
	s_barrier
	buffer_gl0_inv
	;; [unrolled: 2-line block ×3, first 2 shown]
	v_cmpx_gt_u32_e32 0x80, v0
	s_cbranch_execz .LBB24_45
; %bb.44:
	v_add_nc_u32_e32 v1, 0x1600, v4
	v_add_nc_u32_e32 v3, 0x1608, v4
	;; [unrolled: 1-line block ×5, first 2 shown]
	ds_load_2addr_b32 v[1:2], v1 offset1:1
	ds_load_2addr_b32 v[5:6], v3 offset1:1
	;; [unrolled: 1-line block ×3, first 2 shown]
	v_add_nc_u32_e32 v3, 0x1618, v4
	ds_load_2addr_b32 v[9:10], v4 offset1:1
	ds_load_2addr_b32 v[11:12], v4 offset0:2 offset1:3
	ds_load_2addr_b32 v[13:14], v4 offset0:4 offset1:5
	;; [unrolled: 1-line block ×3, first 2 shown]
	ds_load_2addr_b32 v[17:18], v3 offset1:1
	ds_load_2addr_b32 v[19:20], v19 offset1:1
	ds_load_2addr_b32 v[21:22], v4 offset0:8 offset1:9
	ds_load_2addr_stride64_b32 v[23:24], v23 offset1:22
	s_waitcnt lgkmcnt(6)
	v_add_nc_u32_e32 v3, v11, v5
	v_add_nc_u32_e32 v1, v9, v1
	;; [unrolled: 1-line block ×4, first 2 shown]
	s_waitcnt lgkmcnt(5)
	v_add_nc_u32_e32 v6, v13, v7
	v_add_nc_u32_e32 v7, v14, v8
	s_waitcnt lgkmcnt(3)
	v_add_nc_u32_e32 v8, v15, v17
	v_add_nc_u32_e32 v9, v16, v18
	;; [unrolled: 3-line block ×3, first 2 shown]
	s_waitcnt lgkmcnt(0)
	v_add_nc_u32_e32 v12, v23, v24
	ds_store_2addr_b32 v4, v1, v2 offset1:1
	ds_store_2addr_b32 v4, v3, v5 offset0:2 offset1:3
	ds_store_2addr_b32 v4, v6, v7 offset0:4 offset1:5
	;; [unrolled: 1-line block ×4, first 2 shown]
	ds_store_b32 v4, v12 offset:40
.LBB24_45:
	s_or_b32 exec_lo, exec_lo, s0
	s_delay_alu instid0(SALU_CYCLE_1)
	s_mov_b32 s0, exec_lo
	s_waitcnt lgkmcnt(0)
	s_barrier
	buffer_gl0_inv
	v_cmpx_gt_u32_e32 64, v0
	s_cbranch_execz .LBB24_47
; %bb.46:
	v_add_nc_u32_e32 v1, 0xb00, v4
	v_add_nc_u32_e32 v3, 0xb08, v4
	;; [unrolled: 1-line block ×5, first 2 shown]
	ds_load_2addr_b32 v[1:2], v1 offset1:1
	ds_load_2addr_b32 v[5:6], v3 offset1:1
	;; [unrolled: 1-line block ×3, first 2 shown]
	v_add_nc_u32_e32 v3, 0xb18, v4
	ds_load_2addr_b32 v[9:10], v4 offset1:1
	ds_load_2addr_b32 v[11:12], v4 offset0:2 offset1:3
	ds_load_2addr_b32 v[13:14], v4 offset0:4 offset1:5
	;; [unrolled: 1-line block ×3, first 2 shown]
	ds_load_2addr_b32 v[17:18], v3 offset1:1
	ds_load_2addr_b32 v[19:20], v19 offset1:1
	ds_load_2addr_b32 v[21:22], v4 offset0:8 offset1:9
	ds_load_2addr_stride64_b32 v[23:24], v23 offset1:11
	s_waitcnt lgkmcnt(6)
	v_add_nc_u32_e32 v3, v11, v5
	v_add_nc_u32_e32 v1, v9, v1
	;; [unrolled: 1-line block ×4, first 2 shown]
	s_waitcnt lgkmcnt(5)
	v_add_nc_u32_e32 v6, v13, v7
	v_add_nc_u32_e32 v7, v14, v8
	s_waitcnt lgkmcnt(3)
	v_add_nc_u32_e32 v8, v15, v17
	v_add_nc_u32_e32 v9, v16, v18
	;; [unrolled: 3-line block ×3, first 2 shown]
	s_waitcnt lgkmcnt(0)
	v_add_nc_u32_e32 v12, v23, v24
	ds_store_2addr_b32 v4, v1, v2 offset1:1
	ds_store_2addr_b32 v4, v3, v5 offset0:2 offset1:3
	ds_store_2addr_b32 v4, v6, v7 offset0:4 offset1:5
	;; [unrolled: 1-line block ×4, first 2 shown]
	ds_store_b32 v4, v12 offset:40
.LBB24_47:
	s_or_b32 exec_lo, exec_lo, s0
	s_delay_alu instid0(SALU_CYCLE_1)
	s_mov_b32 s0, exec_lo
	s_waitcnt lgkmcnt(0)
	s_barrier
	buffer_gl0_inv
	v_cmpx_gt_u32_e32 32, v0
	s_cbranch_execz .LBB24_49
; %bb.48:
	v_add_nc_u32_e32 v3, 0x580, v4
	v_add_nc_u32_e32 v9, 0x588, v4
	ds_load_2addr_b32 v[1:2], v4 offset1:1
	ds_load_2addr_b32 v[5:6], v4 offset0:2 offset1:3
	v_add_nc_u32_e32 v11, 0x590, v4
	v_add_nc_u32_e32 v19, 0x5a0, v4
	ds_load_2addr_b32 v[7:8], v3 offset1:1
	v_add_nc_u32_e32 v3, 0x598, v4
	ds_load_2addr_b32 v[9:10], v9 offset1:1
	ds_load_2addr_b32 v[11:12], v11 offset1:1
	ds_load_2addr_b32 v[13:14], v4 offset0:4 offset1:5
	ds_load_2addr_b32 v[15:16], v4 offset0:6 offset1:7
	ds_load_2addr_b32 v[17:18], v3 offset1:1
	ds_load_2addr_b32 v[19:20], v19 offset1:1
	ds_load_2addr_b32 v[21:22], v4 offset0:8 offset1:9
	ds_load_b32 v3, v4 offset:1448
	ds_load_b32 v23, v4 offset:40
	s_waitcnt lgkmcnt(8)
	v_add_nc_u32_e32 v5, v5, v9
	v_add_nc_u32_e32 v6, v6, v10
	s_waitcnt lgkmcnt(4)
	v_add_nc_u32_e32 v9, v15, v17
	v_add_nc_u32_e32 v1, v1, v7
	;; [unrolled: 1-line block ×6, first 2 shown]
	s_waitcnt lgkmcnt(2)
	v_add_nc_u32_e32 v11, v21, v19
	v_add_nc_u32_e32 v12, v22, v20
	s_waitcnt lgkmcnt(0)
	v_add_nc_u32_e32 v3, v23, v3
	ds_store_2addr_b32 v4, v1, v2 offset1:1
	ds_store_2addr_b32 v4, v5, v6 offset0:2 offset1:3
	ds_store_2addr_b32 v4, v7, v8 offset0:4 offset1:5
	;; [unrolled: 1-line block ×4, first 2 shown]
	ds_store_b32 v4, v3 offset:40
.LBB24_49:
	s_or_b32 exec_lo, exec_lo, s0
	s_delay_alu instid0(SALU_CYCLE_1)
	s_mov_b32 s0, exec_lo
	s_waitcnt lgkmcnt(0)
	s_barrier
	buffer_gl0_inv
	v_cmpx_gt_u32_e32 16, v0
	s_cbranch_execz .LBB24_51
; %bb.50:
	ds_load_2addr_b32 v[1:2], v4 offset0:176 offset1:177
	ds_load_2addr_b32 v[5:6], v4 offset1:1
	ds_load_2addr_b32 v[7:8], v4 offset0:2 offset1:3
	ds_load_2addr_b32 v[9:10], v4 offset0:178 offset1:179
	ds_load_2addr_b32 v[11:12], v4 offset0:180 offset1:181
	ds_load_2addr_b32 v[13:14], v4 offset0:4 offset1:5
	ds_load_2addr_b32 v[15:16], v4 offset0:6 offset1:7
	ds_load_2addr_b32 v[17:18], v4 offset0:182 offset1:183
	ds_load_2addr_b32 v[19:20], v4 offset0:184 offset1:185
	ds_load_2addr_b32 v[21:22], v4 offset0:8 offset1:9
	ds_load_2addr_b32 v[23:24], v4 offset0:10 offset1:186
	s_waitcnt lgkmcnt(9)
	v_add_nc_u32_e32 v1, v5, v1
	v_add_nc_u32_e32 v2, v6, v2
	s_waitcnt lgkmcnt(7)
	v_add_nc_u32_e32 v3, v7, v9
	v_add_nc_u32_e32 v5, v8, v10
	s_waitcnt lgkmcnt(5)
	v_add_nc_u32_e32 v6, v13, v11
	v_add_nc_u32_e32 v7, v14, v12
	s_waitcnt lgkmcnt(3)
	v_add_nc_u32_e32 v8, v15, v17
	v_add_nc_u32_e32 v9, v16, v18
	s_waitcnt lgkmcnt(1)
	v_add_nc_u32_e32 v10, v21, v19
	v_add_nc_u32_e32 v11, v22, v20
	s_waitcnt lgkmcnt(0)
	v_add_nc_u32_e32 v12, v23, v24
	ds_store_2addr_b32 v4, v1, v2 offset1:1
	ds_store_2addr_b32 v4, v3, v5 offset0:2 offset1:3
	ds_store_2addr_b32 v4, v6, v7 offset0:4 offset1:5
	ds_store_2addr_b32 v4, v8, v9 offset0:6 offset1:7
	ds_store_2addr_b32 v4, v10, v11 offset0:8 offset1:9
	ds_store_b32 v4, v12 offset:40
.LBB24_51:
	s_or_b32 exec_lo, exec_lo, s0
	s_delay_alu instid0(SALU_CYCLE_1)
	s_mov_b32 s0, exec_lo
	s_waitcnt lgkmcnt(0)
	s_barrier
	buffer_gl0_inv
	v_cmpx_gt_u32_e32 8, v0
	s_cbranch_execz .LBB24_53
; %bb.52:
	ds_load_2addr_b32 v[1:2], v4 offset0:88 offset1:89
	ds_load_2addr_b32 v[5:6], v4 offset1:1
	ds_load_2addr_b32 v[7:8], v4 offset0:2 offset1:3
	ds_load_2addr_b32 v[9:10], v4 offset0:90 offset1:91
	ds_load_2addr_b32 v[11:12], v4 offset0:92 offset1:93
	ds_load_2addr_b32 v[13:14], v4 offset0:4 offset1:5
	ds_load_2addr_b32 v[15:16], v4 offset0:6 offset1:7
	ds_load_2addr_b32 v[17:18], v4 offset0:94 offset1:95
	ds_load_2addr_b32 v[19:20], v4 offset0:96 offset1:97
	ds_load_2addr_b32 v[21:22], v4 offset0:8 offset1:9
	ds_load_2addr_b32 v[23:24], v4 offset0:10 offset1:98
	s_waitcnt lgkmcnt(9)
	v_add_nc_u32_e32 v1, v5, v1
	v_add_nc_u32_e32 v2, v6, v2
	s_waitcnt lgkmcnt(7)
	v_add_nc_u32_e32 v3, v7, v9
	v_add_nc_u32_e32 v5, v8, v10
	s_waitcnt lgkmcnt(5)
	v_add_nc_u32_e32 v6, v13, v11
	v_add_nc_u32_e32 v7, v14, v12
	s_waitcnt lgkmcnt(3)
	v_add_nc_u32_e32 v8, v15, v17
	v_add_nc_u32_e32 v9, v16, v18
	s_waitcnt lgkmcnt(1)
	v_add_nc_u32_e32 v10, v21, v19
	v_add_nc_u32_e32 v11, v22, v20
	s_waitcnt lgkmcnt(0)
	v_add_nc_u32_e32 v12, v23, v24
	ds_store_2addr_b32 v4, v1, v2 offset1:1
	ds_store_2addr_b32 v4, v3, v5 offset0:2 offset1:3
	ds_store_2addr_b32 v4, v6, v7 offset0:4 offset1:5
	ds_store_2addr_b32 v4, v8, v9 offset0:6 offset1:7
	ds_store_2addr_b32 v4, v10, v11 offset0:8 offset1:9
	ds_store_b32 v4, v12 offset:40
.LBB24_53:
	;; [unrolled: 44-line block ×4, first 2 shown]
	s_or_b32 exec_lo, exec_lo, s0
	s_delay_alu instid0(SALU_CYCLE_1)
	s_mov_b32 s0, exec_lo
	s_waitcnt lgkmcnt(0)
	s_barrier
	buffer_gl0_inv
	v_cmpx_eq_u32_e32 0, v0
	s_cbranch_execz .LBB24_59
; %bb.58:
	v_mov_b32_e32 v23, 0
	ds_load_b128 v[1:4], v23
	ds_load_b128 v[5:8], v23 offset:32
	ds_load_b128 v[9:12], v23 offset:48
	;; [unrolled: 1-line block ×4, first 2 shown]
	ds_load_b64 v[21:22], v23 offset:80
	s_waitcnt lgkmcnt(4)
	v_add_nc_u32_e32 v1, v1, v8
	s_waitcnt lgkmcnt(3)
	v_add_nc_u32_e32 v2, v2, v9
	v_add_nc_u32_e32 v3, v3, v10
	v_add_nc_u32_e32 v4, v4, v11
	s_waitcnt lgkmcnt(2)
	v_add_nc_u32_e32 v8, v13, v12
	s_waitcnt lgkmcnt(1)
	v_add_nc_u32_e32 v9, v14, v17
	v_add_nc_u32_e32 v10, v15, v18
	;; [unrolled: 1-line block ×4, first 2 shown]
	s_waitcnt lgkmcnt(0)
	v_add_nc_u32_e32 v6, v6, v21
	v_add_nc_u32_e32 v7, v7, v22
	ds_store_b128 v23, v[1:4]
	ds_store_b128 v23, v[8:11] offset:16
	ds_store_b96 v23, v[5:7] offset:32
.LBB24_59:
	s_or_b32 exec_lo, exec_lo, s0
	s_waitcnt lgkmcnt(0)
	s_barrier
	buffer_gl0_inv
	s_mov_b32 s0, exec_lo
	v_cmpx_gt_u32_e32 11, v0
	s_cbranch_execz .LBB24_61
; %bb.60:
	v_lshlrev_b32_e32 v3, 2, v0
	v_mad_u64_u32 v[1:2], null, s15, 11, v[0:1]
	v_mov_b32_e32 v2, 0
	ds_load_b32 v3, v3
	v_lshlrev_b64 v[0:1], 2, v[1:2]
	s_delay_alu instid0(VALU_DEP_1) | instskip(NEXT) | instid1(VALU_DEP_2)
	v_add_co_u32 v0, vcc_lo, s2, v0
	v_add_co_ci_u32_e32 v1, vcc_lo, s3, v1, vcc_lo
	s_waitcnt lgkmcnt(0)
	global_store_b32 v[0:1], v3, off
.LBB24_61:
	s_nop 0
	s_sendmsg sendmsg(MSG_DEALLOC_VGPRS)
	s_endpgm
	.section	.rodata,"a",@progbits
	.p2align	6, 0x0
	.amdhsa_kernel _ZN9rocsparseL26csrgemm_group_reduce_part2ILj256ELj11EdiiEEvT3_PKT2_PS1_Pij
		.amdhsa_group_segment_fixed_size 11264
		.amdhsa_private_segment_fixed_size 0
		.amdhsa_kernarg_size 296
		.amdhsa_user_sgpr_count 15
		.amdhsa_user_sgpr_dispatch_ptr 0
		.amdhsa_user_sgpr_queue_ptr 0
		.amdhsa_user_sgpr_kernarg_segment_ptr 1
		.amdhsa_user_sgpr_dispatch_id 0
		.amdhsa_user_sgpr_private_segment_size 0
		.amdhsa_wavefront_size32 1
		.amdhsa_uses_dynamic_stack 0
		.amdhsa_enable_private_segment 0
		.amdhsa_system_sgpr_workgroup_id_x 1
		.amdhsa_system_sgpr_workgroup_id_y 0
		.amdhsa_system_sgpr_workgroup_id_z 0
		.amdhsa_system_sgpr_workgroup_info 0
		.amdhsa_system_vgpr_workitem_id 0
		.amdhsa_next_free_vgpr 25
		.amdhsa_next_free_sgpr 26
		.amdhsa_reserve_vcc 1
		.amdhsa_float_round_mode_32 0
		.amdhsa_float_round_mode_16_64 0
		.amdhsa_float_denorm_mode_32 3
		.amdhsa_float_denorm_mode_16_64 3
		.amdhsa_dx10_clamp 1
		.amdhsa_ieee_mode 1
		.amdhsa_fp16_overflow 0
		.amdhsa_workgroup_processor_mode 1
		.amdhsa_memory_ordered 1
		.amdhsa_forward_progress 0
		.amdhsa_shared_vgpr_count 0
		.amdhsa_exception_fp_ieee_invalid_op 0
		.amdhsa_exception_fp_denorm_src 0
		.amdhsa_exception_fp_ieee_div_zero 0
		.amdhsa_exception_fp_ieee_overflow 0
		.amdhsa_exception_fp_ieee_underflow 0
		.amdhsa_exception_fp_ieee_inexact 0
		.amdhsa_exception_int_div_zero 0
	.end_amdhsa_kernel
	.section	.text._ZN9rocsparseL26csrgemm_group_reduce_part2ILj256ELj11EdiiEEvT3_PKT2_PS1_Pij,"axG",@progbits,_ZN9rocsparseL26csrgemm_group_reduce_part2ILj256ELj11EdiiEEvT3_PKT2_PS1_Pij,comdat
.Lfunc_end24:
	.size	_ZN9rocsparseL26csrgemm_group_reduce_part2ILj256ELj11EdiiEEvT3_PKT2_PS1_Pij, .Lfunc_end24-_ZN9rocsparseL26csrgemm_group_reduce_part2ILj256ELj11EdiiEEvT3_PKT2_PS1_Pij
                                        ; -- End function
	.section	.AMDGPU.csdata,"",@progbits
; Kernel info:
; codeLenInByte = 3292
; NumSgprs: 28
; NumVgprs: 25
; ScratchSize: 0
; MemoryBound: 0
; FloatMode: 240
; IeeeMode: 1
; LDSByteSize: 11264 bytes/workgroup (compile time only)
; SGPRBlocks: 3
; VGPRBlocks: 3
; NumSGPRsForWavesPerEU: 28
; NumVGPRsForWavesPerEU: 25
; Occupancy: 16
; WaveLimiterHint : 0
; COMPUTE_PGM_RSRC2:SCRATCH_EN: 0
; COMPUTE_PGM_RSRC2:USER_SGPR: 15
; COMPUTE_PGM_RSRC2:TRAP_HANDLER: 0
; COMPUTE_PGM_RSRC2:TGID_X_EN: 1
; COMPUTE_PGM_RSRC2:TGID_Y_EN: 0
; COMPUTE_PGM_RSRC2:TGID_Z_EN: 0
; COMPUTE_PGM_RSRC2:TIDIG_COMP_CNT: 0
	.section	.text._ZN9rocsparseL23csrgemm_fill_wf_per_rowILj256ELj8ELj16ELj137EiidEEvT4_S1_PKS1_S3_NS_24const_host_device_scalarIT5_EEPKT3_S3_PKS5_S9_S3_SB_S6_S9_S3_SB_S9_PS1_PS5_21rocsparse_index_base_SE_SE_SE_bbb,"axG",@progbits,_ZN9rocsparseL23csrgemm_fill_wf_per_rowILj256ELj8ELj16ELj137EiidEEvT4_S1_PKS1_S3_NS_24const_host_device_scalarIT5_EEPKT3_S3_PKS5_S9_S3_SB_S6_S9_S3_SB_S9_PS1_PS5_21rocsparse_index_base_SE_SE_SE_bbb,comdat
	.globl	_ZN9rocsparseL23csrgemm_fill_wf_per_rowILj256ELj8ELj16ELj137EiidEEvT4_S1_PKS1_S3_NS_24const_host_device_scalarIT5_EEPKT3_S3_PKS5_S9_S3_SB_S6_S9_S3_SB_S9_PS1_PS5_21rocsparse_index_base_SE_SE_SE_bbb ; -- Begin function _ZN9rocsparseL23csrgemm_fill_wf_per_rowILj256ELj8ELj16ELj137EiidEEvT4_S1_PKS1_S3_NS_24const_host_device_scalarIT5_EEPKT3_S3_PKS5_S9_S3_SB_S6_S9_S3_SB_S9_PS1_PS5_21rocsparse_index_base_SE_SE_SE_bbb
	.p2align	8
	.type	_ZN9rocsparseL23csrgemm_fill_wf_per_rowILj256ELj8ELj16ELj137EiidEEvT4_S1_PKS1_S3_NS_24const_host_device_scalarIT5_EEPKT3_S3_PKS5_S9_S3_SB_S6_S9_S3_SB_S9_PS1_PS5_21rocsparse_index_base_SE_SE_SE_bbb,@function
_ZN9rocsparseL23csrgemm_fill_wf_per_rowILj256ELj8ELj16ELj137EiidEEvT4_S1_PKS1_S3_NS_24const_host_device_scalarIT5_EEPKT3_S3_PKS5_S9_S3_SB_S6_S9_S3_SB_S9_PS1_PS5_21rocsparse_index_base_SE_SE_SE_bbb: ; @_ZN9rocsparseL23csrgemm_fill_wf_per_rowILj256ELj8ELj16ELj137EiidEEvT4_S1_PKS1_S3_NS_24const_host_device_scalarIT5_EEPKT3_S3_PKS5_S9_S3_SB_S6_S9_S3_SB_S9_PS1_PS5_21rocsparse_index_base_SE_SE_SE_bbb
; %bb.0:
	s_clause 0x3
	s_load_b32 s12, s[0:1], 0x98
	s_load_b64 s[4:5], s[0:1], 0x18
	s_load_b128 s[24:27], s[0:1], 0x88
	s_load_b64 s[2:3], s[0:1], 0x50
	s_waitcnt lgkmcnt(0)
	s_and_b32 s6, 1, s12
	s_bitcmp1_b32 s12, 16
	s_cselect_b32 s14, -1, 0
	s_cmp_eq_u32 s6, 1
	s_cselect_b32 s13, -1, 0
	s_delay_alu instid0(SALU_CYCLE_1)
	s_and_b32 s6, s13, exec_lo
	s_cselect_b32 s7, s5, 0
	s_cselect_b32 s6, s4, 0
	s_xor_b32 s8, s13, -1
	v_dual_mov_b32 v5, s6 :: v_dual_mov_b32 v6, s7
	s_or_b32 s8, s8, s14
	s_delay_alu instid0(SALU_CYCLE_1)
	s_and_b32 vcc_lo, exec_lo, s8
	s_cbranch_vccnz .LBB25_2
; %bb.1:
	v_dual_mov_b32 v1, s4 :: v_dual_mov_b32 v2, s5
	flat_load_b64 v[5:6], v[1:2]
.LBB25_2:
	s_clause 0x4
	s_load_b128 s[28:31], s[0:1], 0x78
	s_load_b256 s[4:11], s[0:1], 0x58
	s_load_b128 s[36:39], s[0:1], 0x40
	s_load_b128 s[40:43], s[0:1], 0x8
	s_load_b256 s[16:23], s[0:1], 0x20
	s_bitcmp1_b32 s12, 8
	s_cselect_b32 s12, -1, 0
	s_delay_alu instid0(SALU_CYCLE_1)
	s_and_b32 s33, s12, exec_lo
	s_cselect_b32 s35, s3, 0
	s_cselect_b32 s34, s2, 0
	s_xor_b32 s33, s12, -1
	v_dual_mov_b32 v1, s34 :: v_dual_mov_b32 v2, s35
	s_or_b32 s14, s33, s14
	s_delay_alu instid0(SALU_CYCLE_1)
	s_and_b32 vcc_lo, exec_lo, s14
	s_cbranch_vccnz .LBB25_4
; %bb.3:
	v_dual_mov_b32 v1, s2 :: v_dual_mov_b32 v2, s3
	flat_load_b64 v[1:2], v[1:2]
.LBB25_4:
	s_load_b64 s[0:1], s[0:1], 0x0
	v_lshrrev_b32_e32 v7, 3, v0
	v_mov_b32_e32 v3, 0
	v_and_b32_e32 v19, 7, v0
	s_mov_b32 s2, 0
	s_delay_alu instid0(VALU_DEP_3) | instskip(NEXT) | instid1(VALU_DEP_2)
	v_lshlrev_b32_e32 v0, 6, v7
	v_lshlrev_b32_e32 v4, 2, v19
	s_delay_alu instid0(VALU_DEP_1) | instskip(SKIP_3) | instid1(VALU_DEP_2)
	v_or3_b32 v0, v0, v4, 0x1000
	v_mov_b32_e32 v4, v3
	v_lshlrev_b32_e32 v8, 3, v19
	v_or_b32_e32 v16, -8, v19
	v_lshl_or_b32 v15, v7, 7, v8
	s_delay_alu instid0(VALU_DEP_2) | instskip(SKIP_2) | instid1(VALU_DEP_3)
	v_mov_b32_e32 v11, v16
	v_mov_b32_e32 v8, v0
	s_waitcnt lgkmcnt(0)
	v_dual_mov_b32 v10, s1 :: v_dual_mov_b32 v9, v15
.LBB25_5:                               ; =>This Inner Loop Header: Depth=1
	s_delay_alu instid0(VALU_DEP_3) | instskip(NEXT) | instid1(VALU_DEP_1)
	v_add_co_u32 v11, s3, v11, 8
	s_xor_b32 s3, s3, -1
	ds_store_b32 v8, v10
	ds_store_b64 v9, v[3:4]
	v_add_nc_u32_e32 v9, 64, v9
	v_add_nc_u32_e32 v8, 32, v8
	s_and_b32 s3, exec_lo, s3
	s_delay_alu instid0(SALU_CYCLE_1) | instskip(NEXT) | instid1(SALU_CYCLE_1)
	s_or_b32 s2, s3, s2
	s_and_not1_b32 exec_lo, exec_lo, s2
	s_cbranch_execnz .LBB25_5
; %bb.6:
	s_or_b32 exec_lo, exec_lo, s2
	s_lshl_b32 s2, s15, 5
	s_waitcnt vmcnt(0) lgkmcnt(0)
	buffer_gl0_inv
	v_and_or_b32 v3, 0x1fffffe0, s2, v7
	s_delay_alu instid0(VALU_DEP_1)
	v_cmp_gt_i32_e32 vcc_lo, s0, v3
	s_and_saveexec_b32 s0, vcc_lo
	s_cbranch_execz .LBB25_58
; %bb.7:
	s_cmp_eq_u64 s[42:43], 0
	s_cbranch_scc1 .LBB25_9
; %bb.8:
	s_load_b32 s0, s[40:41], 0x0
	s_waitcnt lgkmcnt(0)
	v_add_nc_u32_e32 v3, s0, v3
	s_delay_alu instid0(VALU_DEP_1) | instskip(NEXT) | instid1(VALU_DEP_1)
	v_ashrrev_i32_e32 v4, 31, v3
	v_lshlrev_b64 v[3:4], 2, v[3:4]
	s_delay_alu instid0(VALU_DEP_1) | instskip(NEXT) | instid1(VALU_DEP_2)
	v_add_co_u32 v3, vcc_lo, s42, v3
	v_add_co_ci_u32_e32 v4, vcc_lo, s43, v4, vcc_lo
	global_load_b32 v3, v[3:4], off
.LBB25_9:
	s_waitcnt vmcnt(0)
	v_ashrrev_i32_e32 v4, 31, v3
	v_lshl_or_b32 v17, v7, 6, 0x1000
	v_lshlrev_b32_e32 v18, 7, v7
	s_and_not1_b32 vcc_lo, exec_lo, s13
	s_delay_alu instid0(VALU_DEP_3)
	v_lshlrev_b64 v[3:4], 2, v[3:4]
	s_cbranch_vccnz .LBB25_33
; %bb.10:
	s_delay_alu instid0(VALU_DEP_1) | instskip(NEXT) | instid1(VALU_DEP_2)
	v_add_co_u32 v7, vcc_lo, s16, v3
	v_add_co_ci_u32_e32 v8, vcc_lo, s17, v4, vcc_lo
	v_subrev_nc_u32_e32 v9, s24, v19
	s_mov_b32 s0, exec_lo
	global_load_b64 v[7:8], v[7:8], off
	s_waitcnt vmcnt(0)
	v_subrev_nc_u32_e32 v20, s24, v8
	v_add_nc_u32_e32 v7, v7, v9
	s_delay_alu instid0(VALU_DEP_1)
	v_cmpx_lt_i32_e64 v7, v20
	s_cbranch_execz .LBB25_32
; %bb.11:
	s_mov_b32 s2, 0
	s_branch .LBB25_13
.LBB25_12:                              ;   in Loop: Header=BB25_13 Depth=1
	s_or_b32 exec_lo, exec_lo, s3
	v_add_nc_u32_e32 v7, 8, v7
	s_delay_alu instid0(VALU_DEP_1) | instskip(SKIP_1) | instid1(SALU_CYCLE_1)
	v_cmp_ge_i32_e32 vcc_lo, v7, v20
	s_or_b32 s2, vcc_lo, s2
	s_and_not1_b32 exec_lo, exec_lo, s2
	s_cbranch_execz .LBB25_32
.LBB25_13:                              ; =>This Loop Header: Depth=1
                                        ;     Child Loop BB25_16 Depth 2
                                        ;       Child Loop BB25_18 Depth 3
                                        ;         Child Loop BB25_24 Depth 4
                                        ;         Child Loop BB25_30 Depth 4
	v_ashrrev_i32_e32 v8, 31, v7
	s_mov_b32 s3, exec_lo
	s_delay_alu instid0(VALU_DEP_1) | instskip(NEXT) | instid1(VALU_DEP_1)
	v_lshlrev_b64 v[9:10], 2, v[7:8]
	v_add_co_u32 v9, vcc_lo, s18, v9
	s_delay_alu instid0(VALU_DEP_2) | instskip(SKIP_3) | instid1(VALU_DEP_1)
	v_add_co_ci_u32_e32 v10, vcc_lo, s19, v10, vcc_lo
	global_load_b32 v9, v[9:10], off
	s_waitcnt vmcnt(0)
	v_subrev_nc_u32_e32 v9, s24, v9
	v_ashrrev_i32_e32 v10, 31, v9
	s_delay_alu instid0(VALU_DEP_1) | instskip(NEXT) | instid1(VALU_DEP_1)
	v_lshlrev_b64 v[9:10], 2, v[9:10]
	v_add_co_u32 v9, vcc_lo, s22, v9
	s_delay_alu instid0(VALU_DEP_2)
	v_add_co_ci_u32_e32 v10, vcc_lo, s23, v10, vcc_lo
	global_load_b64 v[10:11], v[9:10], off
	s_waitcnt vmcnt(0)
	v_cmpx_lt_i32_e64 v10, v11
	s_cbranch_execz .LBB25_12
; %bb.14:                               ;   in Loop: Header=BB25_13 Depth=1
	v_lshlrev_b64 v[8:9], 3, v[7:8]
	v_subrev_nc_u32_e32 v21, s25, v11
	v_subrev_nc_u32_e32 v10, s25, v10
	s_mov_b32 s13, 0
	s_delay_alu instid0(VALU_DEP_3) | instskip(NEXT) | instid1(VALU_DEP_4)
	v_add_co_u32 v8, vcc_lo, s20, v8
	v_add_co_ci_u32_e32 v9, vcc_lo, s21, v9, vcc_lo
	global_load_b64 v[8:9], v[8:9], off
	s_waitcnt vmcnt(0)
	v_mul_f64 v[8:9], v[5:6], v[8:9]
	s_branch .LBB25_16
.LBB25_15:                              ;   in Loop: Header=BB25_16 Depth=2
	s_or_b32 exec_lo, exec_lo, s14
	v_add_nc_u32_e32 v10, 1, v10
	s_delay_alu instid0(VALU_DEP_1) | instskip(SKIP_1) | instid1(SALU_CYCLE_1)
	v_cmp_ge_i32_e32 vcc_lo, v10, v21
	s_or_b32 s13, vcc_lo, s13
	s_and_not1_b32 exec_lo, exec_lo, s13
	s_cbranch_execz .LBB25_12
.LBB25_16:                              ;   Parent Loop BB25_13 Depth=1
                                        ; =>  This Loop Header: Depth=2
                                        ;       Child Loop BB25_18 Depth 3
                                        ;         Child Loop BB25_24 Depth 4
                                        ;         Child Loop BB25_30 Depth 4
	v_ashrrev_i32_e32 v11, 31, v10
	s_mov_b32 s14, 0
	s_delay_alu instid0(VALU_DEP_1) | instskip(SKIP_1) | instid1(VALU_DEP_2)
	v_lshlrev_b64 v[12:13], 3, v[10:11]
	v_lshlrev_b64 v[22:23], 2, v[10:11]
	v_add_co_u32 v12, vcc_lo, s38, v12
	s_delay_alu instid0(VALU_DEP_3) | instskip(NEXT) | instid1(VALU_DEP_3)
	v_add_co_ci_u32_e32 v13, vcc_lo, s39, v13, vcc_lo
	v_add_co_u32 v22, vcc_lo, s36, v22
	s_delay_alu instid0(VALU_DEP_4)
	v_add_co_ci_u32_e32 v23, vcc_lo, s37, v23, vcc_lo
	global_load_b64 v[12:13], v[12:13], off
	global_load_b32 v14, v[22:23], off
	s_waitcnt vmcnt(1)
	v_mul_f64 v[11:12], v[8:9], v[12:13]
	s_waitcnt vmcnt(0)
	v_subrev_nc_u32_e32 v22, s25, v14
	s_delay_alu instid0(VALU_DEP_1) | instskip(NEXT) | instid1(VALU_DEP_1)
	v_lshl_add_u32 v13, v22, 3, v22
	v_and_b32_e32 v23, 15, v13
	s_branch .LBB25_18
.LBB25_17:                              ;   in Loop: Header=BB25_18 Depth=3
	s_or_b32 exec_lo, exec_lo, s15
	s_xor_b32 s15, s16, -1
	s_delay_alu instid0(SALU_CYCLE_1) | instskip(NEXT) | instid1(SALU_CYCLE_1)
	s_and_b32 s15, exec_lo, s15
	s_or_b32 s14, s15, s14
	s_delay_alu instid0(SALU_CYCLE_1)
	s_and_not1_b32 exec_lo, exec_lo, s14
	s_cbranch_execz .LBB25_15
.LBB25_18:                              ;   Parent Loop BB25_13 Depth=1
                                        ;     Parent Loop BB25_16 Depth=2
                                        ; =>    This Loop Header: Depth=3
                                        ;         Child Loop BB25_24 Depth 4
                                        ;         Child Loop BB25_30 Depth 4
	s_delay_alu instid0(VALU_DEP_1)
	v_lshl_add_u32 v13, v23, 2, v17
	s_mov_b32 s15, exec_lo
                                        ; implicit-def: $sgpr16
	ds_load_b32 v14, v13
	s_waitcnt lgkmcnt(0)
	v_cmpx_ne_u32_e64 v14, v22
	s_xor_b32 s15, exec_lo, s15
	s_cbranch_execz .LBB25_28
; %bb.19:                               ;   in Loop: Header=BB25_18 Depth=3
	s_mov_b32 s17, exec_lo
                                        ; implicit-def: $sgpr16
	v_cmpx_ne_u32_e64 s1, v14
	s_xor_b32 s17, exec_lo, s17
; %bb.20:                               ;   in Loop: Header=BB25_18 Depth=3
	v_add_nc_u32_e32 v13, 1, v23
	s_mov_b32 s16, -1
	s_delay_alu instid0(VALU_DEP_1)
	v_and_b32_e32 v23, 15, v13
                                        ; implicit-def: $vgpr13
; %bb.21:                               ;   in Loop: Header=BB25_18 Depth=3
	s_and_not1_saveexec_b32 s17, s17
	s_cbranch_execz .LBB25_27
; %bb.22:                               ;   in Loop: Header=BB25_18 Depth=3
	v_mov_b32_e32 v14, s1
	s_mov_b32 s34, -1
	s_mov_b32 s33, exec_lo
	ds_cmpstore_rtn_b32 v13, v13, v22, v14
	s_waitcnt lgkmcnt(0)
	v_cmpx_eq_u32_e64 s1, v13
	s_cbranch_execz .LBB25_26
; %bb.23:                               ;   in Loop: Header=BB25_18 Depth=3
	v_lshl_add_u32 v24, v23, 3, v18
	s_mov_b32 s34, 0
	ds_load_b64 v[13:14], v24
.LBB25_24:                              ;   Parent Loop BB25_13 Depth=1
                                        ;     Parent Loop BB25_16 Depth=2
                                        ;       Parent Loop BB25_18 Depth=3
                                        ; =>      This Inner Loop Header: Depth=4
	s_waitcnt lgkmcnt(0)
	v_add_f64 v[25:26], v[13:14], v[11:12]
	ds_cmpstore_rtn_b64 v[25:26], v24, v[25:26], v[13:14]
	s_waitcnt lgkmcnt(0)
	v_cmp_eq_u64_e32 vcc_lo, v[25:26], v[13:14]
	v_dual_mov_b32 v13, v25 :: v_dual_mov_b32 v14, v26
	s_or_b32 s34, vcc_lo, s34
	s_delay_alu instid0(SALU_CYCLE_1)
	s_and_not1_b32 exec_lo, exec_lo, s34
	s_cbranch_execnz .LBB25_24
; %bb.25:                               ;   in Loop: Header=BB25_18 Depth=3
	s_or_b32 exec_lo, exec_lo, s34
	s_delay_alu instid0(SALU_CYCLE_1)
	s_xor_b32 s34, exec_lo, -1
.LBB25_26:                              ;   in Loop: Header=BB25_18 Depth=3
	s_or_b32 exec_lo, exec_lo, s33
	s_delay_alu instid0(SALU_CYCLE_1) | instskip(SKIP_1) | instid1(SALU_CYCLE_1)
	s_and_not1_b32 s16, s16, exec_lo
	s_and_b32 s33, s34, exec_lo
	s_or_b32 s16, s16, s33
.LBB25_27:                              ;   in Loop: Header=BB25_18 Depth=3
	s_or_b32 exec_lo, exec_lo, s17
	s_delay_alu instid0(SALU_CYCLE_1)
	s_and_b32 s16, s16, exec_lo
.LBB25_28:                              ;   in Loop: Header=BB25_18 Depth=3
	s_and_not1_saveexec_b32 s15, s15
	s_cbranch_execz .LBB25_17
; %bb.29:                               ;   in Loop: Header=BB25_18 Depth=3
	v_lshl_add_u32 v24, v23, 3, v18
	s_mov_b32 s17, 0
	ds_load_b64 v[13:14], v24
.LBB25_30:                              ;   Parent Loop BB25_13 Depth=1
                                        ;     Parent Loop BB25_16 Depth=2
                                        ;       Parent Loop BB25_18 Depth=3
                                        ; =>      This Inner Loop Header: Depth=4
	s_waitcnt lgkmcnt(0)
	v_add_f64 v[25:26], v[13:14], v[11:12]
	ds_cmpstore_rtn_b64 v[25:26], v24, v[25:26], v[13:14]
	s_waitcnt lgkmcnt(0)
	v_cmp_eq_u64_e32 vcc_lo, v[25:26], v[13:14]
	v_dual_mov_b32 v13, v25 :: v_dual_mov_b32 v14, v26
	s_or_b32 s17, vcc_lo, s17
	s_delay_alu instid0(SALU_CYCLE_1)
	s_and_not1_b32 exec_lo, exec_lo, s17
	s_cbranch_execnz .LBB25_30
; %bb.31:                               ;   in Loop: Header=BB25_18 Depth=3
	s_or_b32 exec_lo, exec_lo, s17
	s_delay_alu instid0(SALU_CYCLE_1)
	s_and_not1_b32 s16, s16, exec_lo
	s_branch .LBB25_17
.LBB25_32:
	s_or_b32 exec_lo, exec_lo, s0
.LBB25_33:
	s_delay_alu instid0(SALU_CYCLE_1)
	s_and_not1_b32 vcc_lo, exec_lo, s12
	s_cbranch_vccnz .LBB25_54
; %bb.34:
	s_delay_alu instid0(VALU_DEP_1) | instskip(NEXT) | instid1(VALU_DEP_2)
	v_add_co_u32 v5, vcc_lo, s4, v3
	v_add_co_ci_u32_e32 v6, vcc_lo, s5, v4, vcc_lo
	v_subrev_nc_u32_e32 v7, s27, v19
	s_mov_b32 s0, exec_lo
	global_load_b64 v[5:6], v[5:6], off
	s_waitcnt vmcnt(0)
	v_subrev_nc_u32_e32 v10, s27, v6
	v_add_nc_u32_e32 v5, v5, v7
	s_delay_alu instid0(VALU_DEP_1)
	v_cmpx_lt_i32_e64 v5, v10
	s_cbranch_execz .LBB25_53
; %bb.35:
	s_mov_b32 s2, 0
	s_branch .LBB25_37
.LBB25_36:                              ;   in Loop: Header=BB25_37 Depth=1
	s_or_b32 exec_lo, exec_lo, s3
	v_add_nc_u32_e32 v5, 8, v5
	s_delay_alu instid0(VALU_DEP_1) | instskip(SKIP_1) | instid1(SALU_CYCLE_1)
	v_cmp_ge_i32_e32 vcc_lo, v5, v10
	s_or_b32 s2, vcc_lo, s2
	s_and_not1_b32 exec_lo, exec_lo, s2
	s_cbranch_execz .LBB25_53
.LBB25_37:                              ; =>This Loop Header: Depth=1
                                        ;     Child Loop BB25_39 Depth 2
                                        ;       Child Loop BB25_45 Depth 3
                                        ;       Child Loop BB25_51 Depth 3
	v_ashrrev_i32_e32 v6, 31, v5
	s_mov_b32 s3, 0
	s_delay_alu instid0(VALU_DEP_1) | instskip(SKIP_1) | instid1(VALU_DEP_2)
	v_lshlrev_b64 v[7:8], 3, v[5:6]
	v_lshlrev_b64 v[11:12], 2, v[5:6]
	v_add_co_u32 v7, vcc_lo, s8, v7
	s_delay_alu instid0(VALU_DEP_3) | instskip(NEXT) | instid1(VALU_DEP_3)
	v_add_co_ci_u32_e32 v8, vcc_lo, s9, v8, vcc_lo
	v_add_co_u32 v11, vcc_lo, s6, v11
	s_delay_alu instid0(VALU_DEP_4)
	v_add_co_ci_u32_e32 v12, vcc_lo, s7, v12, vcc_lo
	global_load_b64 v[7:8], v[7:8], off
	global_load_b32 v9, v[11:12], off
	s_waitcnt vmcnt(1)
	v_mul_f64 v[6:7], v[1:2], v[7:8]
	s_waitcnt vmcnt(0)
	v_subrev_nc_u32_e32 v11, s27, v9
	s_delay_alu instid0(VALU_DEP_1) | instskip(NEXT) | instid1(VALU_DEP_1)
	v_lshl_add_u32 v8, v11, 3, v11
	v_and_b32_e32 v12, 15, v8
	s_branch .LBB25_39
.LBB25_38:                              ;   in Loop: Header=BB25_39 Depth=2
	s_or_b32 exec_lo, exec_lo, s4
	s_xor_b32 s4, s5, -1
	s_delay_alu instid0(SALU_CYCLE_1) | instskip(NEXT) | instid1(SALU_CYCLE_1)
	s_and_b32 s4, exec_lo, s4
	s_or_b32 s3, s4, s3
	s_delay_alu instid0(SALU_CYCLE_1)
	s_and_not1_b32 exec_lo, exec_lo, s3
	s_cbranch_execz .LBB25_36
.LBB25_39:                              ;   Parent Loop BB25_37 Depth=1
                                        ; =>  This Loop Header: Depth=2
                                        ;       Child Loop BB25_45 Depth 3
                                        ;       Child Loop BB25_51 Depth 3
	s_delay_alu instid0(VALU_DEP_1)
	v_lshl_add_u32 v8, v12, 2, v17
	s_mov_b32 s4, exec_lo
                                        ; implicit-def: $sgpr5
	ds_load_b32 v9, v8
	s_waitcnt lgkmcnt(0)
	v_cmpx_ne_u32_e64 v9, v11
	s_xor_b32 s4, exec_lo, s4
	s_cbranch_execz .LBB25_49
; %bb.40:                               ;   in Loop: Header=BB25_39 Depth=2
	s_mov_b32 s12, exec_lo
                                        ; implicit-def: $sgpr5
	v_cmpx_ne_u32_e64 s1, v9
	s_xor_b32 s12, exec_lo, s12
; %bb.41:                               ;   in Loop: Header=BB25_39 Depth=2
	v_add_nc_u32_e32 v8, 1, v12
	s_mov_b32 s5, -1
	s_delay_alu instid0(VALU_DEP_1)
	v_and_b32_e32 v12, 15, v8
                                        ; implicit-def: $vgpr8
; %bb.42:                               ;   in Loop: Header=BB25_39 Depth=2
	s_and_not1_saveexec_b32 s12, s12
	s_cbranch_execz .LBB25_48
; %bb.43:                               ;   in Loop: Header=BB25_39 Depth=2
	v_mov_b32_e32 v9, s1
	s_mov_b32 s14, -1
	s_mov_b32 s13, exec_lo
	ds_cmpstore_rtn_b32 v8, v8, v11, v9
	s_waitcnt lgkmcnt(0)
	v_cmpx_eq_u32_e64 s1, v8
	s_cbranch_execz .LBB25_47
; %bb.44:                               ;   in Loop: Header=BB25_39 Depth=2
	v_lshl_add_u32 v13, v12, 3, v18
	s_mov_b32 s14, 0
	ds_load_b64 v[8:9], v13
.LBB25_45:                              ;   Parent Loop BB25_37 Depth=1
                                        ;     Parent Loop BB25_39 Depth=2
                                        ; =>    This Inner Loop Header: Depth=3
	s_waitcnt lgkmcnt(0)
	v_add_f64 v[19:20], v[8:9], v[6:7]
	ds_cmpstore_rtn_b64 v[19:20], v13, v[19:20], v[8:9]
	s_waitcnt lgkmcnt(0)
	v_cmp_eq_u64_e32 vcc_lo, v[19:20], v[8:9]
	v_dual_mov_b32 v8, v19 :: v_dual_mov_b32 v9, v20
	s_or_b32 s14, vcc_lo, s14
	s_delay_alu instid0(SALU_CYCLE_1)
	s_and_not1_b32 exec_lo, exec_lo, s14
	s_cbranch_execnz .LBB25_45
; %bb.46:                               ;   in Loop: Header=BB25_39 Depth=2
	s_or_b32 exec_lo, exec_lo, s14
	s_delay_alu instid0(SALU_CYCLE_1)
	s_xor_b32 s14, exec_lo, -1
.LBB25_47:                              ;   in Loop: Header=BB25_39 Depth=2
	s_or_b32 exec_lo, exec_lo, s13
	s_delay_alu instid0(SALU_CYCLE_1) | instskip(SKIP_1) | instid1(SALU_CYCLE_1)
	s_and_not1_b32 s5, s5, exec_lo
	s_and_b32 s13, s14, exec_lo
	s_or_b32 s5, s5, s13
.LBB25_48:                              ;   in Loop: Header=BB25_39 Depth=2
	s_or_b32 exec_lo, exec_lo, s12
	s_delay_alu instid0(SALU_CYCLE_1)
	s_and_b32 s5, s5, exec_lo
.LBB25_49:                              ;   in Loop: Header=BB25_39 Depth=2
	s_and_not1_saveexec_b32 s4, s4
	s_cbranch_execz .LBB25_38
; %bb.50:                               ;   in Loop: Header=BB25_39 Depth=2
	v_lshl_add_u32 v13, v12, 3, v18
	s_mov_b32 s12, 0
	ds_load_b64 v[8:9], v13
.LBB25_51:                              ;   Parent Loop BB25_37 Depth=1
                                        ;     Parent Loop BB25_39 Depth=2
                                        ; =>    This Inner Loop Header: Depth=3
	s_waitcnt lgkmcnt(0)
	v_add_f64 v[19:20], v[8:9], v[6:7]
	ds_cmpstore_rtn_b64 v[19:20], v13, v[19:20], v[8:9]
	s_waitcnt lgkmcnt(0)
	v_cmp_eq_u64_e32 vcc_lo, v[19:20], v[8:9]
	v_dual_mov_b32 v8, v19 :: v_dual_mov_b32 v9, v20
	s_or_b32 s12, vcc_lo, s12
	s_delay_alu instid0(SALU_CYCLE_1)
	s_and_not1_b32 exec_lo, exec_lo, s12
	s_cbranch_execnz .LBB25_51
; %bb.52:                               ;   in Loop: Header=BB25_39 Depth=2
	s_or_b32 exec_lo, exec_lo, s12
	s_delay_alu instid0(SALU_CYCLE_1)
	s_and_not1_b32 s5, s5, exec_lo
	s_branch .LBB25_38
.LBB25_53:
	s_or_b32 exec_lo, exec_lo, s0
.LBB25_54:
	s_delay_alu instid0(VALU_DEP_1) | instskip(NEXT) | instid1(VALU_DEP_2)
	v_add_co_u32 v1, vcc_lo, s10, v3
	v_add_co_ci_u32_e32 v2, vcc_lo, s11, v4, vcc_lo
	buffer_gl0_inv
	s_mov_b32 s0, 0
	global_load_b32 v1, v[1:2], off
	s_waitcnt vmcnt(0)
	v_subrev_nc_u32_e32 v1, s26, v1
	s_branch .LBB25_56
.LBB25_55:                              ;   in Loop: Header=BB25_56 Depth=1
	s_or_b32 exec_lo, exec_lo, s2
	v_add_co_u32 v16, s2, v16, 8
	s_delay_alu instid0(VALU_DEP_1) | instskip(SKIP_3) | instid1(SALU_CYCLE_1)
	s_xor_b32 s2, s2, -1
	v_add_nc_u32_e32 v15, 64, v15
	v_add_nc_u32_e32 v0, 32, v0
	s_and_b32 s2, exec_lo, s2
	s_or_b32 s0, s2, s0
	s_delay_alu instid0(SALU_CYCLE_1)
	s_and_not1_b32 exec_lo, exec_lo, s0
	s_cbranch_execz .LBB25_58
.LBB25_56:                              ; =>This Inner Loop Header: Depth=1
	ds_load_b32 v2, v0
	s_mov_b32 s2, exec_lo
	s_waitcnt lgkmcnt(0)
	v_cmpx_gt_i32_e64 s1, v2
	s_cbranch_execz .LBB25_55
; %bb.57:                               ;   in Loop: Header=BB25_56 Depth=1
	ds_load_b128 v[3:6], v17
	ds_load_b128 v[7:10], v17 offset:16
	ds_load_b128 v[11:14], v17 offset:32
	;; [unrolled: 1-line block ×3, first 2 shown]
	s_waitcnt lgkmcnt(3)
	v_cmp_gt_i32_e32 vcc_lo, v2, v3
	v_cndmask_b32_e64 v3, 0, 1, vcc_lo
	v_cmp_gt_i32_e32 vcc_lo, v2, v5
	v_cndmask_b32_e64 v5, 0, 1, vcc_lo
	v_cmp_gt_i32_e32 vcc_lo, v2, v4
	s_delay_alu instid0(VALU_DEP_4)
	v_add_co_ci_u32_e32 v3, vcc_lo, v1, v3, vcc_lo
	s_waitcnt lgkmcnt(2)
	v_cmp_gt_i32_e32 vcc_lo, v2, v7
	v_cndmask_b32_e64 v4, 0, 1, vcc_lo
	v_cmp_gt_i32_e32 vcc_lo, v2, v6
	v_add_co_ci_u32_e32 v3, vcc_lo, v3, v5, vcc_lo
	v_cmp_gt_i32_e32 vcc_lo, v2, v9
	v_add_nc_u32_e32 v9, s26, v2
	v_cndmask_b32_e64 v5, 0, 1, vcc_lo
	v_cmp_gt_i32_e32 vcc_lo, v2, v8
	v_add_co_ci_u32_e32 v3, vcc_lo, v3, v4, vcc_lo
	s_waitcnt lgkmcnt(1)
	v_cmp_gt_i32_e32 vcc_lo, v2, v11
	v_cndmask_b32_e64 v4, 0, 1, vcc_lo
	v_cmp_gt_i32_e32 vcc_lo, v2, v10
	v_add_co_ci_u32_e32 v3, vcc_lo, v3, v5, vcc_lo
	v_cmp_gt_i32_e32 vcc_lo, v2, v13
	v_cndmask_b32_e64 v5, 0, 1, vcc_lo
	v_cmp_gt_i32_e32 vcc_lo, v2, v12
	s_delay_alu instid0(VALU_DEP_4)
	v_add_co_ci_u32_e32 v3, vcc_lo, v3, v4, vcc_lo
	s_waitcnt lgkmcnt(0)
	v_cmp_gt_i32_e32 vcc_lo, v2, v18
	v_cndmask_b32_e64 v4, 0, 1, vcc_lo
	v_cmp_gt_i32_e32 vcc_lo, v2, v14
	v_add_co_ci_u32_e32 v3, vcc_lo, v3, v5, vcc_lo
	v_cmp_gt_i32_e32 vcc_lo, v2, v20
	v_cndmask_b32_e64 v5, 0, 1, vcc_lo
	v_cmp_gt_i32_e32 vcc_lo, v2, v19
	s_delay_alu instid0(VALU_DEP_4) | instskip(SKIP_1) | instid1(VALU_DEP_2)
	v_add_co_ci_u32_e32 v3, vcc_lo, v3, v4, vcc_lo
	v_cmp_gt_i32_e32 vcc_lo, v2, v21
	v_add_co_ci_u32_e32 v3, vcc_lo, v3, v5, vcc_lo
	ds_load_b64 v[5:6], v15
	v_ashrrev_i32_e32 v4, 31, v3
	s_delay_alu instid0(VALU_DEP_1) | instskip(SKIP_1) | instid1(VALU_DEP_2)
	v_lshlrev_b64 v[7:8], 2, v[3:4]
	v_lshlrev_b64 v[2:3], 3, v[3:4]
	v_add_co_u32 v7, vcc_lo, s28, v7
	s_delay_alu instid0(VALU_DEP_3) | instskip(NEXT) | instid1(VALU_DEP_3)
	v_add_co_ci_u32_e32 v8, vcc_lo, s29, v8, vcc_lo
	v_add_co_u32 v2, vcc_lo, s30, v2
	s_delay_alu instid0(VALU_DEP_4)
	v_add_co_ci_u32_e32 v3, vcc_lo, s31, v3, vcc_lo
	global_store_b32 v[7:8], v9, off
	s_waitcnt lgkmcnt(0)
	global_store_b64 v[2:3], v[5:6], off
	s_branch .LBB25_55
.LBB25_58:
	s_nop 0
	s_sendmsg sendmsg(MSG_DEALLOC_VGPRS)
	s_endpgm
	.section	.rodata,"a",@progbits
	.p2align	6, 0x0
	.amdhsa_kernel _ZN9rocsparseL23csrgemm_fill_wf_per_rowILj256ELj8ELj16ELj137EiidEEvT4_S1_PKS1_S3_NS_24const_host_device_scalarIT5_EEPKT3_S3_PKS5_S9_S3_SB_S6_S9_S3_SB_S9_PS1_PS5_21rocsparse_index_base_SE_SE_SE_bbb
		.amdhsa_group_segment_fixed_size 6144
		.amdhsa_private_segment_fixed_size 0
		.amdhsa_kernarg_size 156
		.amdhsa_user_sgpr_count 15
		.amdhsa_user_sgpr_dispatch_ptr 0
		.amdhsa_user_sgpr_queue_ptr 0
		.amdhsa_user_sgpr_kernarg_segment_ptr 1
		.amdhsa_user_sgpr_dispatch_id 0
		.amdhsa_user_sgpr_private_segment_size 0
		.amdhsa_wavefront_size32 1
		.amdhsa_uses_dynamic_stack 0
		.amdhsa_enable_private_segment 0
		.amdhsa_system_sgpr_workgroup_id_x 1
		.amdhsa_system_sgpr_workgroup_id_y 0
		.amdhsa_system_sgpr_workgroup_id_z 0
		.amdhsa_system_sgpr_workgroup_info 0
		.amdhsa_system_vgpr_workitem_id 0
		.amdhsa_next_free_vgpr 27
		.amdhsa_next_free_sgpr 44
		.amdhsa_reserve_vcc 1
		.amdhsa_float_round_mode_32 0
		.amdhsa_float_round_mode_16_64 0
		.amdhsa_float_denorm_mode_32 3
		.amdhsa_float_denorm_mode_16_64 3
		.amdhsa_dx10_clamp 1
		.amdhsa_ieee_mode 1
		.amdhsa_fp16_overflow 0
		.amdhsa_workgroup_processor_mode 1
		.amdhsa_memory_ordered 1
		.amdhsa_forward_progress 0
		.amdhsa_shared_vgpr_count 0
		.amdhsa_exception_fp_ieee_invalid_op 0
		.amdhsa_exception_fp_denorm_src 0
		.amdhsa_exception_fp_ieee_div_zero 0
		.amdhsa_exception_fp_ieee_overflow 0
		.amdhsa_exception_fp_ieee_underflow 0
		.amdhsa_exception_fp_ieee_inexact 0
		.amdhsa_exception_int_div_zero 0
	.end_amdhsa_kernel
	.section	.text._ZN9rocsparseL23csrgemm_fill_wf_per_rowILj256ELj8ELj16ELj137EiidEEvT4_S1_PKS1_S3_NS_24const_host_device_scalarIT5_EEPKT3_S3_PKS5_S9_S3_SB_S6_S9_S3_SB_S9_PS1_PS5_21rocsparse_index_base_SE_SE_SE_bbb,"axG",@progbits,_ZN9rocsparseL23csrgemm_fill_wf_per_rowILj256ELj8ELj16ELj137EiidEEvT4_S1_PKS1_S3_NS_24const_host_device_scalarIT5_EEPKT3_S3_PKS5_S9_S3_SB_S6_S9_S3_SB_S9_PS1_PS5_21rocsparse_index_base_SE_SE_SE_bbb,comdat
.Lfunc_end25:
	.size	_ZN9rocsparseL23csrgemm_fill_wf_per_rowILj256ELj8ELj16ELj137EiidEEvT4_S1_PKS1_S3_NS_24const_host_device_scalarIT5_EEPKT3_S3_PKS5_S9_S3_SB_S6_S9_S3_SB_S9_PS1_PS5_21rocsparse_index_base_SE_SE_SE_bbb, .Lfunc_end25-_ZN9rocsparseL23csrgemm_fill_wf_per_rowILj256ELj8ELj16ELj137EiidEEvT4_S1_PKS1_S3_NS_24const_host_device_scalarIT5_EEPKT3_S3_PKS5_S9_S3_SB_S6_S9_S3_SB_S9_PS1_PS5_21rocsparse_index_base_SE_SE_SE_bbb
                                        ; -- End function
	.section	.AMDGPU.csdata,"",@progbits
; Kernel info:
; codeLenInByte = 2360
; NumSgprs: 46
; NumVgprs: 27
; ScratchSize: 0
; MemoryBound: 0
; FloatMode: 240
; IeeeMode: 1
; LDSByteSize: 6144 bytes/workgroup (compile time only)
; SGPRBlocks: 5
; VGPRBlocks: 3
; NumSGPRsForWavesPerEU: 46
; NumVGPRsForWavesPerEU: 27
; Occupancy: 16
; WaveLimiterHint : 1
; COMPUTE_PGM_RSRC2:SCRATCH_EN: 0
; COMPUTE_PGM_RSRC2:USER_SGPR: 15
; COMPUTE_PGM_RSRC2:TRAP_HANDLER: 0
; COMPUTE_PGM_RSRC2:TGID_X_EN: 1
; COMPUTE_PGM_RSRC2:TGID_Y_EN: 0
; COMPUTE_PGM_RSRC2:TGID_Z_EN: 0
; COMPUTE_PGM_RSRC2:TIDIG_COMP_CNT: 0
	.section	.text._ZN9rocsparseL23csrgemm_fill_wf_per_rowILj256ELj16ELj32ELj137EiidEEvT4_S1_PKS1_S3_NS_24const_host_device_scalarIT5_EEPKT3_S3_PKS5_S9_S3_SB_S6_S9_S3_SB_S9_PS1_PS5_21rocsparse_index_base_SE_SE_SE_bbb,"axG",@progbits,_ZN9rocsparseL23csrgemm_fill_wf_per_rowILj256ELj16ELj32ELj137EiidEEvT4_S1_PKS1_S3_NS_24const_host_device_scalarIT5_EEPKT3_S3_PKS5_S9_S3_SB_S6_S9_S3_SB_S9_PS1_PS5_21rocsparse_index_base_SE_SE_SE_bbb,comdat
	.globl	_ZN9rocsparseL23csrgemm_fill_wf_per_rowILj256ELj16ELj32ELj137EiidEEvT4_S1_PKS1_S3_NS_24const_host_device_scalarIT5_EEPKT3_S3_PKS5_S9_S3_SB_S6_S9_S3_SB_S9_PS1_PS5_21rocsparse_index_base_SE_SE_SE_bbb ; -- Begin function _ZN9rocsparseL23csrgemm_fill_wf_per_rowILj256ELj16ELj32ELj137EiidEEvT4_S1_PKS1_S3_NS_24const_host_device_scalarIT5_EEPKT3_S3_PKS5_S9_S3_SB_S6_S9_S3_SB_S9_PS1_PS5_21rocsparse_index_base_SE_SE_SE_bbb
	.p2align	8
	.type	_ZN9rocsparseL23csrgemm_fill_wf_per_rowILj256ELj16ELj32ELj137EiidEEvT4_S1_PKS1_S3_NS_24const_host_device_scalarIT5_EEPKT3_S3_PKS5_S9_S3_SB_S6_S9_S3_SB_S9_PS1_PS5_21rocsparse_index_base_SE_SE_SE_bbb,@function
_ZN9rocsparseL23csrgemm_fill_wf_per_rowILj256ELj16ELj32ELj137EiidEEvT4_S1_PKS1_S3_NS_24const_host_device_scalarIT5_EEPKT3_S3_PKS5_S9_S3_SB_S6_S9_S3_SB_S9_PS1_PS5_21rocsparse_index_base_SE_SE_SE_bbb: ; @_ZN9rocsparseL23csrgemm_fill_wf_per_rowILj256ELj16ELj32ELj137EiidEEvT4_S1_PKS1_S3_NS_24const_host_device_scalarIT5_EEPKT3_S3_PKS5_S9_S3_SB_S6_S9_S3_SB_S9_PS1_PS5_21rocsparse_index_base_SE_SE_SE_bbb
; %bb.0:
	s_clause 0x3
	s_load_b32 s12, s[0:1], 0x98
	s_load_b64 s[4:5], s[0:1], 0x18
	s_load_b128 s[24:27], s[0:1], 0x88
	s_load_b64 s[2:3], s[0:1], 0x50
	s_waitcnt lgkmcnt(0)
	s_and_b32 s6, 1, s12
	s_bitcmp1_b32 s12, 16
	s_cselect_b32 s14, -1, 0
	s_cmp_eq_u32 s6, 1
	s_cselect_b32 s13, -1, 0
	s_delay_alu instid0(SALU_CYCLE_1)
	s_and_b32 s6, s13, exec_lo
	s_cselect_b32 s7, s5, 0
	s_cselect_b32 s6, s4, 0
	s_xor_b32 s8, s13, -1
	v_dual_mov_b32 v5, s6 :: v_dual_mov_b32 v6, s7
	s_or_b32 s8, s8, s14
	s_delay_alu instid0(SALU_CYCLE_1)
	s_and_b32 vcc_lo, exec_lo, s8
	s_cbranch_vccnz .LBB26_2
; %bb.1:
	v_dual_mov_b32 v1, s4 :: v_dual_mov_b32 v2, s5
	flat_load_b64 v[5:6], v[1:2]
.LBB26_2:
	s_clause 0x4
	s_load_b128 s[28:31], s[0:1], 0x78
	s_load_b256 s[4:11], s[0:1], 0x58
	s_load_b128 s[36:39], s[0:1], 0x40
	s_load_b128 s[40:43], s[0:1], 0x8
	s_load_b256 s[16:23], s[0:1], 0x20
	s_bitcmp1_b32 s12, 8
	s_cselect_b32 s12, -1, 0
	s_delay_alu instid0(SALU_CYCLE_1)
	s_and_b32 s33, s12, exec_lo
	s_cselect_b32 s35, s3, 0
	s_cselect_b32 s34, s2, 0
	s_xor_b32 s33, s12, -1
	v_dual_mov_b32 v1, s34 :: v_dual_mov_b32 v2, s35
	s_or_b32 s14, s33, s14
	s_delay_alu instid0(SALU_CYCLE_1)
	s_and_b32 vcc_lo, exec_lo, s14
	s_cbranch_vccnz .LBB26_4
; %bb.3:
	v_dual_mov_b32 v1, s2 :: v_dual_mov_b32 v2, s3
	flat_load_b64 v[1:2], v[1:2]
.LBB26_4:
	s_load_b64 s[0:1], s[0:1], 0x0
	v_lshrrev_b32_e32 v7, 4, v0
	v_mov_b32_e32 v3, 0
	v_and_b32_e32 v19, 15, v0
	s_mov_b32 s2, 0
	s_delay_alu instid0(VALU_DEP_3) | instskip(NEXT) | instid1(VALU_DEP_2)
	v_lshlrev_b32_e32 v0, 7, v7
	v_lshlrev_b32_e32 v4, 2, v19
	s_delay_alu instid0(VALU_DEP_1) | instskip(SKIP_3) | instid1(VALU_DEP_2)
	v_or3_b32 v0, v0, v4, 0x1000
	v_mov_b32_e32 v4, v3
	v_lshlrev_b32_e32 v8, 3, v19
	v_or_b32_e32 v16, -16, v19
	v_lshl_or_b32 v15, v7, 8, v8
	s_delay_alu instid0(VALU_DEP_2) | instskip(SKIP_2) | instid1(VALU_DEP_3)
	v_mov_b32_e32 v11, v16
	v_mov_b32_e32 v8, v0
	s_waitcnt lgkmcnt(0)
	v_dual_mov_b32 v10, s1 :: v_dual_mov_b32 v9, v15
.LBB26_5:                               ; =>This Inner Loop Header: Depth=1
	s_delay_alu instid0(VALU_DEP_3) | instskip(NEXT) | instid1(VALU_DEP_1)
	v_add_co_u32 v11, s3, v11, 16
	s_xor_b32 s3, s3, -1
	ds_store_b32 v8, v10
	ds_store_b64 v9, v[3:4]
	v_add_nc_u32_e32 v9, 0x80, v9
	v_add_nc_u32_e32 v8, 64, v8
	s_and_b32 s3, exec_lo, s3
	s_delay_alu instid0(SALU_CYCLE_1) | instskip(NEXT) | instid1(SALU_CYCLE_1)
	s_or_b32 s2, s3, s2
	s_and_not1_b32 exec_lo, exec_lo, s2
	s_cbranch_execnz .LBB26_5
; %bb.6:
	s_or_b32 exec_lo, exec_lo, s2
	s_lshl_b32 s2, s15, 4
	s_waitcnt vmcnt(0) lgkmcnt(0)
	buffer_gl0_inv
	v_and_or_b32 v3, 0xffffff0, s2, v7
	s_delay_alu instid0(VALU_DEP_1)
	v_cmp_gt_i32_e32 vcc_lo, s0, v3
	s_and_saveexec_b32 s0, vcc_lo
	s_cbranch_execz .LBB26_58
; %bb.7:
	s_cmp_eq_u64 s[42:43], 0
	s_cbranch_scc1 .LBB26_9
; %bb.8:
	s_load_b32 s0, s[40:41], 0x0
	s_waitcnt lgkmcnt(0)
	v_add_nc_u32_e32 v3, s0, v3
	s_delay_alu instid0(VALU_DEP_1) | instskip(NEXT) | instid1(VALU_DEP_1)
	v_ashrrev_i32_e32 v4, 31, v3
	v_lshlrev_b64 v[3:4], 2, v[3:4]
	s_delay_alu instid0(VALU_DEP_1) | instskip(NEXT) | instid1(VALU_DEP_2)
	v_add_co_u32 v3, vcc_lo, s42, v3
	v_add_co_ci_u32_e32 v4, vcc_lo, s43, v4, vcc_lo
	global_load_b32 v3, v[3:4], off
.LBB26_9:
	s_waitcnt vmcnt(0)
	v_ashrrev_i32_e32 v4, 31, v3
	v_lshl_or_b32 v17, v7, 7, 0x1000
	v_lshlrev_b32_e32 v18, 8, v7
	s_and_not1_b32 vcc_lo, exec_lo, s13
	s_delay_alu instid0(VALU_DEP_3)
	v_lshlrev_b64 v[3:4], 2, v[3:4]
	s_cbranch_vccnz .LBB26_33
; %bb.10:
	s_delay_alu instid0(VALU_DEP_1) | instskip(NEXT) | instid1(VALU_DEP_2)
	v_add_co_u32 v7, vcc_lo, s16, v3
	v_add_co_ci_u32_e32 v8, vcc_lo, s17, v4, vcc_lo
	v_subrev_nc_u32_e32 v9, s24, v19
	s_mov_b32 s0, exec_lo
	global_load_b64 v[7:8], v[7:8], off
	s_waitcnt vmcnt(0)
	v_subrev_nc_u32_e32 v20, s24, v8
	v_add_nc_u32_e32 v7, v7, v9
	s_delay_alu instid0(VALU_DEP_1)
	v_cmpx_lt_i32_e64 v7, v20
	s_cbranch_execz .LBB26_32
; %bb.11:
	s_mov_b32 s2, 0
	s_branch .LBB26_13
.LBB26_12:                              ;   in Loop: Header=BB26_13 Depth=1
	s_or_b32 exec_lo, exec_lo, s3
	v_add_nc_u32_e32 v7, 16, v7
	s_delay_alu instid0(VALU_DEP_1) | instskip(SKIP_1) | instid1(SALU_CYCLE_1)
	v_cmp_ge_i32_e32 vcc_lo, v7, v20
	s_or_b32 s2, vcc_lo, s2
	s_and_not1_b32 exec_lo, exec_lo, s2
	s_cbranch_execz .LBB26_32
.LBB26_13:                              ; =>This Loop Header: Depth=1
                                        ;     Child Loop BB26_16 Depth 2
                                        ;       Child Loop BB26_18 Depth 3
                                        ;         Child Loop BB26_24 Depth 4
                                        ;         Child Loop BB26_30 Depth 4
	v_ashrrev_i32_e32 v8, 31, v7
	s_mov_b32 s3, exec_lo
	s_delay_alu instid0(VALU_DEP_1) | instskip(NEXT) | instid1(VALU_DEP_1)
	v_lshlrev_b64 v[9:10], 2, v[7:8]
	v_add_co_u32 v9, vcc_lo, s18, v9
	s_delay_alu instid0(VALU_DEP_2) | instskip(SKIP_3) | instid1(VALU_DEP_1)
	v_add_co_ci_u32_e32 v10, vcc_lo, s19, v10, vcc_lo
	global_load_b32 v9, v[9:10], off
	s_waitcnt vmcnt(0)
	v_subrev_nc_u32_e32 v9, s24, v9
	v_ashrrev_i32_e32 v10, 31, v9
	s_delay_alu instid0(VALU_DEP_1) | instskip(NEXT) | instid1(VALU_DEP_1)
	v_lshlrev_b64 v[9:10], 2, v[9:10]
	v_add_co_u32 v9, vcc_lo, s22, v9
	s_delay_alu instid0(VALU_DEP_2)
	v_add_co_ci_u32_e32 v10, vcc_lo, s23, v10, vcc_lo
	global_load_b64 v[10:11], v[9:10], off
	s_waitcnt vmcnt(0)
	v_cmpx_lt_i32_e64 v10, v11
	s_cbranch_execz .LBB26_12
; %bb.14:                               ;   in Loop: Header=BB26_13 Depth=1
	v_lshlrev_b64 v[8:9], 3, v[7:8]
	v_subrev_nc_u32_e32 v21, s25, v11
	v_subrev_nc_u32_e32 v10, s25, v10
	s_mov_b32 s13, 0
	s_delay_alu instid0(VALU_DEP_3) | instskip(NEXT) | instid1(VALU_DEP_4)
	v_add_co_u32 v8, vcc_lo, s20, v8
	v_add_co_ci_u32_e32 v9, vcc_lo, s21, v9, vcc_lo
	global_load_b64 v[8:9], v[8:9], off
	s_waitcnt vmcnt(0)
	v_mul_f64 v[8:9], v[5:6], v[8:9]
	s_branch .LBB26_16
.LBB26_15:                              ;   in Loop: Header=BB26_16 Depth=2
	s_or_b32 exec_lo, exec_lo, s14
	v_add_nc_u32_e32 v10, 1, v10
	s_delay_alu instid0(VALU_DEP_1) | instskip(SKIP_1) | instid1(SALU_CYCLE_1)
	v_cmp_ge_i32_e32 vcc_lo, v10, v21
	s_or_b32 s13, vcc_lo, s13
	s_and_not1_b32 exec_lo, exec_lo, s13
	s_cbranch_execz .LBB26_12
.LBB26_16:                              ;   Parent Loop BB26_13 Depth=1
                                        ; =>  This Loop Header: Depth=2
                                        ;       Child Loop BB26_18 Depth 3
                                        ;         Child Loop BB26_24 Depth 4
                                        ;         Child Loop BB26_30 Depth 4
	v_ashrrev_i32_e32 v11, 31, v10
	s_mov_b32 s14, 0
	s_delay_alu instid0(VALU_DEP_1) | instskip(SKIP_1) | instid1(VALU_DEP_2)
	v_lshlrev_b64 v[12:13], 3, v[10:11]
	v_lshlrev_b64 v[22:23], 2, v[10:11]
	v_add_co_u32 v12, vcc_lo, s38, v12
	s_delay_alu instid0(VALU_DEP_3) | instskip(NEXT) | instid1(VALU_DEP_3)
	v_add_co_ci_u32_e32 v13, vcc_lo, s39, v13, vcc_lo
	v_add_co_u32 v22, vcc_lo, s36, v22
	s_delay_alu instid0(VALU_DEP_4)
	v_add_co_ci_u32_e32 v23, vcc_lo, s37, v23, vcc_lo
	global_load_b64 v[12:13], v[12:13], off
	global_load_b32 v14, v[22:23], off
	s_waitcnt vmcnt(1)
	v_mul_f64 v[11:12], v[8:9], v[12:13]
	s_waitcnt vmcnt(0)
	v_subrev_nc_u32_e32 v22, s25, v14
	s_delay_alu instid0(VALU_DEP_1) | instskip(NEXT) | instid1(VALU_DEP_1)
	v_lshl_add_u32 v13, v22, 3, v22
	v_and_b32_e32 v23, 31, v13
	s_branch .LBB26_18
.LBB26_17:                              ;   in Loop: Header=BB26_18 Depth=3
	s_or_b32 exec_lo, exec_lo, s15
	s_xor_b32 s15, s16, -1
	s_delay_alu instid0(SALU_CYCLE_1) | instskip(NEXT) | instid1(SALU_CYCLE_1)
	s_and_b32 s15, exec_lo, s15
	s_or_b32 s14, s15, s14
	s_delay_alu instid0(SALU_CYCLE_1)
	s_and_not1_b32 exec_lo, exec_lo, s14
	s_cbranch_execz .LBB26_15
.LBB26_18:                              ;   Parent Loop BB26_13 Depth=1
                                        ;     Parent Loop BB26_16 Depth=2
                                        ; =>    This Loop Header: Depth=3
                                        ;         Child Loop BB26_24 Depth 4
                                        ;         Child Loop BB26_30 Depth 4
	s_delay_alu instid0(VALU_DEP_1)
	v_lshl_add_u32 v13, v23, 2, v17
	s_mov_b32 s15, exec_lo
                                        ; implicit-def: $sgpr16
	ds_load_b32 v14, v13
	s_waitcnt lgkmcnt(0)
	v_cmpx_ne_u32_e64 v14, v22
	s_xor_b32 s15, exec_lo, s15
	s_cbranch_execz .LBB26_28
; %bb.19:                               ;   in Loop: Header=BB26_18 Depth=3
	s_mov_b32 s17, exec_lo
                                        ; implicit-def: $sgpr16
	v_cmpx_ne_u32_e64 s1, v14
	s_xor_b32 s17, exec_lo, s17
; %bb.20:                               ;   in Loop: Header=BB26_18 Depth=3
	v_add_nc_u32_e32 v13, 1, v23
	s_mov_b32 s16, -1
	s_delay_alu instid0(VALU_DEP_1)
	v_and_b32_e32 v23, 31, v13
                                        ; implicit-def: $vgpr13
; %bb.21:                               ;   in Loop: Header=BB26_18 Depth=3
	s_and_not1_saveexec_b32 s17, s17
	s_cbranch_execz .LBB26_27
; %bb.22:                               ;   in Loop: Header=BB26_18 Depth=3
	v_mov_b32_e32 v14, s1
	s_mov_b32 s34, -1
	s_mov_b32 s33, exec_lo
	ds_cmpstore_rtn_b32 v13, v13, v22, v14
	s_waitcnt lgkmcnt(0)
	v_cmpx_eq_u32_e64 s1, v13
	s_cbranch_execz .LBB26_26
; %bb.23:                               ;   in Loop: Header=BB26_18 Depth=3
	v_lshl_add_u32 v24, v23, 3, v18
	s_mov_b32 s34, 0
	ds_load_b64 v[13:14], v24
.LBB26_24:                              ;   Parent Loop BB26_13 Depth=1
                                        ;     Parent Loop BB26_16 Depth=2
                                        ;       Parent Loop BB26_18 Depth=3
                                        ; =>      This Inner Loop Header: Depth=4
	s_waitcnt lgkmcnt(0)
	v_add_f64 v[25:26], v[13:14], v[11:12]
	ds_cmpstore_rtn_b64 v[25:26], v24, v[25:26], v[13:14]
	s_waitcnt lgkmcnt(0)
	v_cmp_eq_u64_e32 vcc_lo, v[25:26], v[13:14]
	v_dual_mov_b32 v13, v25 :: v_dual_mov_b32 v14, v26
	s_or_b32 s34, vcc_lo, s34
	s_delay_alu instid0(SALU_CYCLE_1)
	s_and_not1_b32 exec_lo, exec_lo, s34
	s_cbranch_execnz .LBB26_24
; %bb.25:                               ;   in Loop: Header=BB26_18 Depth=3
	s_or_b32 exec_lo, exec_lo, s34
	s_delay_alu instid0(SALU_CYCLE_1)
	s_xor_b32 s34, exec_lo, -1
.LBB26_26:                              ;   in Loop: Header=BB26_18 Depth=3
	s_or_b32 exec_lo, exec_lo, s33
	s_delay_alu instid0(SALU_CYCLE_1) | instskip(SKIP_1) | instid1(SALU_CYCLE_1)
	s_and_not1_b32 s16, s16, exec_lo
	s_and_b32 s33, s34, exec_lo
	s_or_b32 s16, s16, s33
.LBB26_27:                              ;   in Loop: Header=BB26_18 Depth=3
	s_or_b32 exec_lo, exec_lo, s17
	s_delay_alu instid0(SALU_CYCLE_1)
	s_and_b32 s16, s16, exec_lo
.LBB26_28:                              ;   in Loop: Header=BB26_18 Depth=3
	s_and_not1_saveexec_b32 s15, s15
	s_cbranch_execz .LBB26_17
; %bb.29:                               ;   in Loop: Header=BB26_18 Depth=3
	v_lshl_add_u32 v24, v23, 3, v18
	s_mov_b32 s17, 0
	ds_load_b64 v[13:14], v24
.LBB26_30:                              ;   Parent Loop BB26_13 Depth=1
                                        ;     Parent Loop BB26_16 Depth=2
                                        ;       Parent Loop BB26_18 Depth=3
                                        ; =>      This Inner Loop Header: Depth=4
	s_waitcnt lgkmcnt(0)
	v_add_f64 v[25:26], v[13:14], v[11:12]
	ds_cmpstore_rtn_b64 v[25:26], v24, v[25:26], v[13:14]
	s_waitcnt lgkmcnt(0)
	v_cmp_eq_u64_e32 vcc_lo, v[25:26], v[13:14]
	v_dual_mov_b32 v13, v25 :: v_dual_mov_b32 v14, v26
	s_or_b32 s17, vcc_lo, s17
	s_delay_alu instid0(SALU_CYCLE_1)
	s_and_not1_b32 exec_lo, exec_lo, s17
	s_cbranch_execnz .LBB26_30
; %bb.31:                               ;   in Loop: Header=BB26_18 Depth=3
	s_or_b32 exec_lo, exec_lo, s17
	s_delay_alu instid0(SALU_CYCLE_1)
	s_and_not1_b32 s16, s16, exec_lo
	s_branch .LBB26_17
.LBB26_32:
	s_or_b32 exec_lo, exec_lo, s0
.LBB26_33:
	s_delay_alu instid0(SALU_CYCLE_1)
	s_and_not1_b32 vcc_lo, exec_lo, s12
	s_cbranch_vccnz .LBB26_54
; %bb.34:
	s_delay_alu instid0(VALU_DEP_1) | instskip(NEXT) | instid1(VALU_DEP_2)
	v_add_co_u32 v5, vcc_lo, s4, v3
	v_add_co_ci_u32_e32 v6, vcc_lo, s5, v4, vcc_lo
	v_subrev_nc_u32_e32 v7, s27, v19
	s_mov_b32 s0, exec_lo
	global_load_b64 v[5:6], v[5:6], off
	s_waitcnt vmcnt(0)
	v_subrev_nc_u32_e32 v10, s27, v6
	v_add_nc_u32_e32 v5, v5, v7
	s_delay_alu instid0(VALU_DEP_1)
	v_cmpx_lt_i32_e64 v5, v10
	s_cbranch_execz .LBB26_53
; %bb.35:
	s_mov_b32 s2, 0
	s_branch .LBB26_37
.LBB26_36:                              ;   in Loop: Header=BB26_37 Depth=1
	s_or_b32 exec_lo, exec_lo, s3
	v_add_nc_u32_e32 v5, 16, v5
	s_delay_alu instid0(VALU_DEP_1) | instskip(SKIP_1) | instid1(SALU_CYCLE_1)
	v_cmp_ge_i32_e32 vcc_lo, v5, v10
	s_or_b32 s2, vcc_lo, s2
	s_and_not1_b32 exec_lo, exec_lo, s2
	s_cbranch_execz .LBB26_53
.LBB26_37:                              ; =>This Loop Header: Depth=1
                                        ;     Child Loop BB26_39 Depth 2
                                        ;       Child Loop BB26_45 Depth 3
                                        ;       Child Loop BB26_51 Depth 3
	v_ashrrev_i32_e32 v6, 31, v5
	s_mov_b32 s3, 0
	s_delay_alu instid0(VALU_DEP_1) | instskip(SKIP_1) | instid1(VALU_DEP_2)
	v_lshlrev_b64 v[7:8], 3, v[5:6]
	v_lshlrev_b64 v[11:12], 2, v[5:6]
	v_add_co_u32 v7, vcc_lo, s8, v7
	s_delay_alu instid0(VALU_DEP_3) | instskip(NEXT) | instid1(VALU_DEP_3)
	v_add_co_ci_u32_e32 v8, vcc_lo, s9, v8, vcc_lo
	v_add_co_u32 v11, vcc_lo, s6, v11
	s_delay_alu instid0(VALU_DEP_4)
	v_add_co_ci_u32_e32 v12, vcc_lo, s7, v12, vcc_lo
	global_load_b64 v[7:8], v[7:8], off
	global_load_b32 v9, v[11:12], off
	s_waitcnt vmcnt(1)
	v_mul_f64 v[6:7], v[1:2], v[7:8]
	s_waitcnt vmcnt(0)
	v_subrev_nc_u32_e32 v11, s27, v9
	s_delay_alu instid0(VALU_DEP_1) | instskip(NEXT) | instid1(VALU_DEP_1)
	v_lshl_add_u32 v8, v11, 3, v11
	v_and_b32_e32 v12, 31, v8
	s_branch .LBB26_39
.LBB26_38:                              ;   in Loop: Header=BB26_39 Depth=2
	s_or_b32 exec_lo, exec_lo, s4
	s_xor_b32 s4, s5, -1
	s_delay_alu instid0(SALU_CYCLE_1) | instskip(NEXT) | instid1(SALU_CYCLE_1)
	s_and_b32 s4, exec_lo, s4
	s_or_b32 s3, s4, s3
	s_delay_alu instid0(SALU_CYCLE_1)
	s_and_not1_b32 exec_lo, exec_lo, s3
	s_cbranch_execz .LBB26_36
.LBB26_39:                              ;   Parent Loop BB26_37 Depth=1
                                        ; =>  This Loop Header: Depth=2
                                        ;       Child Loop BB26_45 Depth 3
                                        ;       Child Loop BB26_51 Depth 3
	s_delay_alu instid0(VALU_DEP_1)
	v_lshl_add_u32 v8, v12, 2, v17
	s_mov_b32 s4, exec_lo
                                        ; implicit-def: $sgpr5
	ds_load_b32 v9, v8
	s_waitcnt lgkmcnt(0)
	v_cmpx_ne_u32_e64 v9, v11
	s_xor_b32 s4, exec_lo, s4
	s_cbranch_execz .LBB26_49
; %bb.40:                               ;   in Loop: Header=BB26_39 Depth=2
	s_mov_b32 s12, exec_lo
                                        ; implicit-def: $sgpr5
	v_cmpx_ne_u32_e64 s1, v9
	s_xor_b32 s12, exec_lo, s12
; %bb.41:                               ;   in Loop: Header=BB26_39 Depth=2
	v_add_nc_u32_e32 v8, 1, v12
	s_mov_b32 s5, -1
	s_delay_alu instid0(VALU_DEP_1)
	v_and_b32_e32 v12, 31, v8
                                        ; implicit-def: $vgpr8
; %bb.42:                               ;   in Loop: Header=BB26_39 Depth=2
	s_and_not1_saveexec_b32 s12, s12
	s_cbranch_execz .LBB26_48
; %bb.43:                               ;   in Loop: Header=BB26_39 Depth=2
	v_mov_b32_e32 v9, s1
	s_mov_b32 s14, -1
	s_mov_b32 s13, exec_lo
	ds_cmpstore_rtn_b32 v8, v8, v11, v9
	s_waitcnt lgkmcnt(0)
	v_cmpx_eq_u32_e64 s1, v8
	s_cbranch_execz .LBB26_47
; %bb.44:                               ;   in Loop: Header=BB26_39 Depth=2
	v_lshl_add_u32 v13, v12, 3, v18
	s_mov_b32 s14, 0
	ds_load_b64 v[8:9], v13
.LBB26_45:                              ;   Parent Loop BB26_37 Depth=1
                                        ;     Parent Loop BB26_39 Depth=2
                                        ; =>    This Inner Loop Header: Depth=3
	s_waitcnt lgkmcnt(0)
	v_add_f64 v[19:20], v[8:9], v[6:7]
	ds_cmpstore_rtn_b64 v[19:20], v13, v[19:20], v[8:9]
	s_waitcnt lgkmcnt(0)
	v_cmp_eq_u64_e32 vcc_lo, v[19:20], v[8:9]
	v_dual_mov_b32 v8, v19 :: v_dual_mov_b32 v9, v20
	s_or_b32 s14, vcc_lo, s14
	s_delay_alu instid0(SALU_CYCLE_1)
	s_and_not1_b32 exec_lo, exec_lo, s14
	s_cbranch_execnz .LBB26_45
; %bb.46:                               ;   in Loop: Header=BB26_39 Depth=2
	s_or_b32 exec_lo, exec_lo, s14
	s_delay_alu instid0(SALU_CYCLE_1)
	s_xor_b32 s14, exec_lo, -1
.LBB26_47:                              ;   in Loop: Header=BB26_39 Depth=2
	s_or_b32 exec_lo, exec_lo, s13
	s_delay_alu instid0(SALU_CYCLE_1) | instskip(SKIP_1) | instid1(SALU_CYCLE_1)
	s_and_not1_b32 s5, s5, exec_lo
	s_and_b32 s13, s14, exec_lo
	s_or_b32 s5, s5, s13
.LBB26_48:                              ;   in Loop: Header=BB26_39 Depth=2
	s_or_b32 exec_lo, exec_lo, s12
	s_delay_alu instid0(SALU_CYCLE_1)
	s_and_b32 s5, s5, exec_lo
.LBB26_49:                              ;   in Loop: Header=BB26_39 Depth=2
	s_and_not1_saveexec_b32 s4, s4
	s_cbranch_execz .LBB26_38
; %bb.50:                               ;   in Loop: Header=BB26_39 Depth=2
	v_lshl_add_u32 v13, v12, 3, v18
	s_mov_b32 s12, 0
	ds_load_b64 v[8:9], v13
.LBB26_51:                              ;   Parent Loop BB26_37 Depth=1
                                        ;     Parent Loop BB26_39 Depth=2
                                        ; =>    This Inner Loop Header: Depth=3
	s_waitcnt lgkmcnt(0)
	v_add_f64 v[19:20], v[8:9], v[6:7]
	ds_cmpstore_rtn_b64 v[19:20], v13, v[19:20], v[8:9]
	s_waitcnt lgkmcnt(0)
	v_cmp_eq_u64_e32 vcc_lo, v[19:20], v[8:9]
	v_dual_mov_b32 v8, v19 :: v_dual_mov_b32 v9, v20
	s_or_b32 s12, vcc_lo, s12
	s_delay_alu instid0(SALU_CYCLE_1)
	s_and_not1_b32 exec_lo, exec_lo, s12
	s_cbranch_execnz .LBB26_51
; %bb.52:                               ;   in Loop: Header=BB26_39 Depth=2
	s_or_b32 exec_lo, exec_lo, s12
	s_delay_alu instid0(SALU_CYCLE_1)
	s_and_not1_b32 s5, s5, exec_lo
	s_branch .LBB26_38
.LBB26_53:
	s_or_b32 exec_lo, exec_lo, s0
.LBB26_54:
	s_delay_alu instid0(VALU_DEP_1) | instskip(NEXT) | instid1(VALU_DEP_2)
	v_add_co_u32 v1, vcc_lo, s10, v3
	v_add_co_ci_u32_e32 v2, vcc_lo, s11, v4, vcc_lo
	buffer_gl0_inv
	s_mov_b32 s0, 0
	global_load_b32 v1, v[1:2], off
	s_waitcnt vmcnt(0)
	v_subrev_nc_u32_e32 v1, s26, v1
	s_branch .LBB26_56
.LBB26_55:                              ;   in Loop: Header=BB26_56 Depth=1
	s_or_b32 exec_lo, exec_lo, s2
	v_add_co_u32 v16, s2, v16, 16
	s_delay_alu instid0(VALU_DEP_1) | instskip(SKIP_3) | instid1(SALU_CYCLE_1)
	s_xor_b32 s2, s2, -1
	v_add_nc_u32_e32 v15, 0x80, v15
	v_add_nc_u32_e32 v0, 64, v0
	s_and_b32 s2, exec_lo, s2
	s_or_b32 s0, s2, s0
	s_delay_alu instid0(SALU_CYCLE_1)
	s_and_not1_b32 exec_lo, exec_lo, s0
	s_cbranch_execz .LBB26_58
.LBB26_56:                              ; =>This Inner Loop Header: Depth=1
	ds_load_b32 v2, v0
	s_mov_b32 s2, exec_lo
	s_waitcnt lgkmcnt(0)
	v_cmpx_gt_i32_e64 s1, v2
	s_cbranch_execz .LBB26_55
; %bb.57:                               ;   in Loop: Header=BB26_56 Depth=1
	ds_load_b128 v[3:6], v17
	ds_load_b128 v[7:10], v17 offset:16
	ds_load_b128 v[11:14], v17 offset:32
	;; [unrolled: 1-line block ×7, first 2 shown]
	s_waitcnt lgkmcnt(7)
	v_cmp_gt_i32_e32 vcc_lo, v2, v3
	v_cndmask_b32_e64 v3, 0, 1, vcc_lo
	v_cmp_gt_i32_e32 vcc_lo, v2, v5
	v_cndmask_b32_e64 v5, 0, 1, vcc_lo
	v_cmp_gt_i32_e32 vcc_lo, v2, v4
	s_delay_alu instid0(VALU_DEP_4)
	v_add_co_ci_u32_e32 v3, vcc_lo, v1, v3, vcc_lo
	s_waitcnt lgkmcnt(6)
	v_cmp_gt_i32_e32 vcc_lo, v2, v7
	v_cndmask_b32_e64 v4, 0, 1, vcc_lo
	v_cmp_gt_i32_e32 vcc_lo, v2, v6
	v_add_co_ci_u32_e32 v3, vcc_lo, v3, v5, vcc_lo
	v_cmp_gt_i32_e32 vcc_lo, v2, v9
	v_add_nc_u32_e32 v9, s26, v2
	v_cndmask_b32_e64 v5, 0, 1, vcc_lo
	v_cmp_gt_i32_e32 vcc_lo, v2, v8
	v_add_co_ci_u32_e32 v3, vcc_lo, v3, v4, vcc_lo
	s_waitcnt lgkmcnt(5)
	v_cmp_gt_i32_e32 vcc_lo, v2, v11
	v_cndmask_b32_e64 v4, 0, 1, vcc_lo
	v_cmp_gt_i32_e32 vcc_lo, v2, v10
	v_add_co_ci_u32_e32 v3, vcc_lo, v3, v5, vcc_lo
	v_cmp_gt_i32_e32 vcc_lo, v2, v13
	v_cndmask_b32_e64 v5, 0, 1, vcc_lo
	v_cmp_gt_i32_e32 vcc_lo, v2, v12
	s_delay_alu instid0(VALU_DEP_4)
	v_add_co_ci_u32_e32 v3, vcc_lo, v3, v4, vcc_lo
	s_waitcnt lgkmcnt(4)
	v_cmp_gt_i32_e32 vcc_lo, v2, v18
	v_cndmask_b32_e64 v4, 0, 1, vcc_lo
	v_cmp_gt_i32_e32 vcc_lo, v2, v14
	v_add_co_ci_u32_e32 v3, vcc_lo, v3, v5, vcc_lo
	v_cmp_gt_i32_e32 vcc_lo, v2, v20
	v_cndmask_b32_e64 v5, 0, 1, vcc_lo
	v_cmp_gt_i32_e32 vcc_lo, v2, v19
	s_delay_alu instid0(VALU_DEP_4)
	;; [unrolled: 10-line block ×5, first 2 shown]
	v_add_co_ci_u32_e32 v3, vcc_lo, v3, v4, vcc_lo
	s_waitcnt lgkmcnt(0)
	v_cmp_gt_i32_e32 vcc_lo, v2, v34
	v_cndmask_b32_e64 v4, 0, 1, vcc_lo
	v_cmp_gt_i32_e32 vcc_lo, v2, v33
	v_add_co_ci_u32_e32 v3, vcc_lo, v3, v5, vcc_lo
	v_cmp_gt_i32_e32 vcc_lo, v2, v36
	v_cndmask_b32_e64 v5, 0, 1, vcc_lo
	v_cmp_gt_i32_e32 vcc_lo, v2, v35
	s_delay_alu instid0(VALU_DEP_4) | instskip(SKIP_1) | instid1(VALU_DEP_2)
	v_add_co_ci_u32_e32 v3, vcc_lo, v3, v4, vcc_lo
	v_cmp_gt_i32_e32 vcc_lo, v2, v37
	v_add_co_ci_u32_e32 v3, vcc_lo, v3, v5, vcc_lo
	ds_load_b64 v[5:6], v15
	v_ashrrev_i32_e32 v4, 31, v3
	s_delay_alu instid0(VALU_DEP_1) | instskip(SKIP_1) | instid1(VALU_DEP_2)
	v_lshlrev_b64 v[7:8], 2, v[3:4]
	v_lshlrev_b64 v[2:3], 3, v[3:4]
	v_add_co_u32 v7, vcc_lo, s28, v7
	s_delay_alu instid0(VALU_DEP_3) | instskip(NEXT) | instid1(VALU_DEP_3)
	v_add_co_ci_u32_e32 v8, vcc_lo, s29, v8, vcc_lo
	v_add_co_u32 v2, vcc_lo, s30, v2
	s_delay_alu instid0(VALU_DEP_4)
	v_add_co_ci_u32_e32 v3, vcc_lo, s31, v3, vcc_lo
	global_store_b32 v[7:8], v9, off
	s_waitcnt lgkmcnt(0)
	global_store_b64 v[2:3], v[5:6], off
	s_branch .LBB26_55
.LBB26_58:
	s_nop 0
	s_sendmsg sendmsg(MSG_DEALLOC_VGPRS)
	s_endpgm
	.section	.rodata,"a",@progbits
	.p2align	6, 0x0
	.amdhsa_kernel _ZN9rocsparseL23csrgemm_fill_wf_per_rowILj256ELj16ELj32ELj137EiidEEvT4_S1_PKS1_S3_NS_24const_host_device_scalarIT5_EEPKT3_S3_PKS5_S9_S3_SB_S6_S9_S3_SB_S9_PS1_PS5_21rocsparse_index_base_SE_SE_SE_bbb
		.amdhsa_group_segment_fixed_size 6144
		.amdhsa_private_segment_fixed_size 0
		.amdhsa_kernarg_size 156
		.amdhsa_user_sgpr_count 15
		.amdhsa_user_sgpr_dispatch_ptr 0
		.amdhsa_user_sgpr_queue_ptr 0
		.amdhsa_user_sgpr_kernarg_segment_ptr 1
		.amdhsa_user_sgpr_dispatch_id 0
		.amdhsa_user_sgpr_private_segment_size 0
		.amdhsa_wavefront_size32 1
		.amdhsa_uses_dynamic_stack 0
		.amdhsa_enable_private_segment 0
		.amdhsa_system_sgpr_workgroup_id_x 1
		.amdhsa_system_sgpr_workgroup_id_y 0
		.amdhsa_system_sgpr_workgroup_id_z 0
		.amdhsa_system_sgpr_workgroup_info 0
		.amdhsa_system_vgpr_workitem_id 0
		.amdhsa_next_free_vgpr 38
		.amdhsa_next_free_sgpr 44
		.amdhsa_reserve_vcc 1
		.amdhsa_float_round_mode_32 0
		.amdhsa_float_round_mode_16_64 0
		.amdhsa_float_denorm_mode_32 3
		.amdhsa_float_denorm_mode_16_64 3
		.amdhsa_dx10_clamp 1
		.amdhsa_ieee_mode 1
		.amdhsa_fp16_overflow 0
		.amdhsa_workgroup_processor_mode 1
		.amdhsa_memory_ordered 1
		.amdhsa_forward_progress 0
		.amdhsa_shared_vgpr_count 0
		.amdhsa_exception_fp_ieee_invalid_op 0
		.amdhsa_exception_fp_denorm_src 0
		.amdhsa_exception_fp_ieee_div_zero 0
		.amdhsa_exception_fp_ieee_overflow 0
		.amdhsa_exception_fp_ieee_underflow 0
		.amdhsa_exception_fp_ieee_inexact 0
		.amdhsa_exception_int_div_zero 0
	.end_amdhsa_kernel
	.section	.text._ZN9rocsparseL23csrgemm_fill_wf_per_rowILj256ELj16ELj32ELj137EiidEEvT4_S1_PKS1_S3_NS_24const_host_device_scalarIT5_EEPKT3_S3_PKS5_S9_S3_SB_S6_S9_S3_SB_S9_PS1_PS5_21rocsparse_index_base_SE_SE_SE_bbb,"axG",@progbits,_ZN9rocsparseL23csrgemm_fill_wf_per_rowILj256ELj16ELj32ELj137EiidEEvT4_S1_PKS1_S3_NS_24const_host_device_scalarIT5_EEPKT3_S3_PKS5_S9_S3_SB_S6_S9_S3_SB_S9_PS1_PS5_21rocsparse_index_base_SE_SE_SE_bbb,comdat
.Lfunc_end26:
	.size	_ZN9rocsparseL23csrgemm_fill_wf_per_rowILj256ELj16ELj32ELj137EiidEEvT4_S1_PKS1_S3_NS_24const_host_device_scalarIT5_EEPKT3_S3_PKS5_S9_S3_SB_S6_S9_S3_SB_S9_PS1_PS5_21rocsparse_index_base_SE_SE_SE_bbb, .Lfunc_end26-_ZN9rocsparseL23csrgemm_fill_wf_per_rowILj256ELj16ELj32ELj137EiidEEvT4_S1_PKS1_S3_NS_24const_host_device_scalarIT5_EEPKT3_S3_PKS5_S9_S3_SB_S6_S9_S3_SB_S9_PS1_PS5_21rocsparse_index_base_SE_SE_SE_bbb
                                        ; -- End function
	.section	.AMDGPU.csdata,"",@progbits
; Kernel info:
; codeLenInByte = 2592
; NumSgprs: 46
; NumVgprs: 38
; ScratchSize: 0
; MemoryBound: 0
; FloatMode: 240
; IeeeMode: 1
; LDSByteSize: 6144 bytes/workgroup (compile time only)
; SGPRBlocks: 5
; VGPRBlocks: 4
; NumSGPRsForWavesPerEU: 46
; NumVGPRsForWavesPerEU: 38
; Occupancy: 16
; WaveLimiterHint : 1
; COMPUTE_PGM_RSRC2:SCRATCH_EN: 0
; COMPUTE_PGM_RSRC2:USER_SGPR: 15
; COMPUTE_PGM_RSRC2:TRAP_HANDLER: 0
; COMPUTE_PGM_RSRC2:TGID_X_EN: 1
; COMPUTE_PGM_RSRC2:TGID_Y_EN: 0
; COMPUTE_PGM_RSRC2:TGID_Z_EN: 0
; COMPUTE_PGM_RSRC2:TIDIG_COMP_CNT: 0
	.section	.text._ZN9rocsparseL26csrgemm_fill_block_per_rowILj128ELj16ELj256ELj137ELj32EiidEEvT5_PKS1_S3_NS_24const_host_device_scalarIT6_EEPKT4_S3_PKS5_S9_S3_SB_S6_S9_S3_SB_S9_PS1_PS5_21rocsparse_index_base_SE_SE_SE_bbb,"axG",@progbits,_ZN9rocsparseL26csrgemm_fill_block_per_rowILj128ELj16ELj256ELj137ELj32EiidEEvT5_PKS1_S3_NS_24const_host_device_scalarIT6_EEPKT4_S3_PKS5_S9_S3_SB_S6_S9_S3_SB_S9_PS1_PS5_21rocsparse_index_base_SE_SE_SE_bbb,comdat
	.globl	_ZN9rocsparseL26csrgemm_fill_block_per_rowILj128ELj16ELj256ELj137ELj32EiidEEvT5_PKS1_S3_NS_24const_host_device_scalarIT6_EEPKT4_S3_PKS5_S9_S3_SB_S6_S9_S3_SB_S9_PS1_PS5_21rocsparse_index_base_SE_SE_SE_bbb ; -- Begin function _ZN9rocsparseL26csrgemm_fill_block_per_rowILj128ELj16ELj256ELj137ELj32EiidEEvT5_PKS1_S3_NS_24const_host_device_scalarIT6_EEPKT4_S3_PKS5_S9_S3_SB_S6_S9_S3_SB_S9_PS1_PS5_21rocsparse_index_base_SE_SE_SE_bbb
	.p2align	8
	.type	_ZN9rocsparseL26csrgemm_fill_block_per_rowILj128ELj16ELj256ELj137ELj32EiidEEvT5_PKS1_S3_NS_24const_host_device_scalarIT6_EEPKT4_S3_PKS5_S9_S3_SB_S6_S9_S3_SB_S9_PS1_PS5_21rocsparse_index_base_SE_SE_SE_bbb,@function
_ZN9rocsparseL26csrgemm_fill_block_per_rowILj128ELj16ELj256ELj137ELj32EiidEEvT5_PKS1_S3_NS_24const_host_device_scalarIT6_EEPKT4_S3_PKS5_S9_S3_SB_S6_S9_S3_SB_S9_PS1_PS5_21rocsparse_index_base_SE_SE_SE_bbb: ; @_ZN9rocsparseL26csrgemm_fill_block_per_rowILj128ELj16ELj256ELj137ELj32EiidEEvT5_PKS1_S3_NS_24const_host_device_scalarIT6_EEPKT4_S3_PKS5_S9_S3_SB_S6_S9_S3_SB_S9_PS1_PS5_21rocsparse_index_base_SE_SE_SE_bbb
; %bb.0:
	s_clause 0x2
	s_load_b32 s6, s[0:1], 0x98
	s_load_b64 s[4:5], s[0:1], 0x18
	s_load_b64 s[2:3], s[0:1], 0x50
	s_waitcnt lgkmcnt(0)
	s_and_b32 s8, 1, s6
	s_bitcmp1_b32 s6, 16
	s_cselect_b32 s7, -1, 0
	s_cmp_eq_u32 s8, 1
	s_cselect_b32 s13, -1, 0
	s_delay_alu instid0(SALU_CYCLE_1)
	s_and_b32 s8, s13, exec_lo
	s_cselect_b32 s9, s5, 0
	s_cselect_b32 s8, s4, 0
	s_xor_b32 s10, s13, -1
	v_dual_mov_b32 v3, s8 :: v_dual_mov_b32 v4, s9
	s_or_b32 s10, s10, s7
	s_delay_alu instid0(SALU_CYCLE_1)
	s_and_b32 vcc_lo, exec_lo, s10
	s_cbranch_vccnz .LBB27_2
; %bb.1:
	v_dual_mov_b32 v1, s4 :: v_dual_mov_b32 v2, s5
	flat_load_b64 v[3:4], v[1:2]
.LBB27_2:
	s_load_b128 s[24:27], s[0:1], 0x88
	s_bitcmp1_b32 s6, 8
	s_cselect_b32 s33, -1, 0
	s_delay_alu instid0(SALU_CYCLE_1)
	s_and_b32 s4, s33, exec_lo
	s_cselect_b32 s5, s3, 0
	s_cselect_b32 s4, s2, 0
	s_xor_b32 s6, s33, -1
	v_dual_mov_b32 v1, s4 :: v_dual_mov_b32 v2, s5
	s_or_b32 s6, s6, s7
	s_delay_alu instid0(SALU_CYCLE_1)
	s_and_b32 vcc_lo, exec_lo, s6
	s_cbranch_vccnz .LBB27_4
; %bb.3:
	v_dual_mov_b32 v1, s2 :: v_dual_mov_b32 v2, s3
	flat_load_b64 v[1:2], v[1:2]
.LBB27_4:
	s_clause 0x5
	s_load_b128 s[28:31], s[0:1], 0x78
	s_load_b256 s[4:11], s[0:1], 0x58
	s_load_b128 s[36:39], s[0:1], 0x40
	s_load_b256 s[16:23], s[0:1], 0x20
	s_load_b128 s[40:43], s[0:1], 0x8
	s_load_b32 s14, s[0:1], 0x0
	v_cmp_gt_u32_e64 s0, 0x100, v0
	v_lshlrev_b32_e32 v17, 3, v0
	v_or_b32_e32 v15, 0xffffff80, v0
	v_lshl_add_u32 v16, v0, 2, 0
	s_delay_alu instid0(VALU_DEP_4)
	s_and_saveexec_b32 s1, s0
	s_cbranch_execz .LBB27_7
; %bb.5:
	s_waitcnt lgkmcnt(0)
	v_dual_mov_b32 v5, 0 :: v_dual_mov_b32 v10, s14
	v_add3_u32 v7, v17, 0, 0x400
	v_or_b32_e32 v8, 0xffffff80, v0
	v_lshl_add_u32 v9, v0, 2, 0
	s_delay_alu instid0(VALU_DEP_4)
	v_mov_b32_e32 v6, v5
	s_mov_b32 s2, 0
.LBB27_6:                               ; =>This Inner Loop Header: Depth=1
	s_delay_alu instid0(VALU_DEP_3) | instskip(NEXT) | instid1(VALU_DEP_1)
	v_add_co_u32 v8, s3, 0x80, v8
	s_xor_b32 s3, s3, -1
	ds_store_b32 v9, v10
	ds_store_b64 v7, v[5:6]
	v_add_nc_u32_e32 v7, 0x400, v7
	v_add_nc_u32_e32 v9, 0x200, v9
	s_and_b32 s3, exec_lo, s3
	s_delay_alu instid0(SALU_CYCLE_1) | instskip(NEXT) | instid1(SALU_CYCLE_1)
	s_or_b32 s2, s3, s2
	s_and_not1_b32 exec_lo, exec_lo, s2
	s_cbranch_execnz .LBB27_6
.LBB27_7:
	s_or_b32 exec_lo, exec_lo, s1
	s_waitcnt vmcnt(0) lgkmcnt(0)
	s_barrier
	buffer_gl0_inv
	s_load_b32 s1, s[40:41], 0x0
	s_mov_b32 s3, 0
	s_waitcnt lgkmcnt(0)
	s_add_i32 s2, s1, s15
	s_delay_alu instid0(SALU_CYCLE_1) | instskip(NEXT) | instid1(SALU_CYCLE_1)
	s_lshl_b64 s[2:3], s[2:3], 2
	s_add_u32 s2, s42, s2
	s_addc_u32 s3, s43, s3
	s_and_b32 vcc_lo, exec_lo, s13
	s_load_b32 s12, s[2:3], 0x0
	s_cbranch_vccz .LBB27_31
; %bb.8:
	s_waitcnt lgkmcnt(0)
	s_ashr_i32 s13, s12, 31
	v_lshrrev_b32_e32 v5, 4, v0
	s_lshl_b64 s[2:3], s[12:13], 2
	s_delay_alu instid0(SALU_CYCLE_1) | instskip(SKIP_1) | instid1(VALU_DEP_1)
	s_add_u32 s2, s16, s2
	s_addc_u32 s3, s17, s3
	v_subrev_nc_u32_e32 v5, s24, v5
	s_load_b64 s[2:3], s[2:3], 0x0
	s_waitcnt lgkmcnt(0)
	s_delay_alu instid0(VALU_DEP_1) | instskip(SKIP_2) | instid1(VALU_DEP_1)
	v_add_nc_u32_e32 v5, s2, v5
	s_sub_i32 s1, s3, s24
	s_mov_b32 s2, exec_lo
	v_cmpx_gt_i32_e64 s1, v5
	s_cbranch_execz .LBB27_30
; %bb.9:
	v_and_b32_e32 v6, 15, v0
	s_mov_b32 s3, 0
	s_delay_alu instid0(VALU_DEP_1)
	v_subrev_nc_u32_e32 v18, s25, v6
	s_branch .LBB27_11
.LBB27_10:                              ;   in Loop: Header=BB27_11 Depth=1
	s_or_b32 exec_lo, exec_lo, s13
	v_add_nc_u32_e32 v5, 8, v5
	s_delay_alu instid0(VALU_DEP_1) | instskip(SKIP_1) | instid1(SALU_CYCLE_1)
	v_cmp_le_i32_e32 vcc_lo, s1, v5
	s_or_b32 s3, vcc_lo, s3
	s_and_not1_b32 exec_lo, exec_lo, s3
	s_cbranch_execz .LBB27_30
.LBB27_11:                              ; =>This Loop Header: Depth=1
                                        ;     Child Loop BB27_14 Depth 2
                                        ;       Child Loop BB27_16 Depth 3
                                        ;         Child Loop BB27_22 Depth 4
                                        ;         Child Loop BB27_28 Depth 4
	v_ashrrev_i32_e32 v6, 31, v5
	s_mov_b32 s13, exec_lo
	s_delay_alu instid0(VALU_DEP_1) | instskip(NEXT) | instid1(VALU_DEP_1)
	v_lshlrev_b64 v[7:8], 2, v[5:6]
	v_add_co_u32 v7, vcc_lo, s18, v7
	s_delay_alu instid0(VALU_DEP_2) | instskip(SKIP_3) | instid1(VALU_DEP_1)
	v_add_co_ci_u32_e32 v8, vcc_lo, s19, v8, vcc_lo
	global_load_b32 v7, v[7:8], off
	s_waitcnt vmcnt(0)
	v_subrev_nc_u32_e32 v7, s24, v7
	v_ashrrev_i32_e32 v8, 31, v7
	s_delay_alu instid0(VALU_DEP_1) | instskip(NEXT) | instid1(VALU_DEP_1)
	v_lshlrev_b64 v[7:8], 2, v[7:8]
	v_add_co_u32 v7, vcc_lo, s22, v7
	s_delay_alu instid0(VALU_DEP_2) | instskip(SKIP_4) | instid1(VALU_DEP_1)
	v_add_co_ci_u32_e32 v8, vcc_lo, s23, v8, vcc_lo
	global_load_b64 v[7:8], v[7:8], off
	s_waitcnt vmcnt(0)
	v_subrev_nc_u32_e32 v19, s25, v8
	v_add_nc_u32_e32 v7, v7, v18
	v_cmpx_lt_i32_e64 v7, v19
	s_cbranch_execz .LBB27_10
; %bb.12:                               ;   in Loop: Header=BB27_11 Depth=1
	v_lshlrev_b64 v[8:9], 3, v[5:6]
	s_mov_b32 s15, 0
	s_delay_alu instid0(VALU_DEP_1) | instskip(NEXT) | instid1(VALU_DEP_2)
	v_add_co_u32 v8, vcc_lo, s20, v8
	v_add_co_ci_u32_e32 v9, vcc_lo, s21, v9, vcc_lo
	global_load_b64 v[8:9], v[8:9], off
	s_waitcnt vmcnt(0)
	v_mul_f64 v[9:10], v[3:4], v[8:9]
	s_branch .LBB27_14
.LBB27_13:                              ;   in Loop: Header=BB27_14 Depth=2
	s_or_b32 exec_lo, exec_lo, s16
	v_add_nc_u32_e32 v7, 16, v7
	s_delay_alu instid0(VALU_DEP_1) | instskip(SKIP_1) | instid1(SALU_CYCLE_1)
	v_cmp_ge_i32_e32 vcc_lo, v7, v19
	s_or_b32 s15, vcc_lo, s15
	s_and_not1_b32 exec_lo, exec_lo, s15
	s_cbranch_execz .LBB27_10
.LBB27_14:                              ;   Parent Loop BB27_11 Depth=1
                                        ; =>  This Loop Header: Depth=2
                                        ;       Child Loop BB27_16 Depth 3
                                        ;         Child Loop BB27_22 Depth 4
                                        ;         Child Loop BB27_28 Depth 4
	v_ashrrev_i32_e32 v8, 31, v7
	s_mov_b32 s16, 0
	s_delay_alu instid0(VALU_DEP_1) | instskip(SKIP_1) | instid1(VALU_DEP_2)
	v_lshlrev_b64 v[11:12], 3, v[7:8]
	v_lshlrev_b64 v[13:14], 2, v[7:8]
	v_add_co_u32 v11, vcc_lo, s38, v11
	s_delay_alu instid0(VALU_DEP_3) | instskip(NEXT) | instid1(VALU_DEP_3)
	v_add_co_ci_u32_e32 v12, vcc_lo, s39, v12, vcc_lo
	v_add_co_u32 v13, vcc_lo, s36, v13
	s_delay_alu instid0(VALU_DEP_4)
	v_add_co_ci_u32_e32 v14, vcc_lo, s37, v14, vcc_lo
	global_load_b64 v[11:12], v[11:12], off
	global_load_b32 v6, v[13:14], off
	s_waitcnt vmcnt(1)
	v_mul_f64 v[11:12], v[9:10], v[11:12]
	s_waitcnt vmcnt(0)
	v_subrev_nc_u32_e32 v6, s25, v6
	s_delay_alu instid0(VALU_DEP_1) | instskip(NEXT) | instid1(VALU_DEP_1)
	v_mul_lo_u32 v8, 0x89, v6
	v_and_b32_e32 v8, 0xff, v8
	s_branch .LBB27_16
.LBB27_15:                              ;   in Loop: Header=BB27_16 Depth=3
	s_or_b32 exec_lo, exec_lo, s17
	s_xor_b32 s17, s34, -1
	s_delay_alu instid0(SALU_CYCLE_1) | instskip(NEXT) | instid1(SALU_CYCLE_1)
	s_and_b32 s17, exec_lo, s17
	s_or_b32 s16, s17, s16
	s_delay_alu instid0(SALU_CYCLE_1)
	s_and_not1_b32 exec_lo, exec_lo, s16
	s_cbranch_execz .LBB27_13
.LBB27_16:                              ;   Parent Loop BB27_11 Depth=1
                                        ;     Parent Loop BB27_14 Depth=2
                                        ; =>    This Loop Header: Depth=3
                                        ;         Child Loop BB27_22 Depth 4
                                        ;         Child Loop BB27_28 Depth 4
	s_delay_alu instid0(VALU_DEP_1)
	v_lshl_add_u32 v13, v8, 2, 0
	s_mov_b32 s17, exec_lo
                                        ; implicit-def: $sgpr34
	ds_load_b32 v14, v13
	s_waitcnt lgkmcnt(0)
	v_cmpx_ne_u32_e64 v14, v6
	s_xor_b32 s17, exec_lo, s17
	s_cbranch_execz .LBB27_26
; %bb.17:                               ;   in Loop: Header=BB27_16 Depth=3
	s_mov_b32 s35, exec_lo
                                        ; implicit-def: $sgpr34
	v_cmpx_ne_u32_e64 s14, v14
	s_xor_b32 s35, exec_lo, s35
; %bb.18:                               ;   in Loop: Header=BB27_16 Depth=3
	v_add_nc_u32_e32 v8, 1, v8
	s_mov_b32 s34, -1
                                        ; implicit-def: $vgpr13
	s_delay_alu instid0(VALU_DEP_1)
	v_and_b32_e32 v8, 0xff, v8
; %bb.19:                               ;   in Loop: Header=BB27_16 Depth=3
	s_and_not1_saveexec_b32 s35, s35
	s_cbranch_execz .LBB27_25
; %bb.20:                               ;   in Loop: Header=BB27_16 Depth=3
	v_mov_b32_e32 v14, s14
	s_mov_b32 s41, -1
	s_mov_b32 s40, exec_lo
	ds_cmpstore_rtn_b32 v14, v13, v6, v14
	s_waitcnt lgkmcnt(0)
	v_cmpx_eq_u32_e64 s14, v14
	s_cbranch_execz .LBB27_24
; %bb.21:                               ;   in Loop: Header=BB27_16 Depth=3
	v_lshlrev_b32_e32 v14, 2, v8
	s_mov_b32 s41, 0
	s_delay_alu instid0(VALU_DEP_1)
	v_add_nc_u32_e32 v20, v13, v14
	ds_load_b64 v[13:14], v20 offset:1024
.LBB27_22:                              ;   Parent Loop BB27_11 Depth=1
                                        ;     Parent Loop BB27_14 Depth=2
                                        ;       Parent Loop BB27_16 Depth=3
                                        ; =>      This Inner Loop Header: Depth=4
	s_waitcnt lgkmcnt(0)
	v_add_f64 v[21:22], v[13:14], v[11:12]
	ds_cmpstore_rtn_b64 v[21:22], v20, v[21:22], v[13:14] offset:1024
	s_waitcnt lgkmcnt(0)
	v_cmp_eq_u64_e32 vcc_lo, v[21:22], v[13:14]
	v_dual_mov_b32 v13, v21 :: v_dual_mov_b32 v14, v22
	s_or_b32 s41, vcc_lo, s41
	s_delay_alu instid0(SALU_CYCLE_1)
	s_and_not1_b32 exec_lo, exec_lo, s41
	s_cbranch_execnz .LBB27_22
; %bb.23:                               ;   in Loop: Header=BB27_16 Depth=3
	s_or_b32 exec_lo, exec_lo, s41
	s_delay_alu instid0(SALU_CYCLE_1)
	s_xor_b32 s41, exec_lo, -1
.LBB27_24:                              ;   in Loop: Header=BB27_16 Depth=3
	s_or_b32 exec_lo, exec_lo, s40
	s_delay_alu instid0(SALU_CYCLE_1) | instskip(SKIP_1) | instid1(SALU_CYCLE_1)
	s_and_not1_b32 s34, s34, exec_lo
	s_and_b32 s40, s41, exec_lo
	s_or_b32 s34, s34, s40
.LBB27_25:                              ;   in Loop: Header=BB27_16 Depth=3
	s_or_b32 exec_lo, exec_lo, s35
	s_delay_alu instid0(SALU_CYCLE_1)
	s_and_b32 s34, s34, exec_lo
                                        ; implicit-def: $vgpr13
.LBB27_26:                              ;   in Loop: Header=BB27_16 Depth=3
	s_and_not1_saveexec_b32 s17, s17
	s_cbranch_execz .LBB27_15
; %bb.27:                               ;   in Loop: Header=BB27_16 Depth=3
	v_lshlrev_b32_e32 v14, 2, v8
	s_mov_b32 s35, 0
	s_delay_alu instid0(VALU_DEP_1)
	v_add_nc_u32_e32 v20, v13, v14
	ds_load_b64 v[13:14], v20 offset:1024
.LBB27_28:                              ;   Parent Loop BB27_11 Depth=1
                                        ;     Parent Loop BB27_14 Depth=2
                                        ;       Parent Loop BB27_16 Depth=3
                                        ; =>      This Inner Loop Header: Depth=4
	s_waitcnt lgkmcnt(0)
	v_add_f64 v[21:22], v[13:14], v[11:12]
	ds_cmpstore_rtn_b64 v[21:22], v20, v[21:22], v[13:14] offset:1024
	s_waitcnt lgkmcnt(0)
	v_cmp_eq_u64_e32 vcc_lo, v[21:22], v[13:14]
	v_dual_mov_b32 v13, v21 :: v_dual_mov_b32 v14, v22
	s_or_b32 s35, vcc_lo, s35
	s_delay_alu instid0(SALU_CYCLE_1)
	s_and_not1_b32 exec_lo, exec_lo, s35
	s_cbranch_execnz .LBB27_28
; %bb.29:                               ;   in Loop: Header=BB27_16 Depth=3
	s_or_b32 exec_lo, exec_lo, s35
	s_delay_alu instid0(SALU_CYCLE_1)
	s_and_not1_b32 s34, s34, exec_lo
	s_branch .LBB27_15
.LBB27_30:
	s_or_b32 exec_lo, exec_lo, s2
.LBB27_31:
	s_delay_alu instid0(SALU_CYCLE_1)
	s_and_not1_b32 vcc_lo, exec_lo, s33
	s_cbranch_vccnz .LBB27_52
; %bb.32:
	s_waitcnt lgkmcnt(0)
	s_ashr_i32 s13, s12, 31
	v_subrev_nc_u32_e32 v3, s27, v0
	s_lshl_b64 s[2:3], s[12:13], 2
	s_delay_alu instid0(SALU_CYCLE_1)
	s_add_u32 s2, s4, s2
	s_addc_u32 s3, s5, s3
	s_load_b64 s[2:3], s[2:3], 0x0
	s_waitcnt lgkmcnt(0)
	v_add_nc_u32_e32 v3, s2, v3
	s_sub_i32 s1, s3, s27
	s_mov_b32 s2, exec_lo
	s_delay_alu instid0(VALU_DEP_1)
	v_cmpx_gt_i32_e64 s1, v3
	s_cbranch_execz .LBB27_51
; %bb.33:
	s_mov_b32 s3, 0
	s_branch .LBB27_35
.LBB27_34:                              ;   in Loop: Header=BB27_35 Depth=1
	s_or_b32 exec_lo, exec_lo, s4
	v_add_nc_u32_e32 v3, 0x80, v3
	s_delay_alu instid0(VALU_DEP_1) | instskip(SKIP_1) | instid1(SALU_CYCLE_1)
	v_cmp_le_i32_e32 vcc_lo, s1, v3
	s_or_b32 s3, vcc_lo, s3
	s_and_not1_b32 exec_lo, exec_lo, s3
	s_cbranch_execz .LBB27_51
.LBB27_35:                              ; =>This Loop Header: Depth=1
                                        ;     Child Loop BB27_37 Depth 2
                                        ;       Child Loop BB27_43 Depth 3
                                        ;       Child Loop BB27_49 Depth 3
	v_ashrrev_i32_e32 v4, 31, v3
	s_mov_b32 s4, 0
	s_delay_alu instid0(VALU_DEP_1) | instskip(SKIP_1) | instid1(VALU_DEP_2)
	v_lshlrev_b64 v[5:6], 3, v[3:4]
	v_lshlrev_b64 v[7:8], 2, v[3:4]
	v_add_co_u32 v5, vcc_lo, s8, v5
	s_delay_alu instid0(VALU_DEP_3) | instskip(NEXT) | instid1(VALU_DEP_3)
	v_add_co_ci_u32_e32 v6, vcc_lo, s9, v6, vcc_lo
	v_add_co_u32 v7, vcc_lo, s6, v7
	s_delay_alu instid0(VALU_DEP_4)
	v_add_co_ci_u32_e32 v8, vcc_lo, s7, v8, vcc_lo
	global_load_b64 v[5:6], v[5:6], off
	global_load_b32 v7, v[7:8], off
	s_waitcnt vmcnt(1)
	v_mul_f64 v[4:5], v[1:2], v[5:6]
	s_waitcnt vmcnt(0)
	v_subrev_nc_u32_e32 v8, s27, v7
	s_delay_alu instid0(VALU_DEP_1) | instskip(NEXT) | instid1(VALU_DEP_1)
	v_mul_lo_u32 v6, 0x89, v8
	v_and_b32_e32 v9, 0xff, v6
	s_branch .LBB27_37
.LBB27_36:                              ;   in Loop: Header=BB27_37 Depth=2
	s_or_b32 exec_lo, exec_lo, s5
	s_xor_b32 s5, s13, -1
	s_delay_alu instid0(SALU_CYCLE_1) | instskip(NEXT) | instid1(SALU_CYCLE_1)
	s_and_b32 s5, exec_lo, s5
	s_or_b32 s4, s5, s4
	s_delay_alu instid0(SALU_CYCLE_1)
	s_and_not1_b32 exec_lo, exec_lo, s4
	s_cbranch_execz .LBB27_34
.LBB27_37:                              ;   Parent Loop BB27_35 Depth=1
                                        ; =>  This Loop Header: Depth=2
                                        ;       Child Loop BB27_43 Depth 3
                                        ;       Child Loop BB27_49 Depth 3
	s_delay_alu instid0(VALU_DEP_1)
	v_lshl_add_u32 v6, v9, 2, 0
	s_mov_b32 s5, exec_lo
                                        ; implicit-def: $sgpr13
	ds_load_b32 v7, v6
	s_waitcnt lgkmcnt(0)
	v_cmpx_ne_u32_e64 v7, v8
	s_xor_b32 s5, exec_lo, s5
	s_cbranch_execz .LBB27_47
; %bb.38:                               ;   in Loop: Header=BB27_37 Depth=2
	s_mov_b32 s15, exec_lo
                                        ; implicit-def: $sgpr13
	v_cmpx_ne_u32_e64 s14, v7
	s_xor_b32 s15, exec_lo, s15
; %bb.39:                               ;   in Loop: Header=BB27_37 Depth=2
	v_add_nc_u32_e32 v6, 1, v9
	s_mov_b32 s13, -1
	s_delay_alu instid0(VALU_DEP_1)
	v_and_b32_e32 v9, 0xff, v6
                                        ; implicit-def: $vgpr6
; %bb.40:                               ;   in Loop: Header=BB27_37 Depth=2
	s_and_not1_saveexec_b32 s15, s15
	s_cbranch_execz .LBB27_46
; %bb.41:                               ;   in Loop: Header=BB27_37 Depth=2
	v_mov_b32_e32 v7, s14
	s_mov_b32 s17, -1
	s_mov_b32 s16, exec_lo
	ds_cmpstore_rtn_b32 v7, v6, v8, v7
	s_waitcnt lgkmcnt(0)
	v_cmpx_eq_u32_e64 s14, v7
	s_cbranch_execz .LBB27_45
; %bb.42:                               ;   in Loop: Header=BB27_37 Depth=2
	v_lshlrev_b32_e32 v7, 2, v9
	s_mov_b32 s17, 0
	s_delay_alu instid0(VALU_DEP_1)
	v_add_nc_u32_e32 v10, v6, v7
	ds_load_b64 v[6:7], v10 offset:1024
.LBB27_43:                              ;   Parent Loop BB27_35 Depth=1
                                        ;     Parent Loop BB27_37 Depth=2
                                        ; =>    This Inner Loop Header: Depth=3
	s_waitcnt lgkmcnt(0)
	v_add_f64 v[11:12], v[6:7], v[4:5]
	ds_cmpstore_rtn_b64 v[11:12], v10, v[11:12], v[6:7] offset:1024
	s_waitcnt lgkmcnt(0)
	v_cmp_eq_u64_e32 vcc_lo, v[11:12], v[6:7]
	v_dual_mov_b32 v6, v11 :: v_dual_mov_b32 v7, v12
	s_or_b32 s17, vcc_lo, s17
	s_delay_alu instid0(SALU_CYCLE_1)
	s_and_not1_b32 exec_lo, exec_lo, s17
	s_cbranch_execnz .LBB27_43
; %bb.44:                               ;   in Loop: Header=BB27_37 Depth=2
	s_or_b32 exec_lo, exec_lo, s17
	s_delay_alu instid0(SALU_CYCLE_1)
	s_xor_b32 s17, exec_lo, -1
.LBB27_45:                              ;   in Loop: Header=BB27_37 Depth=2
	s_or_b32 exec_lo, exec_lo, s16
	s_delay_alu instid0(SALU_CYCLE_1) | instskip(SKIP_1) | instid1(SALU_CYCLE_1)
	s_and_not1_b32 s13, s13, exec_lo
	s_and_b32 s16, s17, exec_lo
	s_or_b32 s13, s13, s16
.LBB27_46:                              ;   in Loop: Header=BB27_37 Depth=2
	s_or_b32 exec_lo, exec_lo, s15
	s_delay_alu instid0(SALU_CYCLE_1)
	s_and_b32 s13, s13, exec_lo
                                        ; implicit-def: $vgpr6
.LBB27_47:                              ;   in Loop: Header=BB27_37 Depth=2
	s_and_not1_saveexec_b32 s5, s5
	s_cbranch_execz .LBB27_36
; %bb.48:                               ;   in Loop: Header=BB27_37 Depth=2
	v_lshlrev_b32_e32 v7, 2, v9
	s_mov_b32 s15, 0
	s_delay_alu instid0(VALU_DEP_1)
	v_add_nc_u32_e32 v10, v6, v7
	ds_load_b64 v[6:7], v10 offset:1024
.LBB27_49:                              ;   Parent Loop BB27_35 Depth=1
                                        ;     Parent Loop BB27_37 Depth=2
                                        ; =>    This Inner Loop Header: Depth=3
	s_waitcnt lgkmcnt(0)
	v_add_f64 v[11:12], v[6:7], v[4:5]
	ds_cmpstore_rtn_b64 v[11:12], v10, v[11:12], v[6:7] offset:1024
	s_waitcnt lgkmcnt(0)
	v_cmp_eq_u64_e32 vcc_lo, v[11:12], v[6:7]
	v_dual_mov_b32 v6, v11 :: v_dual_mov_b32 v7, v12
	s_or_b32 s15, vcc_lo, s15
	s_delay_alu instid0(SALU_CYCLE_1)
	s_and_not1_b32 exec_lo, exec_lo, s15
	s_cbranch_execnz .LBB27_49
; %bb.50:                               ;   in Loop: Header=BB27_37 Depth=2
	s_or_b32 exec_lo, exec_lo, s15
	s_delay_alu instid0(SALU_CYCLE_1)
	s_and_not1_b32 s13, s13, exec_lo
	s_branch .LBB27_36
.LBB27_51:
	s_or_b32 exec_lo, exec_lo, s2
.LBB27_52:
	s_waitcnt lgkmcnt(0)
	s_barrier
	buffer_gl0_inv
	s_and_saveexec_b32 s4, s0
	s_cbranch_execz .LBB27_65
; %bb.53:
	v_mbcnt_lo_u32_b32 v1, -1, 0
	v_lshrrev_b32_e32 v2, 3, v0
	v_cmp_eq_u32_e32 vcc_lo, 0x7f, v0
	v_cmp_lt_u32_e64 s0, 31, v0
	v_cmp_lt_u32_e64 s1, 63, v0
	v_xor_b32_e32 v1, 63, v1
	v_dual_mov_b32 v6, 0 :: v_dual_and_b32 v3, 12, v2
	v_cmp_lt_u32_e64 s2, 0x5f, v0
	v_add3_u32 v4, v17, 0, 0x400
	s_delay_alu instid0(VALU_DEP_4) | instskip(NEXT) | instid1(VALU_DEP_4)
	v_lshrrev_b64 v[1:2], v1, -1
	v_add_nc_u32_e32 v5, 0, v3
	v_mov_b32_e32 v7, 0
	s_mov_b32 s5, 0
	s_branch .LBB27_55
.LBB27_54:                              ;   in Loop: Header=BB27_55 Depth=1
	s_or_b32 exec_lo, exec_lo, s3
	s_waitcnt lgkmcnt(0)
	s_barrier
	buffer_gl0_inv
	ds_load_b32 v2, v6 offset:3084
	v_add_co_u32 v15, s3, 0x80, v15
	s_delay_alu instid0(VALU_DEP_1) | instskip(SKIP_3) | instid1(SALU_CYCLE_1)
	s_xor_b32 s3, s3, -1
	v_add_nc_u32_e32 v4, 0x400, v4
	v_add_nc_u32_e32 v16, 0x200, v16
	s_and_b32 s3, exec_lo, s3
	s_or_b32 s5, s3, s5
	s_waitcnt lgkmcnt(0)
	v_add_nc_u32_e32 v7, v2, v7
	s_and_not1_b32 exec_lo, exec_lo, s5
	s_cbranch_execz .LBB27_65
.LBB27_55:                              ; =>This Inner Loop Header: Depth=1
	ds_load_b32 v8, v16
	ds_load_b64 v[2:3], v4
	s_waitcnt lgkmcnt(0)
	s_barrier
	buffer_gl0_inv
	v_cmp_gt_i32_e64 s3, s14, v8
	s_delay_alu instid0(VALU_DEP_1) | instskip(NEXT) | instid1(SALU_CYCLE_1)
	s_bcnt1_i32_b32 s6, s3
	v_dual_mov_b32 v10, s6 :: v_dual_and_b32 v9, s3, v1
	s_delay_alu instid0(VALU_DEP_1)
	v_bcnt_u32_b32 v9, v9, 0
	ds_store_b32 v5, v10 offset:3072
	s_waitcnt lgkmcnt(0)
	s_barrier
	buffer_gl0_inv
	s_and_saveexec_b32 s6, s0
	s_cbranch_execnz .LBB27_60
; %bb.56:                               ;   in Loop: Header=BB27_55 Depth=1
	s_or_b32 exec_lo, exec_lo, s6
	s_and_saveexec_b32 s6, s1
	s_cbranch_execnz .LBB27_61
.LBB27_57:                              ;   in Loop: Header=BB27_55 Depth=1
	s_or_b32 exec_lo, exec_lo, s6
	s_and_saveexec_b32 s6, s2
	s_cbranch_execnz .LBB27_62
.LBB27_58:                              ;   in Loop: Header=BB27_55 Depth=1
	s_or_b32 exec_lo, exec_lo, s6
	s_and_saveexec_b32 s6, s3
	s_cbranch_execnz .LBB27_63
.LBB27_59:                              ;   in Loop: Header=BB27_55 Depth=1
	s_or_b32 exec_lo, exec_lo, s6
	s_and_saveexec_b32 s3, vcc_lo
	s_cbranch_execz .LBB27_54
	s_branch .LBB27_64
.LBB27_60:                              ;   in Loop: Header=BB27_55 Depth=1
	ds_load_b32 v10, v6 offset:3072
	s_waitcnt lgkmcnt(0)
	v_add_nc_u32_e32 v9, v10, v9
	s_or_b32 exec_lo, exec_lo, s6
	s_and_saveexec_b32 s6, s1
	s_cbranch_execz .LBB27_57
.LBB27_61:                              ;   in Loop: Header=BB27_55 Depth=1
	ds_load_b32 v10, v6 offset:3076
	s_waitcnt lgkmcnt(0)
	v_add_nc_u32_e32 v9, v10, v9
	s_or_b32 exec_lo, exec_lo, s6
	s_and_saveexec_b32 s6, s2
	s_cbranch_execz .LBB27_58
.LBB27_62:                              ;   in Loop: Header=BB27_55 Depth=1
	ds_load_b32 v10, v6 offset:3080
	s_waitcnt lgkmcnt(0)
	v_add_nc_u32_e32 v9, v10, v9
	s_or_b32 exec_lo, exec_lo, s6
	s_and_saveexec_b32 s6, s3
	s_cbranch_execz .LBB27_59
.LBB27_63:                              ;   in Loop: Header=BB27_55 Depth=1
	s_delay_alu instid0(VALU_DEP_1) | instskip(NEXT) | instid1(VALU_DEP_1)
	v_add3_u32 v10, v7, -1, v9
	v_lshl_add_u32 v11, v10, 2, 0
	v_lshl_add_u32 v10, v10, 3, 0
	ds_store_b32 v11, v8
	ds_store_b64 v10, v[2:3] offset:1024
	s_or_b32 exec_lo, exec_lo, s6
	s_and_saveexec_b32 s3, vcc_lo
	s_cbranch_execz .LBB27_54
.LBB27_64:                              ;   in Loop: Header=BB27_55 Depth=1
	ds_store_b32 v6, v9 offset:3084
	s_branch .LBB27_54
.LBB27_65:
	s_or_b32 exec_lo, exec_lo, s4
	s_ashr_i32 s13, s12, 31
	s_mov_b32 s3, exec_lo
	s_lshl_b64 s[0:1], s[12:13], 2
	s_delay_alu instid0(SALU_CYCLE_1) | instskip(SKIP_4) | instid1(SALU_CYCLE_1)
	s_add_u32 s0, s10, s0
	s_addc_u32 s1, s11, s1
	s_load_b64 s[0:1], s[0:1], 0x0
	s_waitcnt lgkmcnt(0)
	s_sub_i32 s2, s1, s0
	v_cmpx_gt_i32_e64 s2, v0
	s_cbranch_execz .LBB27_75
; %bb.66:
	s_sub_i32 s3, s0, s26
	s_sub_i32 s0, s0, s1
	s_and_b32 s1, s2, 7
	s_cmp_lt_u32 s0, -7
	s_mov_b32 s7, 0
	s_cselect_b32 s4, -1, 0
	s_and_b32 s5, s2, -8
	s_cmp_lg_u32 s1, 0
	s_cselect_b32 s6, -1, 0
	s_branch .LBB27_68
.LBB27_67:                              ;   in Loop: Header=BB27_68 Depth=1
	s_delay_alu instid0(VALU_DEP_1) | instskip(SKIP_3) | instid1(VALU_DEP_3)
	v_ashrrev_i32_e32 v4, 31, v3
	v_add_nc_u32_e32 v0, 0x80, v0
	s_waitcnt lgkmcnt(1)
	v_add_nc_u32_e32 v8, s26, v5
	v_lshlrev_b64 v[6:7], 2, v[3:4]
	v_lshlrev_b64 v[3:4], 3, v[3:4]
	v_cmp_le_i32_e32 vcc_lo, s2, v0
	s_delay_alu instid0(VALU_DEP_3) | instskip(NEXT) | instid1(VALU_DEP_1)
	v_add_co_u32 v5, s0, s28, v6
	v_add_co_ci_u32_e64 v6, s0, s29, v7, s0
	s_delay_alu instid0(VALU_DEP_4) | instskip(NEXT) | instid1(VALU_DEP_1)
	v_add_co_u32 v3, s0, s30, v3
	v_add_co_ci_u32_e64 v4, s0, s31, v4, s0
	s_or_b32 s7, vcc_lo, s7
	global_store_b32 v[5:6], v8, off
	s_waitcnt lgkmcnt(0)
	global_store_b64 v[3:4], v[1:2], off
	s_and_not1_b32 exec_lo, exec_lo, s7
	s_cbranch_execz .LBB27_75
.LBB27_68:                              ; =>This Loop Header: Depth=1
                                        ;     Child Loop BB27_70 Depth 2
                                        ;     Child Loop BB27_74 Depth 2
	v_lshlrev_b32_e32 v1, 2, v0
	s_and_not1_b32 vcc_lo, exec_lo, s4
	s_mov_b32 s0, 0
	s_delay_alu instid0(VALU_DEP_1) | instskip(NEXT) | instid1(VALU_DEP_1)
	v_dual_mov_b32 v3, s3 :: v_dual_add_nc_u32 v2, 0, v1
	v_add_nc_u32_e32 v1, v2, v1
	ds_load_b32 v5, v2
	ds_load_b64 v[1:2], v1 offset:1024
	s_cbranch_vccnz .LBB27_72
; %bb.69:                               ;   in Loop: Header=BB27_68 Depth=1
	v_mov_b32_e32 v3, s3
	s_mov_b32 s8, 0
	s_set_inst_prefetch_distance 0x1
	.p2align	6
.LBB27_70:                              ;   Parent Loop BB27_68 Depth=1
                                        ; =>  This Inner Loop Header: Depth=2
	v_mov_b32_e32 v4, s8
	s_add_i32 s0, s0, 8
	s_add_i32 s8, s8, 32
	s_cmp_eq_u32 s5, s0
	ds_load_2addr_b32 v[6:7], v4 offset1:1
	ds_load_2addr_b32 v[8:9], v4 offset0:2 offset1:3
	ds_load_2addr_b32 v[10:11], v4 offset0:4 offset1:5
	;; [unrolled: 1-line block ×3, first 2 shown]
	s_waitcnt lgkmcnt(3)
	v_cmp_gt_i32_e32 vcc_lo, v5, v6
	v_cndmask_b32_e64 v4, 0, 1, vcc_lo
	s_waitcnt lgkmcnt(2)
	v_cmp_gt_i32_e32 vcc_lo, v5, v8
	v_cndmask_b32_e64 v6, 0, 1, vcc_lo
	v_cmp_gt_i32_e32 vcc_lo, v5, v7
	v_add_co_ci_u32_e32 v3, vcc_lo, v3, v4, vcc_lo
	s_waitcnt lgkmcnt(1)
	v_cmp_gt_i32_e32 vcc_lo, v5, v10
	v_cndmask_b32_e64 v4, 0, 1, vcc_lo
	v_cmp_gt_i32_e32 vcc_lo, v5, v9
	v_add_co_ci_u32_e32 v3, vcc_lo, v3, v6, vcc_lo
	;; [unrolled: 5-line block ×3, first 2 shown]
	v_cmp_gt_i32_e32 vcc_lo, v5, v13
	s_delay_alu instid0(VALU_DEP_2)
	v_add_co_ci_u32_e32 v3, vcc_lo, v3, v6, vcc_lo
	s_cbranch_scc0 .LBB27_70
; %bb.71:                               ;   in Loop: Header=BB27_68 Depth=1
	s_set_inst_prefetch_distance 0x2
	s_mov_b32 s0, s5
.LBB27_72:                              ;   in Loop: Header=BB27_68 Depth=1
	s_and_not1_b32 vcc_lo, exec_lo, s6
	s_cbranch_vccnz .LBB27_67
; %bb.73:                               ;   in Loop: Header=BB27_68 Depth=1
	s_lshl_b32 s0, s0, 2
	s_mov_b32 s8, s1
	s_add_i32 s0, s0, 0
.LBB27_74:                              ;   Parent Loop BB27_68 Depth=1
                                        ; =>  This Inner Loop Header: Depth=2
	s_delay_alu instid0(SALU_CYCLE_1)
	v_mov_b32_e32 v4, s0
	s_add_i32 s8, s8, -1
	s_add_i32 s0, s0, 4
	s_cmp_lg_u32 s8, 0
	ds_load_b32 v4, v4
	s_waitcnt lgkmcnt(0)
	v_cmp_gt_i32_e32 vcc_lo, v5, v4
	v_add_co_ci_u32_e32 v3, vcc_lo, 0, v3, vcc_lo
	s_cbranch_scc1 .LBB27_74
	s_branch .LBB27_67
.LBB27_75:
	s_nop 0
	s_sendmsg sendmsg(MSG_DEALLOC_VGPRS)
	s_endpgm
	.section	.rodata,"a",@progbits
	.p2align	6, 0x0
	.amdhsa_kernel _ZN9rocsparseL26csrgemm_fill_block_per_rowILj128ELj16ELj256ELj137ELj32EiidEEvT5_PKS1_S3_NS_24const_host_device_scalarIT6_EEPKT4_S3_PKS5_S9_S3_SB_S6_S9_S3_SB_S9_PS1_PS5_21rocsparse_index_base_SE_SE_SE_bbb
		.amdhsa_group_segment_fixed_size 0
		.amdhsa_private_segment_fixed_size 0
		.amdhsa_kernarg_size 156
		.amdhsa_user_sgpr_count 15
		.amdhsa_user_sgpr_dispatch_ptr 0
		.amdhsa_user_sgpr_queue_ptr 0
		.amdhsa_user_sgpr_kernarg_segment_ptr 1
		.amdhsa_user_sgpr_dispatch_id 0
		.amdhsa_user_sgpr_private_segment_size 0
		.amdhsa_wavefront_size32 1
		.amdhsa_uses_dynamic_stack 0
		.amdhsa_enable_private_segment 0
		.amdhsa_system_sgpr_workgroup_id_x 1
		.amdhsa_system_sgpr_workgroup_id_y 0
		.amdhsa_system_sgpr_workgroup_id_z 0
		.amdhsa_system_sgpr_workgroup_info 0
		.amdhsa_system_vgpr_workitem_id 0
		.amdhsa_next_free_vgpr 23
		.amdhsa_next_free_sgpr 44
		.amdhsa_reserve_vcc 1
		.amdhsa_float_round_mode_32 0
		.amdhsa_float_round_mode_16_64 0
		.amdhsa_float_denorm_mode_32 3
		.amdhsa_float_denorm_mode_16_64 3
		.amdhsa_dx10_clamp 1
		.amdhsa_ieee_mode 1
		.amdhsa_fp16_overflow 0
		.amdhsa_workgroup_processor_mode 1
		.amdhsa_memory_ordered 1
		.amdhsa_forward_progress 0
		.amdhsa_shared_vgpr_count 0
		.amdhsa_exception_fp_ieee_invalid_op 0
		.amdhsa_exception_fp_denorm_src 0
		.amdhsa_exception_fp_ieee_div_zero 0
		.amdhsa_exception_fp_ieee_overflow 0
		.amdhsa_exception_fp_ieee_underflow 0
		.amdhsa_exception_fp_ieee_inexact 0
		.amdhsa_exception_int_div_zero 0
	.end_amdhsa_kernel
	.section	.text._ZN9rocsparseL26csrgemm_fill_block_per_rowILj128ELj16ELj256ELj137ELj32EiidEEvT5_PKS1_S3_NS_24const_host_device_scalarIT6_EEPKT4_S3_PKS5_S9_S3_SB_S6_S9_S3_SB_S9_PS1_PS5_21rocsparse_index_base_SE_SE_SE_bbb,"axG",@progbits,_ZN9rocsparseL26csrgemm_fill_block_per_rowILj128ELj16ELj256ELj137ELj32EiidEEvT5_PKS1_S3_NS_24const_host_device_scalarIT6_EEPKT4_S3_PKS5_S9_S3_SB_S6_S9_S3_SB_S9_PS1_PS5_21rocsparse_index_base_SE_SE_SE_bbb,comdat
.Lfunc_end27:
	.size	_ZN9rocsparseL26csrgemm_fill_block_per_rowILj128ELj16ELj256ELj137ELj32EiidEEvT5_PKS1_S3_NS_24const_host_device_scalarIT6_EEPKT4_S3_PKS5_S9_S3_SB_S6_S9_S3_SB_S9_PS1_PS5_21rocsparse_index_base_SE_SE_SE_bbb, .Lfunc_end27-_ZN9rocsparseL26csrgemm_fill_block_per_rowILj128ELj16ELj256ELj137ELj32EiidEEvT5_PKS1_S3_NS_24const_host_device_scalarIT6_EEPKT4_S3_PKS5_S9_S3_SB_S6_S9_S3_SB_S9_PS1_PS5_21rocsparse_index_base_SE_SE_SE_bbb
                                        ; -- End function
	.section	.AMDGPU.csdata,"",@progbits
; Kernel info:
; codeLenInByte = 2952
; NumSgprs: 46
; NumVgprs: 23
; ScratchSize: 0
; MemoryBound: 0
; FloatMode: 240
; IeeeMode: 1
; LDSByteSize: 0 bytes/workgroup (compile time only)
; SGPRBlocks: 5
; VGPRBlocks: 2
; NumSGPRsForWavesPerEU: 46
; NumVGPRsForWavesPerEU: 23
; Occupancy: 16
; WaveLimiterHint : 1
; COMPUTE_PGM_RSRC2:SCRATCH_EN: 0
; COMPUTE_PGM_RSRC2:USER_SGPR: 15
; COMPUTE_PGM_RSRC2:TRAP_HANDLER: 0
; COMPUTE_PGM_RSRC2:TGID_X_EN: 1
; COMPUTE_PGM_RSRC2:TGID_Y_EN: 0
; COMPUTE_PGM_RSRC2:TGID_Z_EN: 0
; COMPUTE_PGM_RSRC2:TIDIG_COMP_CNT: 0
	.section	.text._ZN9rocsparseL26csrgemm_fill_block_per_rowILj128ELj16ELj256ELj137ELj64EiidEEvT5_PKS1_S3_NS_24const_host_device_scalarIT6_EEPKT4_S3_PKS5_S9_S3_SB_S6_S9_S3_SB_S9_PS1_PS5_21rocsparse_index_base_SE_SE_SE_bbb,"axG",@progbits,_ZN9rocsparseL26csrgemm_fill_block_per_rowILj128ELj16ELj256ELj137ELj64EiidEEvT5_PKS1_S3_NS_24const_host_device_scalarIT6_EEPKT4_S3_PKS5_S9_S3_SB_S6_S9_S3_SB_S9_PS1_PS5_21rocsparse_index_base_SE_SE_SE_bbb,comdat
	.globl	_ZN9rocsparseL26csrgemm_fill_block_per_rowILj128ELj16ELj256ELj137ELj64EiidEEvT5_PKS1_S3_NS_24const_host_device_scalarIT6_EEPKT4_S3_PKS5_S9_S3_SB_S6_S9_S3_SB_S9_PS1_PS5_21rocsparse_index_base_SE_SE_SE_bbb ; -- Begin function _ZN9rocsparseL26csrgemm_fill_block_per_rowILj128ELj16ELj256ELj137ELj64EiidEEvT5_PKS1_S3_NS_24const_host_device_scalarIT6_EEPKT4_S3_PKS5_S9_S3_SB_S6_S9_S3_SB_S9_PS1_PS5_21rocsparse_index_base_SE_SE_SE_bbb
	.p2align	8
	.type	_ZN9rocsparseL26csrgemm_fill_block_per_rowILj128ELj16ELj256ELj137ELj64EiidEEvT5_PKS1_S3_NS_24const_host_device_scalarIT6_EEPKT4_S3_PKS5_S9_S3_SB_S6_S9_S3_SB_S9_PS1_PS5_21rocsparse_index_base_SE_SE_SE_bbb,@function
_ZN9rocsparseL26csrgemm_fill_block_per_rowILj128ELj16ELj256ELj137ELj64EiidEEvT5_PKS1_S3_NS_24const_host_device_scalarIT6_EEPKT4_S3_PKS5_S9_S3_SB_S6_S9_S3_SB_S9_PS1_PS5_21rocsparse_index_base_SE_SE_SE_bbb: ; @_ZN9rocsparseL26csrgemm_fill_block_per_rowILj128ELj16ELj256ELj137ELj64EiidEEvT5_PKS1_S3_NS_24const_host_device_scalarIT6_EEPKT4_S3_PKS5_S9_S3_SB_S6_S9_S3_SB_S9_PS1_PS5_21rocsparse_index_base_SE_SE_SE_bbb
; %bb.0:
	s_clause 0x2
	s_load_b32 s6, s[0:1], 0x98
	s_load_b64 s[4:5], s[0:1], 0x18
	s_load_b64 s[2:3], s[0:1], 0x50
	s_waitcnt lgkmcnt(0)
	s_and_b32 s8, 1, s6
	s_bitcmp1_b32 s6, 16
	s_cselect_b32 s7, -1, 0
	s_cmp_eq_u32 s8, 1
	s_cselect_b32 s14, -1, 0
	s_delay_alu instid0(SALU_CYCLE_1)
	s_and_b32 s8, s14, exec_lo
	s_cselect_b32 s9, s5, 0
	s_cselect_b32 s8, s4, 0
	s_xor_b32 s10, s14, -1
	v_dual_mov_b32 v3, s8 :: v_dual_mov_b32 v4, s9
	s_or_b32 s10, s10, s7
	s_delay_alu instid0(SALU_CYCLE_1)
	s_and_b32 vcc_lo, exec_lo, s10
	s_cbranch_vccnz .LBB28_2
; %bb.1:
	v_dual_mov_b32 v1, s4 :: v_dual_mov_b32 v2, s5
	flat_load_b64 v[3:4], v[1:2]
.LBB28_2:
	s_load_b128 s[24:27], s[0:1], 0x88
	s_bitcmp1_b32 s6, 8
	s_cselect_b32 s13, -1, 0
	s_delay_alu instid0(SALU_CYCLE_1)
	s_and_b32 s4, s13, exec_lo
	s_cselect_b32 s5, s3, 0
	s_cselect_b32 s4, s2, 0
	s_xor_b32 s6, s13, -1
	v_dual_mov_b32 v1, s4 :: v_dual_mov_b32 v2, s5
	s_or_b32 s6, s6, s7
	s_delay_alu instid0(SALU_CYCLE_1)
	s_and_b32 vcc_lo, exec_lo, s6
	s_cbranch_vccnz .LBB28_4
; %bb.3:
	v_dual_mov_b32 v1, s2 :: v_dual_mov_b32 v2, s3
	flat_load_b64 v[1:2], v[1:2]
.LBB28_4:
	s_clause 0x5
	s_load_b128 s[28:31], s[0:1], 0x78
	s_load_b256 s[4:11], s[0:1], 0x58
	s_load_b128 s[36:39], s[0:1], 0x40
	s_load_b256 s[16:23], s[0:1], 0x20
	s_load_b128 s[40:43], s[0:1], 0x8
	s_load_b32 s12, s[0:1], 0x0
	v_cmp_gt_u32_e64 s0, 0x100, v0
	v_lshlrev_b32_e32 v17, 3, v0
	v_or_b32_e32 v15, 0xffffff80, v0
	v_lshl_add_u32 v16, v0, 2, 0
	s_delay_alu instid0(VALU_DEP_4)
	s_and_saveexec_b32 s1, s0
	s_cbranch_execz .LBB28_7
; %bb.5:
	s_waitcnt lgkmcnt(0)
	v_dual_mov_b32 v5, 0 :: v_dual_mov_b32 v10, s12
	v_add3_u32 v7, v17, 0, 0x400
	v_or_b32_e32 v8, 0xffffff80, v0
	v_lshl_add_u32 v9, v0, 2, 0
	s_delay_alu instid0(VALU_DEP_4)
	v_mov_b32_e32 v6, v5
	s_mov_b32 s2, 0
.LBB28_6:                               ; =>This Inner Loop Header: Depth=1
	s_delay_alu instid0(VALU_DEP_3) | instskip(NEXT) | instid1(VALU_DEP_1)
	v_add_co_u32 v8, s3, 0x80, v8
	s_xor_b32 s3, s3, -1
	ds_store_b32 v9, v10
	ds_store_b64 v7, v[5:6]
	v_add_nc_u32_e32 v7, 0x400, v7
	v_add_nc_u32_e32 v9, 0x200, v9
	s_and_b32 s3, exec_lo, s3
	s_delay_alu instid0(SALU_CYCLE_1) | instskip(NEXT) | instid1(SALU_CYCLE_1)
	s_or_b32 s2, s3, s2
	s_and_not1_b32 exec_lo, exec_lo, s2
	s_cbranch_execnz .LBB28_6
.LBB28_7:
	s_or_b32 exec_lo, exec_lo, s1
	s_waitcnt vmcnt(0) lgkmcnt(0)
	s_barrier
	buffer_gl0_inv
	s_load_b32 s1, s[40:41], 0x0
	s_mov_b32 s3, 0
	v_lshrrev_b32_e32 v18, 4, v0
	s_waitcnt lgkmcnt(0)
	s_add_i32 s2, s1, s15
	s_delay_alu instid0(SALU_CYCLE_1) | instskip(NEXT) | instid1(SALU_CYCLE_1)
	s_lshl_b64 s[2:3], s[2:3], 2
	s_add_u32 s2, s42, s2
	s_addc_u32 s3, s43, s3
	s_and_b32 vcc_lo, exec_lo, s14
	s_load_b32 s2, s[2:3], 0x0
	s_cbranch_vccz .LBB28_31
; %bb.8:
	s_waitcnt lgkmcnt(0)
	s_ashr_i32 s3, s2, 31
	v_subrev_nc_u32_e32 v5, s24, v18
	s_lshl_b64 s[14:15], s[2:3], 2
	s_mov_b32 s3, exec_lo
	s_add_u32 s14, s16, s14
	s_addc_u32 s15, s17, s15
	s_load_b64 s[14:15], s[14:15], 0x0
	s_waitcnt lgkmcnt(0)
	v_add_nc_u32_e32 v5, s14, v5
	s_sub_i32 s1, s15, s24
	s_delay_alu instid0(VALU_DEP_1) | instid1(SALU_CYCLE_1)
	v_cmpx_gt_i32_e64 s1, v5
	s_cbranch_execz .LBB28_30
; %bb.9:
	v_and_b32_e32 v6, 15, v0
	s_mov_b32 s14, 0
	s_delay_alu instid0(VALU_DEP_1)
	v_subrev_nc_u32_e32 v19, s25, v6
	s_branch .LBB28_11
.LBB28_10:                              ;   in Loop: Header=BB28_11 Depth=1
	s_or_b32 exec_lo, exec_lo, s15
	v_add_nc_u32_e32 v5, 8, v5
	s_delay_alu instid0(VALU_DEP_1) | instskip(SKIP_1) | instid1(SALU_CYCLE_1)
	v_cmp_le_i32_e32 vcc_lo, s1, v5
	s_or_b32 s14, vcc_lo, s14
	s_and_not1_b32 exec_lo, exec_lo, s14
	s_cbranch_execz .LBB28_30
.LBB28_11:                              ; =>This Loop Header: Depth=1
                                        ;     Child Loop BB28_14 Depth 2
                                        ;       Child Loop BB28_16 Depth 3
                                        ;         Child Loop BB28_22 Depth 4
                                        ;         Child Loop BB28_28 Depth 4
	v_ashrrev_i32_e32 v6, 31, v5
	s_mov_b32 s15, exec_lo
	s_delay_alu instid0(VALU_DEP_1) | instskip(NEXT) | instid1(VALU_DEP_1)
	v_lshlrev_b64 v[7:8], 2, v[5:6]
	v_add_co_u32 v7, vcc_lo, s18, v7
	s_delay_alu instid0(VALU_DEP_2) | instskip(SKIP_3) | instid1(VALU_DEP_1)
	v_add_co_ci_u32_e32 v8, vcc_lo, s19, v8, vcc_lo
	global_load_b32 v7, v[7:8], off
	s_waitcnt vmcnt(0)
	v_subrev_nc_u32_e32 v7, s24, v7
	v_ashrrev_i32_e32 v8, 31, v7
	s_delay_alu instid0(VALU_DEP_1) | instskip(NEXT) | instid1(VALU_DEP_1)
	v_lshlrev_b64 v[7:8], 2, v[7:8]
	v_add_co_u32 v7, vcc_lo, s22, v7
	s_delay_alu instid0(VALU_DEP_2) | instskip(SKIP_4) | instid1(VALU_DEP_1)
	v_add_co_ci_u32_e32 v8, vcc_lo, s23, v8, vcc_lo
	global_load_b64 v[7:8], v[7:8], off
	s_waitcnt vmcnt(0)
	v_subrev_nc_u32_e32 v20, s25, v8
	v_add_nc_u32_e32 v7, v7, v19
	v_cmpx_lt_i32_e64 v7, v20
	s_cbranch_execz .LBB28_10
; %bb.12:                               ;   in Loop: Header=BB28_11 Depth=1
	v_lshlrev_b64 v[8:9], 3, v[5:6]
	s_mov_b32 s16, 0
	s_delay_alu instid0(VALU_DEP_1) | instskip(NEXT) | instid1(VALU_DEP_2)
	v_add_co_u32 v8, vcc_lo, s20, v8
	v_add_co_ci_u32_e32 v9, vcc_lo, s21, v9, vcc_lo
	global_load_b64 v[8:9], v[8:9], off
	s_waitcnt vmcnt(0)
	v_mul_f64 v[9:10], v[3:4], v[8:9]
	s_branch .LBB28_14
.LBB28_13:                              ;   in Loop: Header=BB28_14 Depth=2
	s_or_b32 exec_lo, exec_lo, s17
	v_add_nc_u32_e32 v7, 16, v7
	s_delay_alu instid0(VALU_DEP_1) | instskip(SKIP_1) | instid1(SALU_CYCLE_1)
	v_cmp_ge_i32_e32 vcc_lo, v7, v20
	s_or_b32 s16, vcc_lo, s16
	s_and_not1_b32 exec_lo, exec_lo, s16
	s_cbranch_execz .LBB28_10
.LBB28_14:                              ;   Parent Loop BB28_11 Depth=1
                                        ; =>  This Loop Header: Depth=2
                                        ;       Child Loop BB28_16 Depth 3
                                        ;         Child Loop BB28_22 Depth 4
                                        ;         Child Loop BB28_28 Depth 4
	v_ashrrev_i32_e32 v8, 31, v7
	s_mov_b32 s17, 0
	s_delay_alu instid0(VALU_DEP_1) | instskip(SKIP_1) | instid1(VALU_DEP_2)
	v_lshlrev_b64 v[11:12], 3, v[7:8]
	v_lshlrev_b64 v[13:14], 2, v[7:8]
	v_add_co_u32 v11, vcc_lo, s38, v11
	s_delay_alu instid0(VALU_DEP_3) | instskip(NEXT) | instid1(VALU_DEP_3)
	v_add_co_ci_u32_e32 v12, vcc_lo, s39, v12, vcc_lo
	v_add_co_u32 v13, vcc_lo, s36, v13
	s_delay_alu instid0(VALU_DEP_4)
	v_add_co_ci_u32_e32 v14, vcc_lo, s37, v14, vcc_lo
	global_load_b64 v[11:12], v[11:12], off
	global_load_b32 v6, v[13:14], off
	s_waitcnt vmcnt(1)
	v_mul_f64 v[11:12], v[9:10], v[11:12]
	s_waitcnt vmcnt(0)
	v_subrev_nc_u32_e32 v6, s25, v6
	s_delay_alu instid0(VALU_DEP_1) | instskip(NEXT) | instid1(VALU_DEP_1)
	v_mul_lo_u32 v8, 0x89, v6
	v_and_b32_e32 v8, 0xff, v8
	s_branch .LBB28_16
.LBB28_15:                              ;   in Loop: Header=BB28_16 Depth=3
	s_or_b32 exec_lo, exec_lo, s33
	s_xor_b32 s33, s34, -1
	s_delay_alu instid0(SALU_CYCLE_1) | instskip(NEXT) | instid1(SALU_CYCLE_1)
	s_and_b32 s33, exec_lo, s33
	s_or_b32 s17, s33, s17
	s_delay_alu instid0(SALU_CYCLE_1)
	s_and_not1_b32 exec_lo, exec_lo, s17
	s_cbranch_execz .LBB28_13
.LBB28_16:                              ;   Parent Loop BB28_11 Depth=1
                                        ;     Parent Loop BB28_14 Depth=2
                                        ; =>    This Loop Header: Depth=3
                                        ;         Child Loop BB28_22 Depth 4
                                        ;         Child Loop BB28_28 Depth 4
	s_delay_alu instid0(VALU_DEP_1)
	v_lshl_add_u32 v13, v8, 2, 0
	s_mov_b32 s33, exec_lo
                                        ; implicit-def: $sgpr34
	ds_load_b32 v14, v13
	s_waitcnt lgkmcnt(0)
	v_cmpx_ne_u32_e64 v14, v6
	s_xor_b32 s33, exec_lo, s33
	s_cbranch_execz .LBB28_26
; %bb.17:                               ;   in Loop: Header=BB28_16 Depth=3
	s_mov_b32 s35, exec_lo
                                        ; implicit-def: $sgpr34
	v_cmpx_ne_u32_e64 s12, v14
	s_xor_b32 s35, exec_lo, s35
; %bb.18:                               ;   in Loop: Header=BB28_16 Depth=3
	v_add_nc_u32_e32 v8, 1, v8
	s_mov_b32 s34, -1
                                        ; implicit-def: $vgpr13
	s_delay_alu instid0(VALU_DEP_1)
	v_and_b32_e32 v8, 0xff, v8
; %bb.19:                               ;   in Loop: Header=BB28_16 Depth=3
	s_and_not1_saveexec_b32 s35, s35
	s_cbranch_execz .LBB28_25
; %bb.20:                               ;   in Loop: Header=BB28_16 Depth=3
	v_mov_b32_e32 v14, s12
	s_mov_b32 s41, -1
	s_mov_b32 s40, exec_lo
	ds_cmpstore_rtn_b32 v14, v13, v6, v14
	s_waitcnt lgkmcnt(0)
	v_cmpx_eq_u32_e64 s12, v14
	s_cbranch_execz .LBB28_24
; %bb.21:                               ;   in Loop: Header=BB28_16 Depth=3
	v_lshlrev_b32_e32 v14, 2, v8
	s_mov_b32 s41, 0
	s_delay_alu instid0(VALU_DEP_1)
	v_add_nc_u32_e32 v21, v13, v14
	ds_load_b64 v[13:14], v21 offset:1024
.LBB28_22:                              ;   Parent Loop BB28_11 Depth=1
                                        ;     Parent Loop BB28_14 Depth=2
                                        ;       Parent Loop BB28_16 Depth=3
                                        ; =>      This Inner Loop Header: Depth=4
	s_waitcnt lgkmcnt(0)
	v_add_f64 v[22:23], v[13:14], v[11:12]
	ds_cmpstore_rtn_b64 v[22:23], v21, v[22:23], v[13:14] offset:1024
	s_waitcnt lgkmcnt(0)
	v_cmp_eq_u64_e32 vcc_lo, v[22:23], v[13:14]
	v_dual_mov_b32 v13, v22 :: v_dual_mov_b32 v14, v23
	s_or_b32 s41, vcc_lo, s41
	s_delay_alu instid0(SALU_CYCLE_1)
	s_and_not1_b32 exec_lo, exec_lo, s41
	s_cbranch_execnz .LBB28_22
; %bb.23:                               ;   in Loop: Header=BB28_16 Depth=3
	s_or_b32 exec_lo, exec_lo, s41
	s_delay_alu instid0(SALU_CYCLE_1)
	s_xor_b32 s41, exec_lo, -1
.LBB28_24:                              ;   in Loop: Header=BB28_16 Depth=3
	s_or_b32 exec_lo, exec_lo, s40
	s_delay_alu instid0(SALU_CYCLE_1) | instskip(SKIP_1) | instid1(SALU_CYCLE_1)
	s_and_not1_b32 s34, s34, exec_lo
	s_and_b32 s40, s41, exec_lo
	s_or_b32 s34, s34, s40
.LBB28_25:                              ;   in Loop: Header=BB28_16 Depth=3
	s_or_b32 exec_lo, exec_lo, s35
	s_delay_alu instid0(SALU_CYCLE_1)
	s_and_b32 s34, s34, exec_lo
                                        ; implicit-def: $vgpr13
.LBB28_26:                              ;   in Loop: Header=BB28_16 Depth=3
	s_and_not1_saveexec_b32 s33, s33
	s_cbranch_execz .LBB28_15
; %bb.27:                               ;   in Loop: Header=BB28_16 Depth=3
	v_lshlrev_b32_e32 v14, 2, v8
	s_mov_b32 s35, 0
	s_delay_alu instid0(VALU_DEP_1)
	v_add_nc_u32_e32 v21, v13, v14
	ds_load_b64 v[13:14], v21 offset:1024
.LBB28_28:                              ;   Parent Loop BB28_11 Depth=1
                                        ;     Parent Loop BB28_14 Depth=2
                                        ;       Parent Loop BB28_16 Depth=3
                                        ; =>      This Inner Loop Header: Depth=4
	s_waitcnt lgkmcnt(0)
	v_add_f64 v[22:23], v[13:14], v[11:12]
	ds_cmpstore_rtn_b64 v[22:23], v21, v[22:23], v[13:14] offset:1024
	s_waitcnt lgkmcnt(0)
	v_cmp_eq_u64_e32 vcc_lo, v[22:23], v[13:14]
	v_dual_mov_b32 v13, v22 :: v_dual_mov_b32 v14, v23
	s_or_b32 s35, vcc_lo, s35
	s_delay_alu instid0(SALU_CYCLE_1)
	s_and_not1_b32 exec_lo, exec_lo, s35
	s_cbranch_execnz .LBB28_28
; %bb.29:                               ;   in Loop: Header=BB28_16 Depth=3
	s_or_b32 exec_lo, exec_lo, s35
	s_delay_alu instid0(SALU_CYCLE_1)
	s_and_not1_b32 s34, s34, exec_lo
	s_branch .LBB28_15
.LBB28_30:
	s_or_b32 exec_lo, exec_lo, s3
.LBB28_31:
	s_delay_alu instid0(SALU_CYCLE_1)
	s_and_not1_b32 vcc_lo, exec_lo, s13
	s_cbranch_vccnz .LBB28_52
; %bb.32:
	s_waitcnt lgkmcnt(0)
	s_ashr_i32 s3, s2, 31
	v_subrev_nc_u32_e32 v3, s27, v0
	s_lshl_b64 s[14:15], s[2:3], 2
	s_mov_b32 s3, exec_lo
	s_add_u32 s4, s4, s14
	s_addc_u32 s5, s5, s15
	s_load_b64 s[4:5], s[4:5], 0x0
	s_waitcnt lgkmcnt(0)
	v_add_nc_u32_e32 v3, s4, v3
	s_sub_i32 s1, s5, s27
	s_delay_alu instid0(VALU_DEP_1) | instid1(SALU_CYCLE_1)
	v_cmpx_gt_i32_e64 s1, v3
	s_cbranch_execz .LBB28_51
; %bb.33:
	s_mov_b32 s4, 0
	s_branch .LBB28_35
.LBB28_34:                              ;   in Loop: Header=BB28_35 Depth=1
	s_or_b32 exec_lo, exec_lo, s5
	v_add_nc_u32_e32 v3, 0x80, v3
	s_delay_alu instid0(VALU_DEP_1) | instskip(SKIP_1) | instid1(SALU_CYCLE_1)
	v_cmp_le_i32_e32 vcc_lo, s1, v3
	s_or_b32 s4, vcc_lo, s4
	s_and_not1_b32 exec_lo, exec_lo, s4
	s_cbranch_execz .LBB28_51
.LBB28_35:                              ; =>This Loop Header: Depth=1
                                        ;     Child Loop BB28_37 Depth 2
                                        ;       Child Loop BB28_43 Depth 3
                                        ;       Child Loop BB28_49 Depth 3
	v_ashrrev_i32_e32 v4, 31, v3
	s_mov_b32 s5, 0
	s_delay_alu instid0(VALU_DEP_1) | instskip(SKIP_1) | instid1(VALU_DEP_2)
	v_lshlrev_b64 v[5:6], 3, v[3:4]
	v_lshlrev_b64 v[7:8], 2, v[3:4]
	v_add_co_u32 v5, vcc_lo, s8, v5
	s_delay_alu instid0(VALU_DEP_3) | instskip(NEXT) | instid1(VALU_DEP_3)
	v_add_co_ci_u32_e32 v6, vcc_lo, s9, v6, vcc_lo
	v_add_co_u32 v7, vcc_lo, s6, v7
	s_delay_alu instid0(VALU_DEP_4)
	v_add_co_ci_u32_e32 v8, vcc_lo, s7, v8, vcc_lo
	global_load_b64 v[5:6], v[5:6], off
	global_load_b32 v7, v[7:8], off
	s_waitcnt vmcnt(1)
	v_mul_f64 v[4:5], v[1:2], v[5:6]
	s_waitcnt vmcnt(0)
	v_subrev_nc_u32_e32 v8, s27, v7
	s_delay_alu instid0(VALU_DEP_1) | instskip(NEXT) | instid1(VALU_DEP_1)
	v_mul_lo_u32 v6, 0x89, v8
	v_and_b32_e32 v9, 0xff, v6
	s_branch .LBB28_37
.LBB28_36:                              ;   in Loop: Header=BB28_37 Depth=2
	s_or_b32 exec_lo, exec_lo, s13
	s_xor_b32 s13, s14, -1
	s_delay_alu instid0(SALU_CYCLE_1) | instskip(NEXT) | instid1(SALU_CYCLE_1)
	s_and_b32 s13, exec_lo, s13
	s_or_b32 s5, s13, s5
	s_delay_alu instid0(SALU_CYCLE_1)
	s_and_not1_b32 exec_lo, exec_lo, s5
	s_cbranch_execz .LBB28_34
.LBB28_37:                              ;   Parent Loop BB28_35 Depth=1
                                        ; =>  This Loop Header: Depth=2
                                        ;       Child Loop BB28_43 Depth 3
                                        ;       Child Loop BB28_49 Depth 3
	s_delay_alu instid0(VALU_DEP_1)
	v_lshl_add_u32 v6, v9, 2, 0
	s_mov_b32 s13, exec_lo
                                        ; implicit-def: $sgpr14
	ds_load_b32 v7, v6
	s_waitcnt lgkmcnt(0)
	v_cmpx_ne_u32_e64 v7, v8
	s_xor_b32 s13, exec_lo, s13
	s_cbranch_execz .LBB28_47
; %bb.38:                               ;   in Loop: Header=BB28_37 Depth=2
	s_mov_b32 s15, exec_lo
                                        ; implicit-def: $sgpr14
	v_cmpx_ne_u32_e64 s12, v7
	s_xor_b32 s15, exec_lo, s15
; %bb.39:                               ;   in Loop: Header=BB28_37 Depth=2
	v_add_nc_u32_e32 v6, 1, v9
	s_mov_b32 s14, -1
	s_delay_alu instid0(VALU_DEP_1)
	v_and_b32_e32 v9, 0xff, v6
                                        ; implicit-def: $vgpr6
; %bb.40:                               ;   in Loop: Header=BB28_37 Depth=2
	s_and_not1_saveexec_b32 s15, s15
	s_cbranch_execz .LBB28_46
; %bb.41:                               ;   in Loop: Header=BB28_37 Depth=2
	v_mov_b32_e32 v7, s12
	s_mov_b32 s17, -1
	s_mov_b32 s16, exec_lo
	ds_cmpstore_rtn_b32 v7, v6, v8, v7
	s_waitcnt lgkmcnt(0)
	v_cmpx_eq_u32_e64 s12, v7
	s_cbranch_execz .LBB28_45
; %bb.42:                               ;   in Loop: Header=BB28_37 Depth=2
	v_lshlrev_b32_e32 v7, 2, v9
	s_mov_b32 s17, 0
	s_delay_alu instid0(VALU_DEP_1)
	v_add_nc_u32_e32 v10, v6, v7
	ds_load_b64 v[6:7], v10 offset:1024
.LBB28_43:                              ;   Parent Loop BB28_35 Depth=1
                                        ;     Parent Loop BB28_37 Depth=2
                                        ; =>    This Inner Loop Header: Depth=3
	s_waitcnt lgkmcnt(0)
	v_add_f64 v[11:12], v[6:7], v[4:5]
	ds_cmpstore_rtn_b64 v[11:12], v10, v[11:12], v[6:7] offset:1024
	s_waitcnt lgkmcnt(0)
	v_cmp_eq_u64_e32 vcc_lo, v[11:12], v[6:7]
	v_dual_mov_b32 v6, v11 :: v_dual_mov_b32 v7, v12
	s_or_b32 s17, vcc_lo, s17
	s_delay_alu instid0(SALU_CYCLE_1)
	s_and_not1_b32 exec_lo, exec_lo, s17
	s_cbranch_execnz .LBB28_43
; %bb.44:                               ;   in Loop: Header=BB28_37 Depth=2
	s_or_b32 exec_lo, exec_lo, s17
	s_delay_alu instid0(SALU_CYCLE_1)
	s_xor_b32 s17, exec_lo, -1
.LBB28_45:                              ;   in Loop: Header=BB28_37 Depth=2
	s_or_b32 exec_lo, exec_lo, s16
	s_delay_alu instid0(SALU_CYCLE_1) | instskip(SKIP_1) | instid1(SALU_CYCLE_1)
	s_and_not1_b32 s14, s14, exec_lo
	s_and_b32 s16, s17, exec_lo
	s_or_b32 s14, s14, s16
.LBB28_46:                              ;   in Loop: Header=BB28_37 Depth=2
	s_or_b32 exec_lo, exec_lo, s15
	s_delay_alu instid0(SALU_CYCLE_1)
	s_and_b32 s14, s14, exec_lo
                                        ; implicit-def: $vgpr6
.LBB28_47:                              ;   in Loop: Header=BB28_37 Depth=2
	s_and_not1_saveexec_b32 s13, s13
	s_cbranch_execz .LBB28_36
; %bb.48:                               ;   in Loop: Header=BB28_37 Depth=2
	v_lshlrev_b32_e32 v7, 2, v9
	s_mov_b32 s15, 0
	s_delay_alu instid0(VALU_DEP_1)
	v_add_nc_u32_e32 v10, v6, v7
	ds_load_b64 v[6:7], v10 offset:1024
.LBB28_49:                              ;   Parent Loop BB28_35 Depth=1
                                        ;     Parent Loop BB28_37 Depth=2
                                        ; =>    This Inner Loop Header: Depth=3
	s_waitcnt lgkmcnt(0)
	v_add_f64 v[11:12], v[6:7], v[4:5]
	ds_cmpstore_rtn_b64 v[11:12], v10, v[11:12], v[6:7] offset:1024
	s_waitcnt lgkmcnt(0)
	v_cmp_eq_u64_e32 vcc_lo, v[11:12], v[6:7]
	v_dual_mov_b32 v6, v11 :: v_dual_mov_b32 v7, v12
	s_or_b32 s15, vcc_lo, s15
	s_delay_alu instid0(SALU_CYCLE_1)
	s_and_not1_b32 exec_lo, exec_lo, s15
	s_cbranch_execnz .LBB28_49
; %bb.50:                               ;   in Loop: Header=BB28_37 Depth=2
	s_or_b32 exec_lo, exec_lo, s15
	s_delay_alu instid0(SALU_CYCLE_1)
	s_and_not1_b32 s14, s14, exec_lo
	s_branch .LBB28_36
.LBB28_51:
	s_or_b32 exec_lo, exec_lo, s3
.LBB28_52:
	s_waitcnt lgkmcnt(0)
	s_barrier
	buffer_gl0_inv
	s_and_saveexec_b32 s3, s0
	s_cbranch_execz .LBB28_61
; %bb.53:
	v_mbcnt_lo_u32_b32 v1, -1, 0
	v_dual_mov_b32 v7, 0 :: v_dual_and_b32 v2, 4, v18
	v_cmp_lt_u32_e32 vcc_lo, 63, v0
	v_cmp_eq_u32_e64 s0, 0x7f, v0
	s_delay_alu instid0(VALU_DEP_4) | instskip(NEXT) | instid1(VALU_DEP_4)
	v_xor_b32_e32 v1, 63, v1
	v_dual_mov_b32 v6, 0 :: v_dual_add_nc_u32 v5, 0, v2
	v_add3_u32 v4, v17, 0, 0x400
	s_mov_b32 s4, 0
	s_delay_alu instid0(VALU_DEP_3)
	v_lshrrev_b64 v[1:2], v1, -1
	s_branch .LBB28_55
.LBB28_54:                              ;   in Loop: Header=BB28_55 Depth=1
	s_or_b32 exec_lo, exec_lo, s1
	s_waitcnt lgkmcnt(0)
	s_barrier
	buffer_gl0_inv
	ds_load_b32 v2, v6 offset:3076
	v_add_co_u32 v15, s1, 0x80, v15
	s_delay_alu instid0(VALU_DEP_1) | instskip(SKIP_3) | instid1(SALU_CYCLE_1)
	s_xor_b32 s1, s1, -1
	v_add_nc_u32_e32 v4, 0x400, v4
	v_add_nc_u32_e32 v16, 0x200, v16
	s_and_b32 s1, exec_lo, s1
	s_or_b32 s4, s1, s4
	s_waitcnt lgkmcnt(0)
	v_add_nc_u32_e32 v7, v2, v7
	s_and_not1_b32 exec_lo, exec_lo, s4
	s_cbranch_execz .LBB28_61
.LBB28_55:                              ; =>This Inner Loop Header: Depth=1
	ds_load_b32 v8, v16
	ds_load_b64 v[2:3], v4
	s_waitcnt lgkmcnt(0)
	s_barrier
	buffer_gl0_inv
	v_cmp_gt_i32_e64 s1, s12, v8
	s_delay_alu instid0(VALU_DEP_1) | instskip(NEXT) | instid1(SALU_CYCLE_1)
	s_bcnt1_i32_b32 s5, s1
	v_dual_mov_b32 v10, s5 :: v_dual_and_b32 v9, s1, v1
	s_delay_alu instid0(VALU_DEP_1)
	v_bcnt_u32_b32 v9, v9, 0
	ds_store_b32 v5, v10 offset:3072
	s_waitcnt lgkmcnt(0)
	s_barrier
	buffer_gl0_inv
	s_and_saveexec_b32 s5, vcc_lo
	s_cbranch_execnz .LBB28_58
; %bb.56:                               ;   in Loop: Header=BB28_55 Depth=1
	s_or_b32 exec_lo, exec_lo, s5
	s_and_saveexec_b32 s5, s1
	s_cbranch_execnz .LBB28_59
.LBB28_57:                              ;   in Loop: Header=BB28_55 Depth=1
	s_or_b32 exec_lo, exec_lo, s5
	s_and_saveexec_b32 s1, s0
	s_cbranch_execz .LBB28_54
	s_branch .LBB28_60
.LBB28_58:                              ;   in Loop: Header=BB28_55 Depth=1
	ds_load_b32 v10, v6 offset:3072
	s_waitcnt lgkmcnt(0)
	v_add_nc_u32_e32 v9, v10, v9
	s_or_b32 exec_lo, exec_lo, s5
	s_and_saveexec_b32 s5, s1
	s_cbranch_execz .LBB28_57
.LBB28_59:                              ;   in Loop: Header=BB28_55 Depth=1
	s_delay_alu instid0(VALU_DEP_1) | instskip(NEXT) | instid1(VALU_DEP_1)
	v_add3_u32 v10, v7, -1, v9
	v_lshl_add_u32 v11, v10, 2, 0
	v_lshl_add_u32 v10, v10, 3, 0
	ds_store_b32 v11, v8
	ds_store_b64 v10, v[2:3] offset:1024
	s_or_b32 exec_lo, exec_lo, s5
	s_and_saveexec_b32 s1, s0
	s_cbranch_execz .LBB28_54
.LBB28_60:                              ;   in Loop: Header=BB28_55 Depth=1
	ds_store_b32 v6, v9 offset:3076
	s_branch .LBB28_54
.LBB28_61:
	s_or_b32 exec_lo, exec_lo, s3
	s_ashr_i32 s3, s2, 31
	s_delay_alu instid0(SALU_CYCLE_1)
	s_lshl_b64 s[0:1], s[2:3], 2
	s_mov_b32 s3, exec_lo
	s_add_u32 s0, s10, s0
	s_addc_u32 s1, s11, s1
	s_load_b64 s[0:1], s[0:1], 0x0
	s_waitcnt lgkmcnt(0)
	s_sub_i32 s2, s1, s0
	s_delay_alu instid0(SALU_CYCLE_1)
	v_cmpx_gt_i32_e64 s2, v0
	s_cbranch_execz .LBB28_71
; %bb.62:
	s_sub_i32 s3, s0, s26
	s_sub_i32 s0, s0, s1
	s_and_b32 s1, s2, 7
	s_cmp_lt_u32 s0, -7
	s_mov_b32 s7, 0
	s_cselect_b32 s4, -1, 0
	s_and_b32 s5, s2, -8
	s_cmp_lg_u32 s1, 0
	s_cselect_b32 s6, -1, 0
	s_branch .LBB28_64
.LBB28_63:                              ;   in Loop: Header=BB28_64 Depth=1
	s_delay_alu instid0(VALU_DEP_1) | instskip(SKIP_3) | instid1(VALU_DEP_3)
	v_ashrrev_i32_e32 v4, 31, v3
	v_add_nc_u32_e32 v0, 0x80, v0
	s_waitcnt lgkmcnt(1)
	v_add_nc_u32_e32 v8, s26, v5
	v_lshlrev_b64 v[6:7], 2, v[3:4]
	v_lshlrev_b64 v[3:4], 3, v[3:4]
	v_cmp_le_i32_e32 vcc_lo, s2, v0
	s_delay_alu instid0(VALU_DEP_3) | instskip(NEXT) | instid1(VALU_DEP_1)
	v_add_co_u32 v5, s0, s28, v6
	v_add_co_ci_u32_e64 v6, s0, s29, v7, s0
	s_delay_alu instid0(VALU_DEP_4) | instskip(NEXT) | instid1(VALU_DEP_1)
	v_add_co_u32 v3, s0, s30, v3
	v_add_co_ci_u32_e64 v4, s0, s31, v4, s0
	s_or_b32 s7, vcc_lo, s7
	global_store_b32 v[5:6], v8, off
	s_waitcnt lgkmcnt(0)
	global_store_b64 v[3:4], v[1:2], off
	s_and_not1_b32 exec_lo, exec_lo, s7
	s_cbranch_execz .LBB28_71
.LBB28_64:                              ; =>This Loop Header: Depth=1
                                        ;     Child Loop BB28_66 Depth 2
                                        ;     Child Loop BB28_70 Depth 2
	v_lshlrev_b32_e32 v1, 2, v0
	s_and_not1_b32 vcc_lo, exec_lo, s4
	s_mov_b32 s0, 0
	s_delay_alu instid0(VALU_DEP_1) | instskip(NEXT) | instid1(VALU_DEP_1)
	v_dual_mov_b32 v3, s3 :: v_dual_add_nc_u32 v2, 0, v1
	v_add_nc_u32_e32 v1, v2, v1
	ds_load_b32 v5, v2
	ds_load_b64 v[1:2], v1 offset:1024
	s_cbranch_vccnz .LBB28_68
; %bb.65:                               ;   in Loop: Header=BB28_64 Depth=1
	v_mov_b32_e32 v3, s3
	s_mov_b32 s8, 0
	s_set_inst_prefetch_distance 0x1
	.p2align	6
.LBB28_66:                              ;   Parent Loop BB28_64 Depth=1
                                        ; =>  This Inner Loop Header: Depth=2
	v_mov_b32_e32 v4, s8
	s_add_i32 s0, s0, 8
	s_add_i32 s8, s8, 32
	s_cmp_eq_u32 s5, s0
	ds_load_2addr_b32 v[6:7], v4 offset1:1
	ds_load_2addr_b32 v[8:9], v4 offset0:2 offset1:3
	ds_load_2addr_b32 v[10:11], v4 offset0:4 offset1:5
	;; [unrolled: 1-line block ×3, first 2 shown]
	s_waitcnt lgkmcnt(3)
	v_cmp_gt_i32_e32 vcc_lo, v5, v6
	v_cndmask_b32_e64 v4, 0, 1, vcc_lo
	s_waitcnt lgkmcnt(2)
	v_cmp_gt_i32_e32 vcc_lo, v5, v8
	v_cndmask_b32_e64 v6, 0, 1, vcc_lo
	v_cmp_gt_i32_e32 vcc_lo, v5, v7
	v_add_co_ci_u32_e32 v3, vcc_lo, v3, v4, vcc_lo
	s_waitcnt lgkmcnt(1)
	v_cmp_gt_i32_e32 vcc_lo, v5, v10
	v_cndmask_b32_e64 v4, 0, 1, vcc_lo
	v_cmp_gt_i32_e32 vcc_lo, v5, v9
	v_add_co_ci_u32_e32 v3, vcc_lo, v3, v6, vcc_lo
	;; [unrolled: 5-line block ×3, first 2 shown]
	v_cmp_gt_i32_e32 vcc_lo, v5, v13
	s_delay_alu instid0(VALU_DEP_2)
	v_add_co_ci_u32_e32 v3, vcc_lo, v3, v6, vcc_lo
	s_cbranch_scc0 .LBB28_66
; %bb.67:                               ;   in Loop: Header=BB28_64 Depth=1
	s_set_inst_prefetch_distance 0x2
	s_mov_b32 s0, s5
.LBB28_68:                              ;   in Loop: Header=BB28_64 Depth=1
	s_and_not1_b32 vcc_lo, exec_lo, s6
	s_cbranch_vccnz .LBB28_63
; %bb.69:                               ;   in Loop: Header=BB28_64 Depth=1
	s_lshl_b32 s0, s0, 2
	s_mov_b32 s8, s1
	s_add_i32 s0, s0, 0
.LBB28_70:                              ;   Parent Loop BB28_64 Depth=1
                                        ; =>  This Inner Loop Header: Depth=2
	s_delay_alu instid0(SALU_CYCLE_1)
	v_mov_b32_e32 v4, s0
	s_add_i32 s8, s8, -1
	s_add_i32 s0, s0, 4
	s_cmp_lg_u32 s8, 0
	ds_load_b32 v4, v4
	s_waitcnt lgkmcnt(0)
	v_cmp_gt_i32_e32 vcc_lo, v5, v4
	v_add_co_ci_u32_e32 v3, vcc_lo, 0, v3, vcc_lo
	s_cbranch_scc1 .LBB28_70
	s_branch .LBB28_63
.LBB28_71:
	s_nop 0
	s_sendmsg sendmsg(MSG_DEALLOC_VGPRS)
	s_endpgm
	.section	.rodata,"a",@progbits
	.p2align	6, 0x0
	.amdhsa_kernel _ZN9rocsparseL26csrgemm_fill_block_per_rowILj128ELj16ELj256ELj137ELj64EiidEEvT5_PKS1_S3_NS_24const_host_device_scalarIT6_EEPKT4_S3_PKS5_S9_S3_SB_S6_S9_S3_SB_S9_PS1_PS5_21rocsparse_index_base_SE_SE_SE_bbb
		.amdhsa_group_segment_fixed_size 0
		.amdhsa_private_segment_fixed_size 0
		.amdhsa_kernarg_size 156
		.amdhsa_user_sgpr_count 15
		.amdhsa_user_sgpr_dispatch_ptr 0
		.amdhsa_user_sgpr_queue_ptr 0
		.amdhsa_user_sgpr_kernarg_segment_ptr 1
		.amdhsa_user_sgpr_dispatch_id 0
		.amdhsa_user_sgpr_private_segment_size 0
		.amdhsa_wavefront_size32 1
		.amdhsa_uses_dynamic_stack 0
		.amdhsa_enable_private_segment 0
		.amdhsa_system_sgpr_workgroup_id_x 1
		.amdhsa_system_sgpr_workgroup_id_y 0
		.amdhsa_system_sgpr_workgroup_id_z 0
		.amdhsa_system_sgpr_workgroup_info 0
		.amdhsa_system_vgpr_workitem_id 0
		.amdhsa_next_free_vgpr 24
		.amdhsa_next_free_sgpr 44
		.amdhsa_reserve_vcc 1
		.amdhsa_float_round_mode_32 0
		.amdhsa_float_round_mode_16_64 0
		.amdhsa_float_denorm_mode_32 3
		.amdhsa_float_denorm_mode_16_64 3
		.amdhsa_dx10_clamp 1
		.amdhsa_ieee_mode 1
		.amdhsa_fp16_overflow 0
		.amdhsa_workgroup_processor_mode 1
		.amdhsa_memory_ordered 1
		.amdhsa_forward_progress 0
		.amdhsa_shared_vgpr_count 0
		.amdhsa_exception_fp_ieee_invalid_op 0
		.amdhsa_exception_fp_denorm_src 0
		.amdhsa_exception_fp_ieee_div_zero 0
		.amdhsa_exception_fp_ieee_overflow 0
		.amdhsa_exception_fp_ieee_underflow 0
		.amdhsa_exception_fp_ieee_inexact 0
		.amdhsa_exception_int_div_zero 0
	.end_amdhsa_kernel
	.section	.text._ZN9rocsparseL26csrgemm_fill_block_per_rowILj128ELj16ELj256ELj137ELj64EiidEEvT5_PKS1_S3_NS_24const_host_device_scalarIT6_EEPKT4_S3_PKS5_S9_S3_SB_S6_S9_S3_SB_S9_PS1_PS5_21rocsparse_index_base_SE_SE_SE_bbb,"axG",@progbits,_ZN9rocsparseL26csrgemm_fill_block_per_rowILj128ELj16ELj256ELj137ELj64EiidEEvT5_PKS1_S3_NS_24const_host_device_scalarIT6_EEPKT4_S3_PKS5_S9_S3_SB_S6_S9_S3_SB_S9_PS1_PS5_21rocsparse_index_base_SE_SE_SE_bbb,comdat
.Lfunc_end28:
	.size	_ZN9rocsparseL26csrgemm_fill_block_per_rowILj128ELj16ELj256ELj137ELj64EiidEEvT5_PKS1_S3_NS_24const_host_device_scalarIT6_EEPKT4_S3_PKS5_S9_S3_SB_S6_S9_S3_SB_S9_PS1_PS5_21rocsparse_index_base_SE_SE_SE_bbb, .Lfunc_end28-_ZN9rocsparseL26csrgemm_fill_block_per_rowILj128ELj16ELj256ELj137ELj64EiidEEvT5_PKS1_S3_NS_24const_host_device_scalarIT6_EEPKT4_S3_PKS5_S9_S3_SB_S6_S9_S3_SB_S9_PS1_PS5_21rocsparse_index_base_SE_SE_SE_bbb
                                        ; -- End function
	.section	.AMDGPU.csdata,"",@progbits
; Kernel info:
; codeLenInByte = 2848
; NumSgprs: 46
; NumVgprs: 24
; ScratchSize: 0
; MemoryBound: 0
; FloatMode: 240
; IeeeMode: 1
; LDSByteSize: 0 bytes/workgroup (compile time only)
; SGPRBlocks: 5
; VGPRBlocks: 2
; NumSGPRsForWavesPerEU: 46
; NumVGPRsForWavesPerEU: 24
; Occupancy: 16
; WaveLimiterHint : 1
; COMPUTE_PGM_RSRC2:SCRATCH_EN: 0
; COMPUTE_PGM_RSRC2:USER_SGPR: 15
; COMPUTE_PGM_RSRC2:TRAP_HANDLER: 0
; COMPUTE_PGM_RSRC2:TGID_X_EN: 1
; COMPUTE_PGM_RSRC2:TGID_Y_EN: 0
; COMPUTE_PGM_RSRC2:TGID_Z_EN: 0
; COMPUTE_PGM_RSRC2:TIDIG_COMP_CNT: 0
	.section	.text._ZN9rocsparseL26csrgemm_fill_block_per_rowILj256ELj32ELj512ELj137ELj32EiidEEvT5_PKS1_S3_NS_24const_host_device_scalarIT6_EEPKT4_S3_PKS5_S9_S3_SB_S6_S9_S3_SB_S9_PS1_PS5_21rocsparse_index_base_SE_SE_SE_bbb,"axG",@progbits,_ZN9rocsparseL26csrgemm_fill_block_per_rowILj256ELj32ELj512ELj137ELj32EiidEEvT5_PKS1_S3_NS_24const_host_device_scalarIT6_EEPKT4_S3_PKS5_S9_S3_SB_S6_S9_S3_SB_S9_PS1_PS5_21rocsparse_index_base_SE_SE_SE_bbb,comdat
	.globl	_ZN9rocsparseL26csrgemm_fill_block_per_rowILj256ELj32ELj512ELj137ELj32EiidEEvT5_PKS1_S3_NS_24const_host_device_scalarIT6_EEPKT4_S3_PKS5_S9_S3_SB_S6_S9_S3_SB_S9_PS1_PS5_21rocsparse_index_base_SE_SE_SE_bbb ; -- Begin function _ZN9rocsparseL26csrgemm_fill_block_per_rowILj256ELj32ELj512ELj137ELj32EiidEEvT5_PKS1_S3_NS_24const_host_device_scalarIT6_EEPKT4_S3_PKS5_S9_S3_SB_S6_S9_S3_SB_S9_PS1_PS5_21rocsparse_index_base_SE_SE_SE_bbb
	.p2align	8
	.type	_ZN9rocsparseL26csrgemm_fill_block_per_rowILj256ELj32ELj512ELj137ELj32EiidEEvT5_PKS1_S3_NS_24const_host_device_scalarIT6_EEPKT4_S3_PKS5_S9_S3_SB_S6_S9_S3_SB_S9_PS1_PS5_21rocsparse_index_base_SE_SE_SE_bbb,@function
_ZN9rocsparseL26csrgemm_fill_block_per_rowILj256ELj32ELj512ELj137ELj32EiidEEvT5_PKS1_S3_NS_24const_host_device_scalarIT6_EEPKT4_S3_PKS5_S9_S3_SB_S6_S9_S3_SB_S9_PS1_PS5_21rocsparse_index_base_SE_SE_SE_bbb: ; @_ZN9rocsparseL26csrgemm_fill_block_per_rowILj256ELj32ELj512ELj137ELj32EiidEEvT5_PKS1_S3_NS_24const_host_device_scalarIT6_EEPKT4_S3_PKS5_S9_S3_SB_S6_S9_S3_SB_S9_PS1_PS5_21rocsparse_index_base_SE_SE_SE_bbb
; %bb.0:
	s_clause 0x2
	s_load_b32 s6, s[0:1], 0x98
	s_load_b64 s[4:5], s[0:1], 0x18
	s_load_b64 s[2:3], s[0:1], 0x50
	s_waitcnt lgkmcnt(0)
	s_and_b32 s8, 1, s6
	s_bitcmp1_b32 s6, 16
	s_cselect_b32 s7, -1, 0
	s_cmp_eq_u32 s8, 1
	s_cselect_b32 s13, -1, 0
	s_delay_alu instid0(SALU_CYCLE_1)
	s_and_b32 s8, s13, exec_lo
	s_cselect_b32 s9, s5, 0
	s_cselect_b32 s8, s4, 0
	s_xor_b32 s10, s13, -1
	v_dual_mov_b32 v3, s8 :: v_dual_mov_b32 v4, s9
	s_or_b32 s10, s10, s7
	s_delay_alu instid0(SALU_CYCLE_1)
	s_and_b32 vcc_lo, exec_lo, s10
	s_cbranch_vccnz .LBB29_2
; %bb.1:
	v_dual_mov_b32 v1, s4 :: v_dual_mov_b32 v2, s5
	flat_load_b64 v[3:4], v[1:2]
.LBB29_2:
	s_load_b128 s[24:27], s[0:1], 0x88
	s_bitcmp1_b32 s6, 8
	s_cselect_b32 s33, -1, 0
	s_delay_alu instid0(SALU_CYCLE_1)
	s_and_b32 s4, s33, exec_lo
	s_cselect_b32 s5, s3, 0
	s_cselect_b32 s4, s2, 0
	s_xor_b32 s6, s33, -1
	v_dual_mov_b32 v1, s4 :: v_dual_mov_b32 v2, s5
	s_or_b32 s6, s6, s7
	s_delay_alu instid0(SALU_CYCLE_1)
	s_and_b32 vcc_lo, exec_lo, s6
	s_cbranch_vccnz .LBB29_4
; %bb.3:
	v_dual_mov_b32 v1, s2 :: v_dual_mov_b32 v2, s3
	flat_load_b64 v[1:2], v[1:2]
.LBB29_4:
	s_clause 0x5
	s_load_b128 s[28:31], s[0:1], 0x78
	s_load_b256 s[4:11], s[0:1], 0x58
	s_load_b128 s[36:39], s[0:1], 0x40
	s_load_b256 s[16:23], s[0:1], 0x20
	s_load_b128 s[40:43], s[0:1], 0x8
	s_load_b32 s14, s[0:1], 0x0
	v_cmp_gt_u32_e64 s0, 0x200, v0
	v_lshlrev_b32_e32 v17, 3, v0
	v_or_b32_e32 v15, 0xffffff00, v0
	v_lshl_add_u32 v16, v0, 2, 0
	s_delay_alu instid0(VALU_DEP_4)
	s_and_saveexec_b32 s1, s0
	s_cbranch_execz .LBB29_7
; %bb.5:
	s_waitcnt lgkmcnt(0)
	v_dual_mov_b32 v5, 0 :: v_dual_mov_b32 v10, s14
	v_add3_u32 v7, v17, 0, 0x800
	v_or_b32_e32 v8, 0xffffff00, v0
	v_lshl_add_u32 v9, v0, 2, 0
	s_delay_alu instid0(VALU_DEP_4)
	v_mov_b32_e32 v6, v5
	s_mov_b32 s2, 0
.LBB29_6:                               ; =>This Inner Loop Header: Depth=1
	s_delay_alu instid0(VALU_DEP_3) | instskip(NEXT) | instid1(VALU_DEP_1)
	v_add_co_u32 v8, s3, 0x100, v8
	s_xor_b32 s3, s3, -1
	ds_store_b32 v9, v10
	ds_store_b64 v7, v[5:6]
	v_add_nc_u32_e32 v7, 0x800, v7
	v_add_nc_u32_e32 v9, 0x400, v9
	s_and_b32 s3, exec_lo, s3
	s_delay_alu instid0(SALU_CYCLE_1) | instskip(NEXT) | instid1(SALU_CYCLE_1)
	s_or_b32 s2, s3, s2
	s_and_not1_b32 exec_lo, exec_lo, s2
	s_cbranch_execnz .LBB29_6
.LBB29_7:
	s_or_b32 exec_lo, exec_lo, s1
	s_waitcnt vmcnt(0) lgkmcnt(0)
	s_barrier
	buffer_gl0_inv
	s_load_b32 s1, s[40:41], 0x0
	s_mov_b32 s3, 0
	v_lshrrev_b32_e32 v18, 5, v0
	s_waitcnt lgkmcnt(0)
	s_add_i32 s2, s1, s15
	s_delay_alu instid0(SALU_CYCLE_1) | instskip(NEXT) | instid1(SALU_CYCLE_1)
	s_lshl_b64 s[2:3], s[2:3], 2
	s_add_u32 s2, s42, s2
	s_addc_u32 s3, s43, s3
	s_and_b32 vcc_lo, exec_lo, s13
	s_load_b32 s12, s[2:3], 0x0
	s_cbranch_vccz .LBB29_31
; %bb.8:
	s_waitcnt lgkmcnt(0)
	s_ashr_i32 s13, s12, 31
	v_subrev_nc_u32_e32 v5, s24, v18
	s_lshl_b64 s[2:3], s[12:13], 2
	s_delay_alu instid0(SALU_CYCLE_1)
	s_add_u32 s2, s16, s2
	s_addc_u32 s3, s17, s3
	s_load_b64 s[2:3], s[2:3], 0x0
	s_waitcnt lgkmcnt(0)
	v_add_nc_u32_e32 v5, s2, v5
	s_sub_i32 s1, s3, s24
	s_mov_b32 s2, exec_lo
	s_delay_alu instid0(VALU_DEP_1)
	v_cmpx_gt_i32_e64 s1, v5
	s_cbranch_execz .LBB29_30
; %bb.9:
	v_and_b32_e32 v6, 31, v0
	s_mov_b32 s3, 0
	s_delay_alu instid0(VALU_DEP_1)
	v_subrev_nc_u32_e32 v19, s25, v6
	s_branch .LBB29_11
.LBB29_10:                              ;   in Loop: Header=BB29_11 Depth=1
	s_or_b32 exec_lo, exec_lo, s13
	v_add_nc_u32_e32 v5, 8, v5
	s_delay_alu instid0(VALU_DEP_1) | instskip(SKIP_1) | instid1(SALU_CYCLE_1)
	v_cmp_le_i32_e32 vcc_lo, s1, v5
	s_or_b32 s3, vcc_lo, s3
	s_and_not1_b32 exec_lo, exec_lo, s3
	s_cbranch_execz .LBB29_30
.LBB29_11:                              ; =>This Loop Header: Depth=1
                                        ;     Child Loop BB29_14 Depth 2
                                        ;       Child Loop BB29_16 Depth 3
                                        ;         Child Loop BB29_22 Depth 4
                                        ;         Child Loop BB29_28 Depth 4
	v_ashrrev_i32_e32 v6, 31, v5
	s_mov_b32 s13, exec_lo
	s_delay_alu instid0(VALU_DEP_1) | instskip(NEXT) | instid1(VALU_DEP_1)
	v_lshlrev_b64 v[7:8], 2, v[5:6]
	v_add_co_u32 v7, vcc_lo, s18, v7
	s_delay_alu instid0(VALU_DEP_2) | instskip(SKIP_3) | instid1(VALU_DEP_1)
	v_add_co_ci_u32_e32 v8, vcc_lo, s19, v8, vcc_lo
	global_load_b32 v7, v[7:8], off
	s_waitcnt vmcnt(0)
	v_subrev_nc_u32_e32 v7, s24, v7
	v_ashrrev_i32_e32 v8, 31, v7
	s_delay_alu instid0(VALU_DEP_1) | instskip(NEXT) | instid1(VALU_DEP_1)
	v_lshlrev_b64 v[7:8], 2, v[7:8]
	v_add_co_u32 v7, vcc_lo, s22, v7
	s_delay_alu instid0(VALU_DEP_2) | instskip(SKIP_4) | instid1(VALU_DEP_1)
	v_add_co_ci_u32_e32 v8, vcc_lo, s23, v8, vcc_lo
	global_load_b64 v[7:8], v[7:8], off
	s_waitcnt vmcnt(0)
	v_subrev_nc_u32_e32 v20, s25, v8
	v_add_nc_u32_e32 v7, v7, v19
	v_cmpx_lt_i32_e64 v7, v20
	s_cbranch_execz .LBB29_10
; %bb.12:                               ;   in Loop: Header=BB29_11 Depth=1
	v_lshlrev_b64 v[8:9], 3, v[5:6]
	s_mov_b32 s15, 0
	s_delay_alu instid0(VALU_DEP_1) | instskip(NEXT) | instid1(VALU_DEP_2)
	v_add_co_u32 v8, vcc_lo, s20, v8
	v_add_co_ci_u32_e32 v9, vcc_lo, s21, v9, vcc_lo
	global_load_b64 v[8:9], v[8:9], off
	s_waitcnt vmcnt(0)
	v_mul_f64 v[9:10], v[3:4], v[8:9]
	s_branch .LBB29_14
.LBB29_13:                              ;   in Loop: Header=BB29_14 Depth=2
	s_or_b32 exec_lo, exec_lo, s16
	v_add_nc_u32_e32 v7, 32, v7
	s_delay_alu instid0(VALU_DEP_1) | instskip(SKIP_1) | instid1(SALU_CYCLE_1)
	v_cmp_ge_i32_e32 vcc_lo, v7, v20
	s_or_b32 s15, vcc_lo, s15
	s_and_not1_b32 exec_lo, exec_lo, s15
	s_cbranch_execz .LBB29_10
.LBB29_14:                              ;   Parent Loop BB29_11 Depth=1
                                        ; =>  This Loop Header: Depth=2
                                        ;       Child Loop BB29_16 Depth 3
                                        ;         Child Loop BB29_22 Depth 4
                                        ;         Child Loop BB29_28 Depth 4
	v_ashrrev_i32_e32 v8, 31, v7
	s_mov_b32 s16, 0
	s_delay_alu instid0(VALU_DEP_1) | instskip(SKIP_1) | instid1(VALU_DEP_2)
	v_lshlrev_b64 v[11:12], 3, v[7:8]
	v_lshlrev_b64 v[13:14], 2, v[7:8]
	v_add_co_u32 v11, vcc_lo, s38, v11
	s_delay_alu instid0(VALU_DEP_3) | instskip(NEXT) | instid1(VALU_DEP_3)
	v_add_co_ci_u32_e32 v12, vcc_lo, s39, v12, vcc_lo
	v_add_co_u32 v13, vcc_lo, s36, v13
	s_delay_alu instid0(VALU_DEP_4)
	v_add_co_ci_u32_e32 v14, vcc_lo, s37, v14, vcc_lo
	global_load_b64 v[11:12], v[11:12], off
	global_load_b32 v6, v[13:14], off
	s_waitcnt vmcnt(1)
	v_mul_f64 v[11:12], v[9:10], v[11:12]
	s_waitcnt vmcnt(0)
	v_subrev_nc_u32_e32 v6, s25, v6
	s_delay_alu instid0(VALU_DEP_1) | instskip(NEXT) | instid1(VALU_DEP_1)
	v_mul_lo_u32 v8, 0x89, v6
	v_and_b32_e32 v8, 0x1ff, v8
	s_branch .LBB29_16
.LBB29_15:                              ;   in Loop: Header=BB29_16 Depth=3
	s_or_b32 exec_lo, exec_lo, s17
	s_xor_b32 s17, s34, -1
	s_delay_alu instid0(SALU_CYCLE_1) | instskip(NEXT) | instid1(SALU_CYCLE_1)
	s_and_b32 s17, exec_lo, s17
	s_or_b32 s16, s17, s16
	s_delay_alu instid0(SALU_CYCLE_1)
	s_and_not1_b32 exec_lo, exec_lo, s16
	s_cbranch_execz .LBB29_13
.LBB29_16:                              ;   Parent Loop BB29_11 Depth=1
                                        ;     Parent Loop BB29_14 Depth=2
                                        ; =>    This Loop Header: Depth=3
                                        ;         Child Loop BB29_22 Depth 4
                                        ;         Child Loop BB29_28 Depth 4
	s_delay_alu instid0(VALU_DEP_1)
	v_lshl_add_u32 v13, v8, 2, 0
	s_mov_b32 s17, exec_lo
                                        ; implicit-def: $sgpr34
	ds_load_b32 v14, v13
	s_waitcnt lgkmcnt(0)
	v_cmpx_ne_u32_e64 v14, v6
	s_xor_b32 s17, exec_lo, s17
	s_cbranch_execz .LBB29_26
; %bb.17:                               ;   in Loop: Header=BB29_16 Depth=3
	s_mov_b32 s35, exec_lo
                                        ; implicit-def: $sgpr34
	v_cmpx_ne_u32_e64 s14, v14
	s_xor_b32 s35, exec_lo, s35
; %bb.18:                               ;   in Loop: Header=BB29_16 Depth=3
	v_add_nc_u32_e32 v8, 1, v8
	s_mov_b32 s34, -1
                                        ; implicit-def: $vgpr13
	s_delay_alu instid0(VALU_DEP_1)
	v_and_b32_e32 v8, 0x1ff, v8
; %bb.19:                               ;   in Loop: Header=BB29_16 Depth=3
	s_and_not1_saveexec_b32 s35, s35
	s_cbranch_execz .LBB29_25
; %bb.20:                               ;   in Loop: Header=BB29_16 Depth=3
	v_mov_b32_e32 v14, s14
	s_mov_b32 s41, -1
	s_mov_b32 s40, exec_lo
	ds_cmpstore_rtn_b32 v14, v13, v6, v14
	s_waitcnt lgkmcnt(0)
	v_cmpx_eq_u32_e64 s14, v14
	s_cbranch_execz .LBB29_24
; %bb.21:                               ;   in Loop: Header=BB29_16 Depth=3
	v_lshlrev_b32_e32 v14, 2, v8
	s_mov_b32 s41, 0
	s_delay_alu instid0(VALU_DEP_1)
	v_add_nc_u32_e32 v21, v13, v14
	ds_load_b64 v[13:14], v21 offset:2048
.LBB29_22:                              ;   Parent Loop BB29_11 Depth=1
                                        ;     Parent Loop BB29_14 Depth=2
                                        ;       Parent Loop BB29_16 Depth=3
                                        ; =>      This Inner Loop Header: Depth=4
	s_waitcnt lgkmcnt(0)
	v_add_f64 v[22:23], v[13:14], v[11:12]
	ds_cmpstore_rtn_b64 v[22:23], v21, v[22:23], v[13:14] offset:2048
	s_waitcnt lgkmcnt(0)
	v_cmp_eq_u64_e32 vcc_lo, v[22:23], v[13:14]
	v_dual_mov_b32 v13, v22 :: v_dual_mov_b32 v14, v23
	s_or_b32 s41, vcc_lo, s41
	s_delay_alu instid0(SALU_CYCLE_1)
	s_and_not1_b32 exec_lo, exec_lo, s41
	s_cbranch_execnz .LBB29_22
; %bb.23:                               ;   in Loop: Header=BB29_16 Depth=3
	s_or_b32 exec_lo, exec_lo, s41
	s_delay_alu instid0(SALU_CYCLE_1)
	s_xor_b32 s41, exec_lo, -1
.LBB29_24:                              ;   in Loop: Header=BB29_16 Depth=3
	s_or_b32 exec_lo, exec_lo, s40
	s_delay_alu instid0(SALU_CYCLE_1) | instskip(SKIP_1) | instid1(SALU_CYCLE_1)
	s_and_not1_b32 s34, s34, exec_lo
	s_and_b32 s40, s41, exec_lo
	s_or_b32 s34, s34, s40
.LBB29_25:                              ;   in Loop: Header=BB29_16 Depth=3
	s_or_b32 exec_lo, exec_lo, s35
	s_delay_alu instid0(SALU_CYCLE_1)
	s_and_b32 s34, s34, exec_lo
                                        ; implicit-def: $vgpr13
.LBB29_26:                              ;   in Loop: Header=BB29_16 Depth=3
	s_and_not1_saveexec_b32 s17, s17
	s_cbranch_execz .LBB29_15
; %bb.27:                               ;   in Loop: Header=BB29_16 Depth=3
	v_lshlrev_b32_e32 v14, 2, v8
	s_mov_b32 s35, 0
	s_delay_alu instid0(VALU_DEP_1)
	v_add_nc_u32_e32 v21, v13, v14
	ds_load_b64 v[13:14], v21 offset:2048
.LBB29_28:                              ;   Parent Loop BB29_11 Depth=1
                                        ;     Parent Loop BB29_14 Depth=2
                                        ;       Parent Loop BB29_16 Depth=3
                                        ; =>      This Inner Loop Header: Depth=4
	s_waitcnt lgkmcnt(0)
	v_add_f64 v[22:23], v[13:14], v[11:12]
	ds_cmpstore_rtn_b64 v[22:23], v21, v[22:23], v[13:14] offset:2048
	s_waitcnt lgkmcnt(0)
	v_cmp_eq_u64_e32 vcc_lo, v[22:23], v[13:14]
	v_dual_mov_b32 v13, v22 :: v_dual_mov_b32 v14, v23
	s_or_b32 s35, vcc_lo, s35
	s_delay_alu instid0(SALU_CYCLE_1)
	s_and_not1_b32 exec_lo, exec_lo, s35
	s_cbranch_execnz .LBB29_28
; %bb.29:                               ;   in Loop: Header=BB29_16 Depth=3
	s_or_b32 exec_lo, exec_lo, s35
	s_delay_alu instid0(SALU_CYCLE_1)
	s_and_not1_b32 s34, s34, exec_lo
	s_branch .LBB29_15
.LBB29_30:
	s_or_b32 exec_lo, exec_lo, s2
.LBB29_31:
	s_delay_alu instid0(SALU_CYCLE_1)
	s_and_not1_b32 vcc_lo, exec_lo, s33
	s_cbranch_vccnz .LBB29_52
; %bb.32:
	s_waitcnt lgkmcnt(0)
	s_ashr_i32 s13, s12, 31
	v_subrev_nc_u32_e32 v3, s27, v0
	s_lshl_b64 s[2:3], s[12:13], 2
	s_delay_alu instid0(SALU_CYCLE_1)
	s_add_u32 s2, s4, s2
	s_addc_u32 s3, s5, s3
	s_load_b64 s[2:3], s[2:3], 0x0
	s_waitcnt lgkmcnt(0)
	v_add_nc_u32_e32 v3, s2, v3
	s_sub_i32 s1, s3, s27
	s_mov_b32 s2, exec_lo
	s_delay_alu instid0(VALU_DEP_1)
	v_cmpx_gt_i32_e64 s1, v3
	s_cbranch_execz .LBB29_51
; %bb.33:
	s_mov_b32 s3, 0
	s_branch .LBB29_35
.LBB29_34:                              ;   in Loop: Header=BB29_35 Depth=1
	s_or_b32 exec_lo, exec_lo, s4
	v_add_nc_u32_e32 v3, 0x100, v3
	s_delay_alu instid0(VALU_DEP_1) | instskip(SKIP_1) | instid1(SALU_CYCLE_1)
	v_cmp_le_i32_e32 vcc_lo, s1, v3
	s_or_b32 s3, vcc_lo, s3
	s_and_not1_b32 exec_lo, exec_lo, s3
	s_cbranch_execz .LBB29_51
.LBB29_35:                              ; =>This Loop Header: Depth=1
                                        ;     Child Loop BB29_37 Depth 2
                                        ;       Child Loop BB29_43 Depth 3
                                        ;       Child Loop BB29_49 Depth 3
	v_ashrrev_i32_e32 v4, 31, v3
	s_mov_b32 s4, 0
	s_delay_alu instid0(VALU_DEP_1) | instskip(SKIP_1) | instid1(VALU_DEP_2)
	v_lshlrev_b64 v[5:6], 3, v[3:4]
	v_lshlrev_b64 v[7:8], 2, v[3:4]
	v_add_co_u32 v5, vcc_lo, s8, v5
	s_delay_alu instid0(VALU_DEP_3) | instskip(NEXT) | instid1(VALU_DEP_3)
	v_add_co_ci_u32_e32 v6, vcc_lo, s9, v6, vcc_lo
	v_add_co_u32 v7, vcc_lo, s6, v7
	s_delay_alu instid0(VALU_DEP_4)
	v_add_co_ci_u32_e32 v8, vcc_lo, s7, v8, vcc_lo
	global_load_b64 v[5:6], v[5:6], off
	global_load_b32 v7, v[7:8], off
	s_waitcnt vmcnt(1)
	v_mul_f64 v[4:5], v[1:2], v[5:6]
	s_waitcnt vmcnt(0)
	v_subrev_nc_u32_e32 v8, s27, v7
	s_delay_alu instid0(VALU_DEP_1) | instskip(NEXT) | instid1(VALU_DEP_1)
	v_mul_lo_u32 v6, 0x89, v8
	v_and_b32_e32 v9, 0x1ff, v6
	s_branch .LBB29_37
.LBB29_36:                              ;   in Loop: Header=BB29_37 Depth=2
	s_or_b32 exec_lo, exec_lo, s5
	s_xor_b32 s5, s13, -1
	s_delay_alu instid0(SALU_CYCLE_1) | instskip(NEXT) | instid1(SALU_CYCLE_1)
	s_and_b32 s5, exec_lo, s5
	s_or_b32 s4, s5, s4
	s_delay_alu instid0(SALU_CYCLE_1)
	s_and_not1_b32 exec_lo, exec_lo, s4
	s_cbranch_execz .LBB29_34
.LBB29_37:                              ;   Parent Loop BB29_35 Depth=1
                                        ; =>  This Loop Header: Depth=2
                                        ;       Child Loop BB29_43 Depth 3
                                        ;       Child Loop BB29_49 Depth 3
	s_delay_alu instid0(VALU_DEP_1)
	v_lshl_add_u32 v6, v9, 2, 0
	s_mov_b32 s5, exec_lo
                                        ; implicit-def: $sgpr13
	ds_load_b32 v7, v6
	s_waitcnt lgkmcnt(0)
	v_cmpx_ne_u32_e64 v7, v8
	s_xor_b32 s5, exec_lo, s5
	s_cbranch_execz .LBB29_47
; %bb.38:                               ;   in Loop: Header=BB29_37 Depth=2
	s_mov_b32 s15, exec_lo
                                        ; implicit-def: $sgpr13
	v_cmpx_ne_u32_e64 s14, v7
	s_xor_b32 s15, exec_lo, s15
; %bb.39:                               ;   in Loop: Header=BB29_37 Depth=2
	v_add_nc_u32_e32 v6, 1, v9
	s_mov_b32 s13, -1
	s_delay_alu instid0(VALU_DEP_1)
	v_and_b32_e32 v9, 0x1ff, v6
                                        ; implicit-def: $vgpr6
; %bb.40:                               ;   in Loop: Header=BB29_37 Depth=2
	s_and_not1_saveexec_b32 s15, s15
	s_cbranch_execz .LBB29_46
; %bb.41:                               ;   in Loop: Header=BB29_37 Depth=2
	v_mov_b32_e32 v7, s14
	s_mov_b32 s17, -1
	s_mov_b32 s16, exec_lo
	ds_cmpstore_rtn_b32 v7, v6, v8, v7
	s_waitcnt lgkmcnt(0)
	v_cmpx_eq_u32_e64 s14, v7
	s_cbranch_execz .LBB29_45
; %bb.42:                               ;   in Loop: Header=BB29_37 Depth=2
	v_lshlrev_b32_e32 v7, 2, v9
	s_mov_b32 s17, 0
	s_delay_alu instid0(VALU_DEP_1)
	v_add_nc_u32_e32 v10, v6, v7
	ds_load_b64 v[6:7], v10 offset:2048
.LBB29_43:                              ;   Parent Loop BB29_35 Depth=1
                                        ;     Parent Loop BB29_37 Depth=2
                                        ; =>    This Inner Loop Header: Depth=3
	s_waitcnt lgkmcnt(0)
	v_add_f64 v[11:12], v[6:7], v[4:5]
	ds_cmpstore_rtn_b64 v[11:12], v10, v[11:12], v[6:7] offset:2048
	s_waitcnt lgkmcnt(0)
	v_cmp_eq_u64_e32 vcc_lo, v[11:12], v[6:7]
	v_dual_mov_b32 v6, v11 :: v_dual_mov_b32 v7, v12
	s_or_b32 s17, vcc_lo, s17
	s_delay_alu instid0(SALU_CYCLE_1)
	s_and_not1_b32 exec_lo, exec_lo, s17
	s_cbranch_execnz .LBB29_43
; %bb.44:                               ;   in Loop: Header=BB29_37 Depth=2
	s_or_b32 exec_lo, exec_lo, s17
	s_delay_alu instid0(SALU_CYCLE_1)
	s_xor_b32 s17, exec_lo, -1
.LBB29_45:                              ;   in Loop: Header=BB29_37 Depth=2
	s_or_b32 exec_lo, exec_lo, s16
	s_delay_alu instid0(SALU_CYCLE_1) | instskip(SKIP_1) | instid1(SALU_CYCLE_1)
	s_and_not1_b32 s13, s13, exec_lo
	s_and_b32 s16, s17, exec_lo
	s_or_b32 s13, s13, s16
.LBB29_46:                              ;   in Loop: Header=BB29_37 Depth=2
	s_or_b32 exec_lo, exec_lo, s15
	s_delay_alu instid0(SALU_CYCLE_1)
	s_and_b32 s13, s13, exec_lo
                                        ; implicit-def: $vgpr6
.LBB29_47:                              ;   in Loop: Header=BB29_37 Depth=2
	s_and_not1_saveexec_b32 s5, s5
	s_cbranch_execz .LBB29_36
; %bb.48:                               ;   in Loop: Header=BB29_37 Depth=2
	v_lshlrev_b32_e32 v7, 2, v9
	s_mov_b32 s15, 0
	s_delay_alu instid0(VALU_DEP_1)
	v_add_nc_u32_e32 v10, v6, v7
	ds_load_b64 v[6:7], v10 offset:2048
.LBB29_49:                              ;   Parent Loop BB29_35 Depth=1
                                        ;     Parent Loop BB29_37 Depth=2
                                        ; =>    This Inner Loop Header: Depth=3
	s_waitcnt lgkmcnt(0)
	v_add_f64 v[11:12], v[6:7], v[4:5]
	ds_cmpstore_rtn_b64 v[11:12], v10, v[11:12], v[6:7] offset:2048
	s_waitcnt lgkmcnt(0)
	v_cmp_eq_u64_e32 vcc_lo, v[11:12], v[6:7]
	v_dual_mov_b32 v6, v11 :: v_dual_mov_b32 v7, v12
	s_or_b32 s15, vcc_lo, s15
	s_delay_alu instid0(SALU_CYCLE_1)
	s_and_not1_b32 exec_lo, exec_lo, s15
	s_cbranch_execnz .LBB29_49
; %bb.50:                               ;   in Loop: Header=BB29_37 Depth=2
	s_or_b32 exec_lo, exec_lo, s15
	s_delay_alu instid0(SALU_CYCLE_1)
	s_and_not1_b32 s13, s13, exec_lo
	s_branch .LBB29_36
.LBB29_51:
	s_or_b32 exec_lo, exec_lo, s2
.LBB29_52:
	s_waitcnt lgkmcnt(0)
	s_barrier
	buffer_gl0_inv
	s_and_saveexec_b32 s8, s0
	s_cbranch_execz .LBB29_73
; %bb.53:
	v_mbcnt_lo_u32_b32 v1, -1, 0
	v_lshl_add_u32 v4, v18, 2, 0
	v_cmp_eq_u32_e32 vcc_lo, 0xff, v0
	v_cmp_lt_u32_e64 s0, 31, v0
	v_cmp_lt_u32_e64 s1, 63, v0
	v_xor_b32_e32 v1, 63, v1
	v_cmp_lt_u32_e64 s2, 0x5f, v0
	v_cmp_lt_u32_e64 s3, 0x7f, v0
	;; [unrolled: 1-line block ×4, first 2 shown]
	v_lshrrev_b64 v[1:2], v1, -1
	v_cmp_lt_u32_e64 s6, 0xdf, v0
	v_add3_u32 v5, v17, 0, 0x800
	v_dual_mov_b32 v6, 0 :: v_dual_mov_b32 v7, 0
	s_mov_b32 s9, 0
	s_branch .LBB29_55
.LBB29_54:                              ;   in Loop: Header=BB29_55 Depth=1
	s_or_b32 exec_lo, exec_lo, s7
	s_waitcnt lgkmcnt(0)
	s_barrier
	buffer_gl0_inv
	ds_load_b32 v2, v6 offset:6172
	v_add_co_u32 v15, s7, 0x100, v15
	s_delay_alu instid0(VALU_DEP_1) | instskip(SKIP_3) | instid1(SALU_CYCLE_1)
	s_xor_b32 s7, s7, -1
	v_add_nc_u32_e32 v5, 0x800, v5
	v_add_nc_u32_e32 v16, 0x400, v16
	s_and_b32 s7, exec_lo, s7
	s_or_b32 s9, s7, s9
	s_waitcnt lgkmcnt(0)
	v_add_nc_u32_e32 v7, v2, v7
	s_and_not1_b32 exec_lo, exec_lo, s9
	s_cbranch_execz .LBB29_73
.LBB29_55:                              ; =>This Inner Loop Header: Depth=1
	ds_load_b32 v8, v16
	ds_load_b64 v[2:3], v5
	s_waitcnt lgkmcnt(0)
	s_barrier
	buffer_gl0_inv
	v_cmp_gt_i32_e64 s7, s14, v8
	s_delay_alu instid0(VALU_DEP_1) | instskip(NEXT) | instid1(SALU_CYCLE_1)
	s_bcnt1_i32_b32 s13, s7
	v_dual_mov_b32 v10, s13 :: v_dual_and_b32 v9, s7, v1
	s_delay_alu instid0(VALU_DEP_1)
	v_bcnt_u32_b32 v9, v9, 0
	ds_store_b32 v4, v10 offset:6144
	s_waitcnt lgkmcnt(0)
	s_barrier
	buffer_gl0_inv
	s_and_saveexec_b32 s13, s0
	s_cbranch_execnz .LBB29_64
; %bb.56:                               ;   in Loop: Header=BB29_55 Depth=1
	s_or_b32 exec_lo, exec_lo, s13
	s_and_saveexec_b32 s13, s1
	s_cbranch_execnz .LBB29_65
.LBB29_57:                              ;   in Loop: Header=BB29_55 Depth=1
	s_or_b32 exec_lo, exec_lo, s13
	s_and_saveexec_b32 s13, s2
	s_cbranch_execnz .LBB29_66
.LBB29_58:                              ;   in Loop: Header=BB29_55 Depth=1
	s_or_b32 exec_lo, exec_lo, s13
	s_and_saveexec_b32 s13, s3
	s_cbranch_execnz .LBB29_67
.LBB29_59:                              ;   in Loop: Header=BB29_55 Depth=1
	s_or_b32 exec_lo, exec_lo, s13
	s_and_saveexec_b32 s13, s4
	s_cbranch_execnz .LBB29_68
.LBB29_60:                              ;   in Loop: Header=BB29_55 Depth=1
	s_or_b32 exec_lo, exec_lo, s13
	s_and_saveexec_b32 s13, s5
	s_cbranch_execnz .LBB29_69
.LBB29_61:                              ;   in Loop: Header=BB29_55 Depth=1
	s_or_b32 exec_lo, exec_lo, s13
	s_and_saveexec_b32 s13, s6
	s_cbranch_execnz .LBB29_70
.LBB29_62:                              ;   in Loop: Header=BB29_55 Depth=1
	s_or_b32 exec_lo, exec_lo, s13
	s_and_saveexec_b32 s13, s7
	s_cbranch_execnz .LBB29_71
.LBB29_63:                              ;   in Loop: Header=BB29_55 Depth=1
	s_or_b32 exec_lo, exec_lo, s13
	s_and_saveexec_b32 s7, vcc_lo
	s_cbranch_execz .LBB29_54
	s_branch .LBB29_72
.LBB29_64:                              ;   in Loop: Header=BB29_55 Depth=1
	ds_load_b32 v10, v6 offset:6144
	s_waitcnt lgkmcnt(0)
	v_add_nc_u32_e32 v9, v10, v9
	s_or_b32 exec_lo, exec_lo, s13
	s_and_saveexec_b32 s13, s1
	s_cbranch_execz .LBB29_57
.LBB29_65:                              ;   in Loop: Header=BB29_55 Depth=1
	ds_load_b32 v10, v6 offset:6148
	s_waitcnt lgkmcnt(0)
	v_add_nc_u32_e32 v9, v10, v9
	s_or_b32 exec_lo, exec_lo, s13
	s_and_saveexec_b32 s13, s2
	s_cbranch_execz .LBB29_58
.LBB29_66:                              ;   in Loop: Header=BB29_55 Depth=1
	ds_load_b32 v10, v6 offset:6152
	s_waitcnt lgkmcnt(0)
	v_add_nc_u32_e32 v9, v10, v9
	s_or_b32 exec_lo, exec_lo, s13
	s_and_saveexec_b32 s13, s3
	s_cbranch_execz .LBB29_59
.LBB29_67:                              ;   in Loop: Header=BB29_55 Depth=1
	ds_load_b32 v10, v6 offset:6156
	s_waitcnt lgkmcnt(0)
	v_add_nc_u32_e32 v9, v10, v9
	s_or_b32 exec_lo, exec_lo, s13
	s_and_saveexec_b32 s13, s4
	s_cbranch_execz .LBB29_60
.LBB29_68:                              ;   in Loop: Header=BB29_55 Depth=1
	ds_load_b32 v10, v6 offset:6160
	s_waitcnt lgkmcnt(0)
	v_add_nc_u32_e32 v9, v10, v9
	s_or_b32 exec_lo, exec_lo, s13
	s_and_saveexec_b32 s13, s5
	s_cbranch_execz .LBB29_61
.LBB29_69:                              ;   in Loop: Header=BB29_55 Depth=1
	ds_load_b32 v10, v6 offset:6164
	s_waitcnt lgkmcnt(0)
	v_add_nc_u32_e32 v9, v10, v9
	s_or_b32 exec_lo, exec_lo, s13
	s_and_saveexec_b32 s13, s6
	s_cbranch_execz .LBB29_62
.LBB29_70:                              ;   in Loop: Header=BB29_55 Depth=1
	ds_load_b32 v10, v6 offset:6168
	s_waitcnt lgkmcnt(0)
	v_add_nc_u32_e32 v9, v10, v9
	s_or_b32 exec_lo, exec_lo, s13
	s_and_saveexec_b32 s13, s7
	s_cbranch_execz .LBB29_63
.LBB29_71:                              ;   in Loop: Header=BB29_55 Depth=1
	s_delay_alu instid0(VALU_DEP_1) | instskip(NEXT) | instid1(VALU_DEP_1)
	v_add3_u32 v10, v7, -1, v9
	v_lshl_add_u32 v11, v10, 2, 0
	v_lshl_add_u32 v10, v10, 3, 0
	ds_store_b32 v11, v8
	ds_store_b64 v10, v[2:3] offset:2048
	s_or_b32 exec_lo, exec_lo, s13
	s_and_saveexec_b32 s7, vcc_lo
	s_cbranch_execz .LBB29_54
.LBB29_72:                              ;   in Loop: Header=BB29_55 Depth=1
	ds_store_b32 v6, v9 offset:6172
	s_branch .LBB29_54
.LBB29_73:
	s_or_b32 exec_lo, exec_lo, s8
	s_ashr_i32 s13, s12, 31
	s_mov_b32 s3, exec_lo
	s_lshl_b64 s[0:1], s[12:13], 2
	s_delay_alu instid0(SALU_CYCLE_1) | instskip(SKIP_4) | instid1(SALU_CYCLE_1)
	s_add_u32 s0, s10, s0
	s_addc_u32 s1, s11, s1
	s_load_b64 s[0:1], s[0:1], 0x0
	s_waitcnt lgkmcnt(0)
	s_sub_i32 s2, s1, s0
	v_cmpx_gt_i32_e64 s2, v0
	s_cbranch_execz .LBB29_83
; %bb.74:
	s_sub_i32 s3, s0, s26
	s_sub_i32 s0, s0, s1
	s_and_b32 s1, s2, 7
	s_cmp_lt_u32 s0, -7
	s_mov_b32 s7, 0
	s_cselect_b32 s4, -1, 0
	s_and_b32 s5, s2, -8
	s_cmp_lg_u32 s1, 0
	s_cselect_b32 s6, -1, 0
	s_branch .LBB29_76
.LBB29_75:                              ;   in Loop: Header=BB29_76 Depth=1
	s_delay_alu instid0(VALU_DEP_1) | instskip(SKIP_3) | instid1(VALU_DEP_3)
	v_ashrrev_i32_e32 v4, 31, v3
	v_add_nc_u32_e32 v0, 0x100, v0
	s_waitcnt lgkmcnt(1)
	v_add_nc_u32_e32 v8, s26, v5
	v_lshlrev_b64 v[6:7], 2, v[3:4]
	v_lshlrev_b64 v[3:4], 3, v[3:4]
	v_cmp_le_i32_e32 vcc_lo, s2, v0
	s_delay_alu instid0(VALU_DEP_3) | instskip(NEXT) | instid1(VALU_DEP_1)
	v_add_co_u32 v5, s0, s28, v6
	v_add_co_ci_u32_e64 v6, s0, s29, v7, s0
	s_delay_alu instid0(VALU_DEP_4) | instskip(NEXT) | instid1(VALU_DEP_1)
	v_add_co_u32 v3, s0, s30, v3
	v_add_co_ci_u32_e64 v4, s0, s31, v4, s0
	s_or_b32 s7, vcc_lo, s7
	global_store_b32 v[5:6], v8, off
	s_waitcnt lgkmcnt(0)
	global_store_b64 v[3:4], v[1:2], off
	s_and_not1_b32 exec_lo, exec_lo, s7
	s_cbranch_execz .LBB29_83
.LBB29_76:                              ; =>This Loop Header: Depth=1
                                        ;     Child Loop BB29_78 Depth 2
                                        ;     Child Loop BB29_82 Depth 2
	v_lshlrev_b32_e32 v1, 2, v0
	s_and_not1_b32 vcc_lo, exec_lo, s4
	s_mov_b32 s0, 0
	s_delay_alu instid0(VALU_DEP_1) | instskip(NEXT) | instid1(VALU_DEP_1)
	v_dual_mov_b32 v3, s3 :: v_dual_add_nc_u32 v2, 0, v1
	v_add_nc_u32_e32 v1, v2, v1
	ds_load_b32 v5, v2
	ds_load_b64 v[1:2], v1 offset:2048
	s_cbranch_vccnz .LBB29_80
; %bb.77:                               ;   in Loop: Header=BB29_76 Depth=1
	v_mov_b32_e32 v3, s3
	s_mov_b32 s8, 0
	s_set_inst_prefetch_distance 0x1
	.p2align	6
.LBB29_78:                              ;   Parent Loop BB29_76 Depth=1
                                        ; =>  This Inner Loop Header: Depth=2
	v_mov_b32_e32 v4, s8
	s_add_i32 s0, s0, 8
	s_add_i32 s8, s8, 32
	s_cmp_eq_u32 s5, s0
	ds_load_2addr_b32 v[6:7], v4 offset1:1
	ds_load_2addr_b32 v[8:9], v4 offset0:2 offset1:3
	ds_load_2addr_b32 v[10:11], v4 offset0:4 offset1:5
	;; [unrolled: 1-line block ×3, first 2 shown]
	s_waitcnt lgkmcnt(3)
	v_cmp_gt_i32_e32 vcc_lo, v5, v6
	v_cndmask_b32_e64 v4, 0, 1, vcc_lo
	s_waitcnt lgkmcnt(2)
	v_cmp_gt_i32_e32 vcc_lo, v5, v8
	v_cndmask_b32_e64 v6, 0, 1, vcc_lo
	v_cmp_gt_i32_e32 vcc_lo, v5, v7
	v_add_co_ci_u32_e32 v3, vcc_lo, v3, v4, vcc_lo
	s_waitcnt lgkmcnt(1)
	v_cmp_gt_i32_e32 vcc_lo, v5, v10
	v_cndmask_b32_e64 v4, 0, 1, vcc_lo
	v_cmp_gt_i32_e32 vcc_lo, v5, v9
	v_add_co_ci_u32_e32 v3, vcc_lo, v3, v6, vcc_lo
	;; [unrolled: 5-line block ×3, first 2 shown]
	v_cmp_gt_i32_e32 vcc_lo, v5, v13
	s_delay_alu instid0(VALU_DEP_2)
	v_add_co_ci_u32_e32 v3, vcc_lo, v3, v6, vcc_lo
	s_cbranch_scc0 .LBB29_78
; %bb.79:                               ;   in Loop: Header=BB29_76 Depth=1
	s_set_inst_prefetch_distance 0x2
	s_mov_b32 s0, s5
.LBB29_80:                              ;   in Loop: Header=BB29_76 Depth=1
	s_and_not1_b32 vcc_lo, exec_lo, s6
	s_cbranch_vccnz .LBB29_75
; %bb.81:                               ;   in Loop: Header=BB29_76 Depth=1
	s_lshl_b32 s0, s0, 2
	s_mov_b32 s8, s1
	s_add_i32 s0, s0, 0
.LBB29_82:                              ;   Parent Loop BB29_76 Depth=1
                                        ; =>  This Inner Loop Header: Depth=2
	s_delay_alu instid0(SALU_CYCLE_1)
	v_mov_b32_e32 v4, s0
	s_add_i32 s8, s8, -1
	s_add_i32 s0, s0, 4
	s_cmp_lg_u32 s8, 0
	ds_load_b32 v4, v4
	s_waitcnt lgkmcnt(0)
	v_cmp_gt_i32_e32 vcc_lo, v5, v4
	v_add_co_ci_u32_e32 v3, vcc_lo, 0, v3, vcc_lo
	s_cbranch_scc1 .LBB29_82
	s_branch .LBB29_75
.LBB29_83:
	s_nop 0
	s_sendmsg sendmsg(MSG_DEALLOC_VGPRS)
	s_endpgm
	.section	.rodata,"a",@progbits
	.p2align	6, 0x0
	.amdhsa_kernel _ZN9rocsparseL26csrgemm_fill_block_per_rowILj256ELj32ELj512ELj137ELj32EiidEEvT5_PKS1_S3_NS_24const_host_device_scalarIT6_EEPKT4_S3_PKS5_S9_S3_SB_S6_S9_S3_SB_S9_PS1_PS5_21rocsparse_index_base_SE_SE_SE_bbb
		.amdhsa_group_segment_fixed_size 0
		.amdhsa_private_segment_fixed_size 0
		.amdhsa_kernarg_size 156
		.amdhsa_user_sgpr_count 15
		.amdhsa_user_sgpr_dispatch_ptr 0
		.amdhsa_user_sgpr_queue_ptr 0
		.amdhsa_user_sgpr_kernarg_segment_ptr 1
		.amdhsa_user_sgpr_dispatch_id 0
		.amdhsa_user_sgpr_private_segment_size 0
		.amdhsa_wavefront_size32 1
		.amdhsa_uses_dynamic_stack 0
		.amdhsa_enable_private_segment 0
		.amdhsa_system_sgpr_workgroup_id_x 1
		.amdhsa_system_sgpr_workgroup_id_y 0
		.amdhsa_system_sgpr_workgroup_id_z 0
		.amdhsa_system_sgpr_workgroup_info 0
		.amdhsa_system_vgpr_workitem_id 0
		.amdhsa_next_free_vgpr 24
		.amdhsa_next_free_sgpr 44
		.amdhsa_reserve_vcc 1
		.amdhsa_float_round_mode_32 0
		.amdhsa_float_round_mode_16_64 0
		.amdhsa_float_denorm_mode_32 3
		.amdhsa_float_denorm_mode_16_64 3
		.amdhsa_dx10_clamp 1
		.amdhsa_ieee_mode 1
		.amdhsa_fp16_overflow 0
		.amdhsa_workgroup_processor_mode 1
		.amdhsa_memory_ordered 1
		.amdhsa_forward_progress 0
		.amdhsa_shared_vgpr_count 0
		.amdhsa_exception_fp_ieee_invalid_op 0
		.amdhsa_exception_fp_denorm_src 0
		.amdhsa_exception_fp_ieee_div_zero 0
		.amdhsa_exception_fp_ieee_overflow 0
		.amdhsa_exception_fp_ieee_underflow 0
		.amdhsa_exception_fp_ieee_inexact 0
		.amdhsa_exception_int_div_zero 0
	.end_amdhsa_kernel
	.section	.text._ZN9rocsparseL26csrgemm_fill_block_per_rowILj256ELj32ELj512ELj137ELj32EiidEEvT5_PKS1_S3_NS_24const_host_device_scalarIT6_EEPKT4_S3_PKS5_S9_S3_SB_S6_S9_S3_SB_S9_PS1_PS5_21rocsparse_index_base_SE_SE_SE_bbb,"axG",@progbits,_ZN9rocsparseL26csrgemm_fill_block_per_rowILj256ELj32ELj512ELj137ELj32EiidEEvT5_PKS1_S3_NS_24const_host_device_scalarIT6_EEPKT4_S3_PKS5_S9_S3_SB_S6_S9_S3_SB_S9_PS1_PS5_21rocsparse_index_base_SE_SE_SE_bbb,comdat
.Lfunc_end29:
	.size	_ZN9rocsparseL26csrgemm_fill_block_per_rowILj256ELj32ELj512ELj137ELj32EiidEEvT5_PKS1_S3_NS_24const_host_device_scalarIT6_EEPKT4_S3_PKS5_S9_S3_SB_S6_S9_S3_SB_S9_PS1_PS5_21rocsparse_index_base_SE_SE_SE_bbb, .Lfunc_end29-_ZN9rocsparseL26csrgemm_fill_block_per_rowILj256ELj32ELj512ELj137ELj32EiidEEvT5_PKS1_S3_NS_24const_host_device_scalarIT6_EEPKT4_S3_PKS5_S9_S3_SB_S6_S9_S3_SB_S9_PS1_PS5_21rocsparse_index_base_SE_SE_SE_bbb
                                        ; -- End function
	.section	.AMDGPU.csdata,"",@progbits
; Kernel info:
; codeLenInByte = 3152
; NumSgprs: 46
; NumVgprs: 24
; ScratchSize: 0
; MemoryBound: 0
; FloatMode: 240
; IeeeMode: 1
; LDSByteSize: 0 bytes/workgroup (compile time only)
; SGPRBlocks: 5
; VGPRBlocks: 2
; NumSGPRsForWavesPerEU: 46
; NumVGPRsForWavesPerEU: 24
; Occupancy: 16
; WaveLimiterHint : 1
; COMPUTE_PGM_RSRC2:SCRATCH_EN: 0
; COMPUTE_PGM_RSRC2:USER_SGPR: 15
; COMPUTE_PGM_RSRC2:TRAP_HANDLER: 0
; COMPUTE_PGM_RSRC2:TGID_X_EN: 1
; COMPUTE_PGM_RSRC2:TGID_Y_EN: 0
; COMPUTE_PGM_RSRC2:TGID_Z_EN: 0
; COMPUTE_PGM_RSRC2:TIDIG_COMP_CNT: 0
	.section	.text._ZN9rocsparseL26csrgemm_fill_block_per_rowILj256ELj32ELj512ELj137ELj64EiidEEvT5_PKS1_S3_NS_24const_host_device_scalarIT6_EEPKT4_S3_PKS5_S9_S3_SB_S6_S9_S3_SB_S9_PS1_PS5_21rocsparse_index_base_SE_SE_SE_bbb,"axG",@progbits,_ZN9rocsparseL26csrgemm_fill_block_per_rowILj256ELj32ELj512ELj137ELj64EiidEEvT5_PKS1_S3_NS_24const_host_device_scalarIT6_EEPKT4_S3_PKS5_S9_S3_SB_S6_S9_S3_SB_S9_PS1_PS5_21rocsparse_index_base_SE_SE_SE_bbb,comdat
	.globl	_ZN9rocsparseL26csrgemm_fill_block_per_rowILj256ELj32ELj512ELj137ELj64EiidEEvT5_PKS1_S3_NS_24const_host_device_scalarIT6_EEPKT4_S3_PKS5_S9_S3_SB_S6_S9_S3_SB_S9_PS1_PS5_21rocsparse_index_base_SE_SE_SE_bbb ; -- Begin function _ZN9rocsparseL26csrgemm_fill_block_per_rowILj256ELj32ELj512ELj137ELj64EiidEEvT5_PKS1_S3_NS_24const_host_device_scalarIT6_EEPKT4_S3_PKS5_S9_S3_SB_S6_S9_S3_SB_S9_PS1_PS5_21rocsparse_index_base_SE_SE_SE_bbb
	.p2align	8
	.type	_ZN9rocsparseL26csrgemm_fill_block_per_rowILj256ELj32ELj512ELj137ELj64EiidEEvT5_PKS1_S3_NS_24const_host_device_scalarIT6_EEPKT4_S3_PKS5_S9_S3_SB_S6_S9_S3_SB_S9_PS1_PS5_21rocsparse_index_base_SE_SE_SE_bbb,@function
_ZN9rocsparseL26csrgemm_fill_block_per_rowILj256ELj32ELj512ELj137ELj64EiidEEvT5_PKS1_S3_NS_24const_host_device_scalarIT6_EEPKT4_S3_PKS5_S9_S3_SB_S6_S9_S3_SB_S9_PS1_PS5_21rocsparse_index_base_SE_SE_SE_bbb: ; @_ZN9rocsparseL26csrgemm_fill_block_per_rowILj256ELj32ELj512ELj137ELj64EiidEEvT5_PKS1_S3_NS_24const_host_device_scalarIT6_EEPKT4_S3_PKS5_S9_S3_SB_S6_S9_S3_SB_S9_PS1_PS5_21rocsparse_index_base_SE_SE_SE_bbb
; %bb.0:
	s_clause 0x2
	s_load_b32 s6, s[0:1], 0x98
	s_load_b64 s[4:5], s[0:1], 0x18
	s_load_b64 s[2:3], s[0:1], 0x50
	s_waitcnt lgkmcnt(0)
	s_and_b32 s8, 1, s6
	s_bitcmp1_b32 s6, 16
	s_cselect_b32 s7, -1, 0
	s_cmp_eq_u32 s8, 1
	s_cselect_b32 s13, -1, 0
	s_delay_alu instid0(SALU_CYCLE_1)
	s_and_b32 s8, s13, exec_lo
	s_cselect_b32 s9, s5, 0
	s_cselect_b32 s8, s4, 0
	s_xor_b32 s10, s13, -1
	v_dual_mov_b32 v3, s8 :: v_dual_mov_b32 v4, s9
	s_or_b32 s10, s10, s7
	s_delay_alu instid0(SALU_CYCLE_1)
	s_and_b32 vcc_lo, exec_lo, s10
	s_cbranch_vccnz .LBB30_2
; %bb.1:
	v_dual_mov_b32 v1, s4 :: v_dual_mov_b32 v2, s5
	flat_load_b64 v[3:4], v[1:2]
.LBB30_2:
	s_load_b128 s[24:27], s[0:1], 0x88
	s_bitcmp1_b32 s6, 8
	s_cselect_b32 s33, -1, 0
	s_delay_alu instid0(SALU_CYCLE_1)
	s_and_b32 s4, s33, exec_lo
	s_cselect_b32 s5, s3, 0
	s_cselect_b32 s4, s2, 0
	s_xor_b32 s6, s33, -1
	v_dual_mov_b32 v1, s4 :: v_dual_mov_b32 v2, s5
	s_or_b32 s6, s6, s7
	s_delay_alu instid0(SALU_CYCLE_1)
	s_and_b32 vcc_lo, exec_lo, s6
	s_cbranch_vccnz .LBB30_4
; %bb.3:
	v_dual_mov_b32 v1, s2 :: v_dual_mov_b32 v2, s3
	flat_load_b64 v[1:2], v[1:2]
.LBB30_4:
	s_clause 0x5
	s_load_b128 s[28:31], s[0:1], 0x78
	s_load_b256 s[4:11], s[0:1], 0x58
	s_load_b128 s[36:39], s[0:1], 0x40
	s_load_b256 s[16:23], s[0:1], 0x20
	s_load_b128 s[40:43], s[0:1], 0x8
	s_load_b32 s14, s[0:1], 0x0
	v_cmp_gt_u32_e64 s0, 0x200, v0
	v_lshlrev_b32_e32 v17, 3, v0
	v_or_b32_e32 v15, 0xffffff00, v0
	v_lshl_add_u32 v16, v0, 2, 0
	s_delay_alu instid0(VALU_DEP_4)
	s_and_saveexec_b32 s1, s0
	s_cbranch_execz .LBB30_7
; %bb.5:
	s_waitcnt lgkmcnt(0)
	v_dual_mov_b32 v5, 0 :: v_dual_mov_b32 v10, s14
	v_add3_u32 v7, v17, 0, 0x800
	v_or_b32_e32 v8, 0xffffff00, v0
	v_lshl_add_u32 v9, v0, 2, 0
	s_delay_alu instid0(VALU_DEP_4)
	v_mov_b32_e32 v6, v5
	s_mov_b32 s2, 0
.LBB30_6:                               ; =>This Inner Loop Header: Depth=1
	s_delay_alu instid0(VALU_DEP_3) | instskip(NEXT) | instid1(VALU_DEP_1)
	v_add_co_u32 v8, s3, 0x100, v8
	s_xor_b32 s3, s3, -1
	ds_store_b32 v9, v10
	ds_store_b64 v7, v[5:6]
	v_add_nc_u32_e32 v7, 0x800, v7
	v_add_nc_u32_e32 v9, 0x400, v9
	s_and_b32 s3, exec_lo, s3
	s_delay_alu instid0(SALU_CYCLE_1) | instskip(NEXT) | instid1(SALU_CYCLE_1)
	s_or_b32 s2, s3, s2
	s_and_not1_b32 exec_lo, exec_lo, s2
	s_cbranch_execnz .LBB30_6
.LBB30_7:
	s_or_b32 exec_lo, exec_lo, s1
	s_waitcnt vmcnt(0) lgkmcnt(0)
	s_barrier
	buffer_gl0_inv
	s_load_b32 s1, s[40:41], 0x0
	s_mov_b32 s3, 0
	s_waitcnt lgkmcnt(0)
	s_add_i32 s2, s1, s15
	s_delay_alu instid0(SALU_CYCLE_1) | instskip(NEXT) | instid1(SALU_CYCLE_1)
	s_lshl_b64 s[2:3], s[2:3], 2
	s_add_u32 s2, s42, s2
	s_addc_u32 s3, s43, s3
	s_and_b32 vcc_lo, exec_lo, s13
	s_load_b32 s12, s[2:3], 0x0
	s_cbranch_vccz .LBB30_31
; %bb.8:
	s_waitcnt lgkmcnt(0)
	s_ashr_i32 s13, s12, 31
	v_lshrrev_b32_e32 v5, 5, v0
	s_lshl_b64 s[2:3], s[12:13], 2
	s_delay_alu instid0(SALU_CYCLE_1) | instskip(SKIP_1) | instid1(VALU_DEP_1)
	s_add_u32 s2, s16, s2
	s_addc_u32 s3, s17, s3
	v_subrev_nc_u32_e32 v5, s24, v5
	s_load_b64 s[2:3], s[2:3], 0x0
	s_waitcnt lgkmcnt(0)
	s_delay_alu instid0(VALU_DEP_1) | instskip(SKIP_2) | instid1(VALU_DEP_1)
	v_add_nc_u32_e32 v5, s2, v5
	s_sub_i32 s1, s3, s24
	s_mov_b32 s2, exec_lo
	v_cmpx_gt_i32_e64 s1, v5
	s_cbranch_execz .LBB30_30
; %bb.9:
	v_and_b32_e32 v6, 31, v0
	s_mov_b32 s3, 0
	s_delay_alu instid0(VALU_DEP_1)
	v_subrev_nc_u32_e32 v18, s25, v6
	s_branch .LBB30_11
.LBB30_10:                              ;   in Loop: Header=BB30_11 Depth=1
	s_or_b32 exec_lo, exec_lo, s13
	v_add_nc_u32_e32 v5, 8, v5
	s_delay_alu instid0(VALU_DEP_1) | instskip(SKIP_1) | instid1(SALU_CYCLE_1)
	v_cmp_le_i32_e32 vcc_lo, s1, v5
	s_or_b32 s3, vcc_lo, s3
	s_and_not1_b32 exec_lo, exec_lo, s3
	s_cbranch_execz .LBB30_30
.LBB30_11:                              ; =>This Loop Header: Depth=1
                                        ;     Child Loop BB30_14 Depth 2
                                        ;       Child Loop BB30_16 Depth 3
                                        ;         Child Loop BB30_22 Depth 4
                                        ;         Child Loop BB30_28 Depth 4
	v_ashrrev_i32_e32 v6, 31, v5
	s_mov_b32 s13, exec_lo
	s_delay_alu instid0(VALU_DEP_1) | instskip(NEXT) | instid1(VALU_DEP_1)
	v_lshlrev_b64 v[7:8], 2, v[5:6]
	v_add_co_u32 v7, vcc_lo, s18, v7
	s_delay_alu instid0(VALU_DEP_2) | instskip(SKIP_3) | instid1(VALU_DEP_1)
	v_add_co_ci_u32_e32 v8, vcc_lo, s19, v8, vcc_lo
	global_load_b32 v7, v[7:8], off
	s_waitcnt vmcnt(0)
	v_subrev_nc_u32_e32 v7, s24, v7
	v_ashrrev_i32_e32 v8, 31, v7
	s_delay_alu instid0(VALU_DEP_1) | instskip(NEXT) | instid1(VALU_DEP_1)
	v_lshlrev_b64 v[7:8], 2, v[7:8]
	v_add_co_u32 v7, vcc_lo, s22, v7
	s_delay_alu instid0(VALU_DEP_2) | instskip(SKIP_4) | instid1(VALU_DEP_1)
	v_add_co_ci_u32_e32 v8, vcc_lo, s23, v8, vcc_lo
	global_load_b64 v[7:8], v[7:8], off
	s_waitcnt vmcnt(0)
	v_subrev_nc_u32_e32 v19, s25, v8
	v_add_nc_u32_e32 v7, v7, v18
	v_cmpx_lt_i32_e64 v7, v19
	s_cbranch_execz .LBB30_10
; %bb.12:                               ;   in Loop: Header=BB30_11 Depth=1
	v_lshlrev_b64 v[8:9], 3, v[5:6]
	s_mov_b32 s15, 0
	s_delay_alu instid0(VALU_DEP_1) | instskip(NEXT) | instid1(VALU_DEP_2)
	v_add_co_u32 v8, vcc_lo, s20, v8
	v_add_co_ci_u32_e32 v9, vcc_lo, s21, v9, vcc_lo
	global_load_b64 v[8:9], v[8:9], off
	s_waitcnt vmcnt(0)
	v_mul_f64 v[9:10], v[3:4], v[8:9]
	s_branch .LBB30_14
.LBB30_13:                              ;   in Loop: Header=BB30_14 Depth=2
	s_or_b32 exec_lo, exec_lo, s16
	v_add_nc_u32_e32 v7, 32, v7
	s_delay_alu instid0(VALU_DEP_1) | instskip(SKIP_1) | instid1(SALU_CYCLE_1)
	v_cmp_ge_i32_e32 vcc_lo, v7, v19
	s_or_b32 s15, vcc_lo, s15
	s_and_not1_b32 exec_lo, exec_lo, s15
	s_cbranch_execz .LBB30_10
.LBB30_14:                              ;   Parent Loop BB30_11 Depth=1
                                        ; =>  This Loop Header: Depth=2
                                        ;       Child Loop BB30_16 Depth 3
                                        ;         Child Loop BB30_22 Depth 4
                                        ;         Child Loop BB30_28 Depth 4
	v_ashrrev_i32_e32 v8, 31, v7
	s_mov_b32 s16, 0
	s_delay_alu instid0(VALU_DEP_1) | instskip(SKIP_1) | instid1(VALU_DEP_2)
	v_lshlrev_b64 v[11:12], 3, v[7:8]
	v_lshlrev_b64 v[13:14], 2, v[7:8]
	v_add_co_u32 v11, vcc_lo, s38, v11
	s_delay_alu instid0(VALU_DEP_3) | instskip(NEXT) | instid1(VALU_DEP_3)
	v_add_co_ci_u32_e32 v12, vcc_lo, s39, v12, vcc_lo
	v_add_co_u32 v13, vcc_lo, s36, v13
	s_delay_alu instid0(VALU_DEP_4)
	v_add_co_ci_u32_e32 v14, vcc_lo, s37, v14, vcc_lo
	global_load_b64 v[11:12], v[11:12], off
	global_load_b32 v6, v[13:14], off
	s_waitcnt vmcnt(1)
	v_mul_f64 v[11:12], v[9:10], v[11:12]
	s_waitcnt vmcnt(0)
	v_subrev_nc_u32_e32 v6, s25, v6
	s_delay_alu instid0(VALU_DEP_1) | instskip(NEXT) | instid1(VALU_DEP_1)
	v_mul_lo_u32 v8, 0x89, v6
	v_and_b32_e32 v8, 0x1ff, v8
	s_branch .LBB30_16
.LBB30_15:                              ;   in Loop: Header=BB30_16 Depth=3
	s_or_b32 exec_lo, exec_lo, s17
	s_xor_b32 s17, s34, -1
	s_delay_alu instid0(SALU_CYCLE_1) | instskip(NEXT) | instid1(SALU_CYCLE_1)
	s_and_b32 s17, exec_lo, s17
	s_or_b32 s16, s17, s16
	s_delay_alu instid0(SALU_CYCLE_1)
	s_and_not1_b32 exec_lo, exec_lo, s16
	s_cbranch_execz .LBB30_13
.LBB30_16:                              ;   Parent Loop BB30_11 Depth=1
                                        ;     Parent Loop BB30_14 Depth=2
                                        ; =>    This Loop Header: Depth=3
                                        ;         Child Loop BB30_22 Depth 4
                                        ;         Child Loop BB30_28 Depth 4
	s_delay_alu instid0(VALU_DEP_1)
	v_lshl_add_u32 v13, v8, 2, 0
	s_mov_b32 s17, exec_lo
                                        ; implicit-def: $sgpr34
	ds_load_b32 v14, v13
	s_waitcnt lgkmcnt(0)
	v_cmpx_ne_u32_e64 v14, v6
	s_xor_b32 s17, exec_lo, s17
	s_cbranch_execz .LBB30_26
; %bb.17:                               ;   in Loop: Header=BB30_16 Depth=3
	s_mov_b32 s35, exec_lo
                                        ; implicit-def: $sgpr34
	v_cmpx_ne_u32_e64 s14, v14
	s_xor_b32 s35, exec_lo, s35
; %bb.18:                               ;   in Loop: Header=BB30_16 Depth=3
	v_add_nc_u32_e32 v8, 1, v8
	s_mov_b32 s34, -1
                                        ; implicit-def: $vgpr13
	s_delay_alu instid0(VALU_DEP_1)
	v_and_b32_e32 v8, 0x1ff, v8
; %bb.19:                               ;   in Loop: Header=BB30_16 Depth=3
	s_and_not1_saveexec_b32 s35, s35
	s_cbranch_execz .LBB30_25
; %bb.20:                               ;   in Loop: Header=BB30_16 Depth=3
	v_mov_b32_e32 v14, s14
	s_mov_b32 s41, -1
	s_mov_b32 s40, exec_lo
	ds_cmpstore_rtn_b32 v14, v13, v6, v14
	s_waitcnt lgkmcnt(0)
	v_cmpx_eq_u32_e64 s14, v14
	s_cbranch_execz .LBB30_24
; %bb.21:                               ;   in Loop: Header=BB30_16 Depth=3
	v_lshlrev_b32_e32 v14, 2, v8
	s_mov_b32 s41, 0
	s_delay_alu instid0(VALU_DEP_1)
	v_add_nc_u32_e32 v20, v13, v14
	ds_load_b64 v[13:14], v20 offset:2048
.LBB30_22:                              ;   Parent Loop BB30_11 Depth=1
                                        ;     Parent Loop BB30_14 Depth=2
                                        ;       Parent Loop BB30_16 Depth=3
                                        ; =>      This Inner Loop Header: Depth=4
	s_waitcnt lgkmcnt(0)
	v_add_f64 v[21:22], v[13:14], v[11:12]
	ds_cmpstore_rtn_b64 v[21:22], v20, v[21:22], v[13:14] offset:2048
	s_waitcnt lgkmcnt(0)
	v_cmp_eq_u64_e32 vcc_lo, v[21:22], v[13:14]
	v_dual_mov_b32 v13, v21 :: v_dual_mov_b32 v14, v22
	s_or_b32 s41, vcc_lo, s41
	s_delay_alu instid0(SALU_CYCLE_1)
	s_and_not1_b32 exec_lo, exec_lo, s41
	s_cbranch_execnz .LBB30_22
; %bb.23:                               ;   in Loop: Header=BB30_16 Depth=3
	s_or_b32 exec_lo, exec_lo, s41
	s_delay_alu instid0(SALU_CYCLE_1)
	s_xor_b32 s41, exec_lo, -1
.LBB30_24:                              ;   in Loop: Header=BB30_16 Depth=3
	s_or_b32 exec_lo, exec_lo, s40
	s_delay_alu instid0(SALU_CYCLE_1) | instskip(SKIP_1) | instid1(SALU_CYCLE_1)
	s_and_not1_b32 s34, s34, exec_lo
	s_and_b32 s40, s41, exec_lo
	s_or_b32 s34, s34, s40
.LBB30_25:                              ;   in Loop: Header=BB30_16 Depth=3
	s_or_b32 exec_lo, exec_lo, s35
	s_delay_alu instid0(SALU_CYCLE_1)
	s_and_b32 s34, s34, exec_lo
                                        ; implicit-def: $vgpr13
.LBB30_26:                              ;   in Loop: Header=BB30_16 Depth=3
	s_and_not1_saveexec_b32 s17, s17
	s_cbranch_execz .LBB30_15
; %bb.27:                               ;   in Loop: Header=BB30_16 Depth=3
	v_lshlrev_b32_e32 v14, 2, v8
	s_mov_b32 s35, 0
	s_delay_alu instid0(VALU_DEP_1)
	v_add_nc_u32_e32 v20, v13, v14
	ds_load_b64 v[13:14], v20 offset:2048
.LBB30_28:                              ;   Parent Loop BB30_11 Depth=1
                                        ;     Parent Loop BB30_14 Depth=2
                                        ;       Parent Loop BB30_16 Depth=3
                                        ; =>      This Inner Loop Header: Depth=4
	s_waitcnt lgkmcnt(0)
	v_add_f64 v[21:22], v[13:14], v[11:12]
	ds_cmpstore_rtn_b64 v[21:22], v20, v[21:22], v[13:14] offset:2048
	s_waitcnt lgkmcnt(0)
	v_cmp_eq_u64_e32 vcc_lo, v[21:22], v[13:14]
	v_dual_mov_b32 v13, v21 :: v_dual_mov_b32 v14, v22
	s_or_b32 s35, vcc_lo, s35
	s_delay_alu instid0(SALU_CYCLE_1)
	s_and_not1_b32 exec_lo, exec_lo, s35
	s_cbranch_execnz .LBB30_28
; %bb.29:                               ;   in Loop: Header=BB30_16 Depth=3
	s_or_b32 exec_lo, exec_lo, s35
	s_delay_alu instid0(SALU_CYCLE_1)
	s_and_not1_b32 s34, s34, exec_lo
	s_branch .LBB30_15
.LBB30_30:
	s_or_b32 exec_lo, exec_lo, s2
.LBB30_31:
	s_delay_alu instid0(SALU_CYCLE_1)
	s_and_not1_b32 vcc_lo, exec_lo, s33
	s_cbranch_vccnz .LBB30_52
; %bb.32:
	s_waitcnt lgkmcnt(0)
	s_ashr_i32 s13, s12, 31
	v_subrev_nc_u32_e32 v3, s27, v0
	s_lshl_b64 s[2:3], s[12:13], 2
	s_delay_alu instid0(SALU_CYCLE_1)
	s_add_u32 s2, s4, s2
	s_addc_u32 s3, s5, s3
	s_load_b64 s[2:3], s[2:3], 0x0
	s_waitcnt lgkmcnt(0)
	v_add_nc_u32_e32 v3, s2, v3
	s_sub_i32 s1, s3, s27
	s_mov_b32 s2, exec_lo
	s_delay_alu instid0(VALU_DEP_1)
	v_cmpx_gt_i32_e64 s1, v3
	s_cbranch_execz .LBB30_51
; %bb.33:
	s_mov_b32 s3, 0
	s_branch .LBB30_35
.LBB30_34:                              ;   in Loop: Header=BB30_35 Depth=1
	s_or_b32 exec_lo, exec_lo, s4
	v_add_nc_u32_e32 v3, 0x100, v3
	s_delay_alu instid0(VALU_DEP_1) | instskip(SKIP_1) | instid1(SALU_CYCLE_1)
	v_cmp_le_i32_e32 vcc_lo, s1, v3
	s_or_b32 s3, vcc_lo, s3
	s_and_not1_b32 exec_lo, exec_lo, s3
	s_cbranch_execz .LBB30_51
.LBB30_35:                              ; =>This Loop Header: Depth=1
                                        ;     Child Loop BB30_37 Depth 2
                                        ;       Child Loop BB30_43 Depth 3
                                        ;       Child Loop BB30_49 Depth 3
	v_ashrrev_i32_e32 v4, 31, v3
	s_mov_b32 s4, 0
	s_delay_alu instid0(VALU_DEP_1) | instskip(SKIP_1) | instid1(VALU_DEP_2)
	v_lshlrev_b64 v[5:6], 3, v[3:4]
	v_lshlrev_b64 v[7:8], 2, v[3:4]
	v_add_co_u32 v5, vcc_lo, s8, v5
	s_delay_alu instid0(VALU_DEP_3) | instskip(NEXT) | instid1(VALU_DEP_3)
	v_add_co_ci_u32_e32 v6, vcc_lo, s9, v6, vcc_lo
	v_add_co_u32 v7, vcc_lo, s6, v7
	s_delay_alu instid0(VALU_DEP_4)
	v_add_co_ci_u32_e32 v8, vcc_lo, s7, v8, vcc_lo
	global_load_b64 v[5:6], v[5:6], off
	global_load_b32 v7, v[7:8], off
	s_waitcnt vmcnt(1)
	v_mul_f64 v[4:5], v[1:2], v[5:6]
	s_waitcnt vmcnt(0)
	v_subrev_nc_u32_e32 v8, s27, v7
	s_delay_alu instid0(VALU_DEP_1) | instskip(NEXT) | instid1(VALU_DEP_1)
	v_mul_lo_u32 v6, 0x89, v8
	v_and_b32_e32 v9, 0x1ff, v6
	s_branch .LBB30_37
.LBB30_36:                              ;   in Loop: Header=BB30_37 Depth=2
	s_or_b32 exec_lo, exec_lo, s5
	s_xor_b32 s5, s13, -1
	s_delay_alu instid0(SALU_CYCLE_1) | instskip(NEXT) | instid1(SALU_CYCLE_1)
	s_and_b32 s5, exec_lo, s5
	s_or_b32 s4, s5, s4
	s_delay_alu instid0(SALU_CYCLE_1)
	s_and_not1_b32 exec_lo, exec_lo, s4
	s_cbranch_execz .LBB30_34
.LBB30_37:                              ;   Parent Loop BB30_35 Depth=1
                                        ; =>  This Loop Header: Depth=2
                                        ;       Child Loop BB30_43 Depth 3
                                        ;       Child Loop BB30_49 Depth 3
	s_delay_alu instid0(VALU_DEP_1)
	v_lshl_add_u32 v6, v9, 2, 0
	s_mov_b32 s5, exec_lo
                                        ; implicit-def: $sgpr13
	ds_load_b32 v7, v6
	s_waitcnt lgkmcnt(0)
	v_cmpx_ne_u32_e64 v7, v8
	s_xor_b32 s5, exec_lo, s5
	s_cbranch_execz .LBB30_47
; %bb.38:                               ;   in Loop: Header=BB30_37 Depth=2
	s_mov_b32 s15, exec_lo
                                        ; implicit-def: $sgpr13
	v_cmpx_ne_u32_e64 s14, v7
	s_xor_b32 s15, exec_lo, s15
; %bb.39:                               ;   in Loop: Header=BB30_37 Depth=2
	v_add_nc_u32_e32 v6, 1, v9
	s_mov_b32 s13, -1
	s_delay_alu instid0(VALU_DEP_1)
	v_and_b32_e32 v9, 0x1ff, v6
                                        ; implicit-def: $vgpr6
; %bb.40:                               ;   in Loop: Header=BB30_37 Depth=2
	s_and_not1_saveexec_b32 s15, s15
	s_cbranch_execz .LBB30_46
; %bb.41:                               ;   in Loop: Header=BB30_37 Depth=2
	v_mov_b32_e32 v7, s14
	s_mov_b32 s17, -1
	s_mov_b32 s16, exec_lo
	ds_cmpstore_rtn_b32 v7, v6, v8, v7
	s_waitcnt lgkmcnt(0)
	v_cmpx_eq_u32_e64 s14, v7
	s_cbranch_execz .LBB30_45
; %bb.42:                               ;   in Loop: Header=BB30_37 Depth=2
	v_lshlrev_b32_e32 v7, 2, v9
	s_mov_b32 s17, 0
	s_delay_alu instid0(VALU_DEP_1)
	v_add_nc_u32_e32 v10, v6, v7
	ds_load_b64 v[6:7], v10 offset:2048
.LBB30_43:                              ;   Parent Loop BB30_35 Depth=1
                                        ;     Parent Loop BB30_37 Depth=2
                                        ; =>    This Inner Loop Header: Depth=3
	s_waitcnt lgkmcnt(0)
	v_add_f64 v[11:12], v[6:7], v[4:5]
	ds_cmpstore_rtn_b64 v[11:12], v10, v[11:12], v[6:7] offset:2048
	s_waitcnt lgkmcnt(0)
	v_cmp_eq_u64_e32 vcc_lo, v[11:12], v[6:7]
	v_dual_mov_b32 v6, v11 :: v_dual_mov_b32 v7, v12
	s_or_b32 s17, vcc_lo, s17
	s_delay_alu instid0(SALU_CYCLE_1)
	s_and_not1_b32 exec_lo, exec_lo, s17
	s_cbranch_execnz .LBB30_43
; %bb.44:                               ;   in Loop: Header=BB30_37 Depth=2
	s_or_b32 exec_lo, exec_lo, s17
	s_delay_alu instid0(SALU_CYCLE_1)
	s_xor_b32 s17, exec_lo, -1
.LBB30_45:                              ;   in Loop: Header=BB30_37 Depth=2
	s_or_b32 exec_lo, exec_lo, s16
	s_delay_alu instid0(SALU_CYCLE_1) | instskip(SKIP_1) | instid1(SALU_CYCLE_1)
	s_and_not1_b32 s13, s13, exec_lo
	s_and_b32 s16, s17, exec_lo
	s_or_b32 s13, s13, s16
.LBB30_46:                              ;   in Loop: Header=BB30_37 Depth=2
	s_or_b32 exec_lo, exec_lo, s15
	s_delay_alu instid0(SALU_CYCLE_1)
	s_and_b32 s13, s13, exec_lo
                                        ; implicit-def: $vgpr6
.LBB30_47:                              ;   in Loop: Header=BB30_37 Depth=2
	s_and_not1_saveexec_b32 s5, s5
	s_cbranch_execz .LBB30_36
; %bb.48:                               ;   in Loop: Header=BB30_37 Depth=2
	v_lshlrev_b32_e32 v7, 2, v9
	s_mov_b32 s15, 0
	s_delay_alu instid0(VALU_DEP_1)
	v_add_nc_u32_e32 v10, v6, v7
	ds_load_b64 v[6:7], v10 offset:2048
.LBB30_49:                              ;   Parent Loop BB30_35 Depth=1
                                        ;     Parent Loop BB30_37 Depth=2
                                        ; =>    This Inner Loop Header: Depth=3
	s_waitcnt lgkmcnt(0)
	v_add_f64 v[11:12], v[6:7], v[4:5]
	ds_cmpstore_rtn_b64 v[11:12], v10, v[11:12], v[6:7] offset:2048
	s_waitcnt lgkmcnt(0)
	v_cmp_eq_u64_e32 vcc_lo, v[11:12], v[6:7]
	v_dual_mov_b32 v6, v11 :: v_dual_mov_b32 v7, v12
	s_or_b32 s15, vcc_lo, s15
	s_delay_alu instid0(SALU_CYCLE_1)
	s_and_not1_b32 exec_lo, exec_lo, s15
	s_cbranch_execnz .LBB30_49
; %bb.50:                               ;   in Loop: Header=BB30_37 Depth=2
	s_or_b32 exec_lo, exec_lo, s15
	s_delay_alu instid0(SALU_CYCLE_1)
	s_and_not1_b32 s13, s13, exec_lo
	s_branch .LBB30_36
.LBB30_51:
	s_or_b32 exec_lo, exec_lo, s2
.LBB30_52:
	s_waitcnt lgkmcnt(0)
	s_barrier
	buffer_gl0_inv
	s_and_saveexec_b32 s4, s0
	s_cbranch_execz .LBB30_65
; %bb.53:
	v_mbcnt_lo_u32_b32 v1, -1, 0
	v_lshrrev_b32_e32 v2, 4, v0
	v_cmp_eq_u32_e32 vcc_lo, 0xff, v0
	v_cmp_lt_u32_e64 s0, 63, v0
	v_cmp_lt_u32_e64 s1, 0x7f, v0
	v_xor_b32_e32 v1, 63, v1
	v_dual_mov_b32 v6, 0 :: v_dual_and_b32 v3, 12, v2
	v_cmp_lt_u32_e64 s2, 0xbf, v0
	v_add3_u32 v4, v17, 0, 0x800
	s_delay_alu instid0(VALU_DEP_4) | instskip(NEXT) | instid1(VALU_DEP_4)
	v_lshrrev_b64 v[1:2], v1, -1
	v_add_nc_u32_e32 v5, 0, v3
	v_mov_b32_e32 v7, 0
	s_mov_b32 s5, 0
	s_branch .LBB30_55
.LBB30_54:                              ;   in Loop: Header=BB30_55 Depth=1
	s_or_b32 exec_lo, exec_lo, s3
	s_waitcnt lgkmcnt(0)
	s_barrier
	buffer_gl0_inv
	ds_load_b32 v2, v6 offset:6156
	v_add_co_u32 v15, s3, 0x100, v15
	s_delay_alu instid0(VALU_DEP_1) | instskip(SKIP_3) | instid1(SALU_CYCLE_1)
	s_xor_b32 s3, s3, -1
	v_add_nc_u32_e32 v4, 0x800, v4
	v_add_nc_u32_e32 v16, 0x400, v16
	s_and_b32 s3, exec_lo, s3
	s_or_b32 s5, s3, s5
	s_waitcnt lgkmcnt(0)
	v_add_nc_u32_e32 v7, v2, v7
	s_and_not1_b32 exec_lo, exec_lo, s5
	s_cbranch_execz .LBB30_65
.LBB30_55:                              ; =>This Inner Loop Header: Depth=1
	ds_load_b32 v8, v16
	ds_load_b64 v[2:3], v4
	s_waitcnt lgkmcnt(0)
	s_barrier
	buffer_gl0_inv
	v_cmp_gt_i32_e64 s3, s14, v8
	s_delay_alu instid0(VALU_DEP_1) | instskip(NEXT) | instid1(SALU_CYCLE_1)
	s_bcnt1_i32_b32 s6, s3
	v_dual_mov_b32 v10, s6 :: v_dual_and_b32 v9, s3, v1
	s_delay_alu instid0(VALU_DEP_1)
	v_bcnt_u32_b32 v9, v9, 0
	ds_store_b32 v5, v10 offset:6144
	s_waitcnt lgkmcnt(0)
	s_barrier
	buffer_gl0_inv
	s_and_saveexec_b32 s6, s0
	s_cbranch_execnz .LBB30_60
; %bb.56:                               ;   in Loop: Header=BB30_55 Depth=1
	s_or_b32 exec_lo, exec_lo, s6
	s_and_saveexec_b32 s6, s1
	s_cbranch_execnz .LBB30_61
.LBB30_57:                              ;   in Loop: Header=BB30_55 Depth=1
	s_or_b32 exec_lo, exec_lo, s6
	s_and_saveexec_b32 s6, s2
	s_cbranch_execnz .LBB30_62
.LBB30_58:                              ;   in Loop: Header=BB30_55 Depth=1
	s_or_b32 exec_lo, exec_lo, s6
	s_and_saveexec_b32 s6, s3
	s_cbranch_execnz .LBB30_63
.LBB30_59:                              ;   in Loop: Header=BB30_55 Depth=1
	s_or_b32 exec_lo, exec_lo, s6
	s_and_saveexec_b32 s3, vcc_lo
	s_cbranch_execz .LBB30_54
	s_branch .LBB30_64
.LBB30_60:                              ;   in Loop: Header=BB30_55 Depth=1
	ds_load_b32 v10, v6 offset:6144
	s_waitcnt lgkmcnt(0)
	v_add_nc_u32_e32 v9, v10, v9
	s_or_b32 exec_lo, exec_lo, s6
	s_and_saveexec_b32 s6, s1
	s_cbranch_execz .LBB30_57
.LBB30_61:                              ;   in Loop: Header=BB30_55 Depth=1
	ds_load_b32 v10, v6 offset:6148
	s_waitcnt lgkmcnt(0)
	v_add_nc_u32_e32 v9, v10, v9
	s_or_b32 exec_lo, exec_lo, s6
	s_and_saveexec_b32 s6, s2
	s_cbranch_execz .LBB30_58
.LBB30_62:                              ;   in Loop: Header=BB30_55 Depth=1
	ds_load_b32 v10, v6 offset:6152
	s_waitcnt lgkmcnt(0)
	v_add_nc_u32_e32 v9, v10, v9
	s_or_b32 exec_lo, exec_lo, s6
	s_and_saveexec_b32 s6, s3
	s_cbranch_execz .LBB30_59
.LBB30_63:                              ;   in Loop: Header=BB30_55 Depth=1
	s_delay_alu instid0(VALU_DEP_1) | instskip(NEXT) | instid1(VALU_DEP_1)
	v_add3_u32 v10, v7, -1, v9
	v_lshl_add_u32 v11, v10, 2, 0
	v_lshl_add_u32 v10, v10, 3, 0
	ds_store_b32 v11, v8
	ds_store_b64 v10, v[2:3] offset:2048
	s_or_b32 exec_lo, exec_lo, s6
	s_and_saveexec_b32 s3, vcc_lo
	s_cbranch_execz .LBB30_54
.LBB30_64:                              ;   in Loop: Header=BB30_55 Depth=1
	ds_store_b32 v6, v9 offset:6156
	s_branch .LBB30_54
.LBB30_65:
	s_or_b32 exec_lo, exec_lo, s4
	s_ashr_i32 s13, s12, 31
	s_mov_b32 s3, exec_lo
	s_lshl_b64 s[0:1], s[12:13], 2
	s_delay_alu instid0(SALU_CYCLE_1) | instskip(SKIP_4) | instid1(SALU_CYCLE_1)
	s_add_u32 s0, s10, s0
	s_addc_u32 s1, s11, s1
	s_load_b64 s[0:1], s[0:1], 0x0
	s_waitcnt lgkmcnt(0)
	s_sub_i32 s2, s1, s0
	v_cmpx_gt_i32_e64 s2, v0
	s_cbranch_execz .LBB30_75
; %bb.66:
	s_sub_i32 s3, s0, s26
	s_sub_i32 s0, s0, s1
	s_and_b32 s1, s2, 7
	s_cmp_lt_u32 s0, -7
	s_mov_b32 s7, 0
	s_cselect_b32 s4, -1, 0
	s_and_b32 s5, s2, -8
	s_cmp_lg_u32 s1, 0
	s_cselect_b32 s6, -1, 0
	s_branch .LBB30_68
.LBB30_67:                              ;   in Loop: Header=BB30_68 Depth=1
	s_delay_alu instid0(VALU_DEP_1) | instskip(SKIP_3) | instid1(VALU_DEP_3)
	v_ashrrev_i32_e32 v4, 31, v3
	v_add_nc_u32_e32 v0, 0x100, v0
	s_waitcnt lgkmcnt(1)
	v_add_nc_u32_e32 v8, s26, v5
	v_lshlrev_b64 v[6:7], 2, v[3:4]
	v_lshlrev_b64 v[3:4], 3, v[3:4]
	v_cmp_le_i32_e32 vcc_lo, s2, v0
	s_delay_alu instid0(VALU_DEP_3) | instskip(NEXT) | instid1(VALU_DEP_1)
	v_add_co_u32 v5, s0, s28, v6
	v_add_co_ci_u32_e64 v6, s0, s29, v7, s0
	s_delay_alu instid0(VALU_DEP_4) | instskip(NEXT) | instid1(VALU_DEP_1)
	v_add_co_u32 v3, s0, s30, v3
	v_add_co_ci_u32_e64 v4, s0, s31, v4, s0
	s_or_b32 s7, vcc_lo, s7
	global_store_b32 v[5:6], v8, off
	s_waitcnt lgkmcnt(0)
	global_store_b64 v[3:4], v[1:2], off
	s_and_not1_b32 exec_lo, exec_lo, s7
	s_cbranch_execz .LBB30_75
.LBB30_68:                              ; =>This Loop Header: Depth=1
                                        ;     Child Loop BB30_70 Depth 2
                                        ;     Child Loop BB30_74 Depth 2
	v_lshlrev_b32_e32 v1, 2, v0
	s_and_not1_b32 vcc_lo, exec_lo, s4
	s_mov_b32 s0, 0
	s_delay_alu instid0(VALU_DEP_1) | instskip(NEXT) | instid1(VALU_DEP_1)
	v_dual_mov_b32 v3, s3 :: v_dual_add_nc_u32 v2, 0, v1
	v_add_nc_u32_e32 v1, v2, v1
	ds_load_b32 v5, v2
	ds_load_b64 v[1:2], v1 offset:2048
	s_cbranch_vccnz .LBB30_72
; %bb.69:                               ;   in Loop: Header=BB30_68 Depth=1
	v_mov_b32_e32 v3, s3
	s_mov_b32 s8, 0
	s_set_inst_prefetch_distance 0x1
	.p2align	6
.LBB30_70:                              ;   Parent Loop BB30_68 Depth=1
                                        ; =>  This Inner Loop Header: Depth=2
	v_mov_b32_e32 v4, s8
	s_add_i32 s0, s0, 8
	s_add_i32 s8, s8, 32
	s_cmp_eq_u32 s5, s0
	ds_load_2addr_b32 v[6:7], v4 offset1:1
	ds_load_2addr_b32 v[8:9], v4 offset0:2 offset1:3
	ds_load_2addr_b32 v[10:11], v4 offset0:4 offset1:5
	;; [unrolled: 1-line block ×3, first 2 shown]
	s_waitcnt lgkmcnt(3)
	v_cmp_gt_i32_e32 vcc_lo, v5, v6
	v_cndmask_b32_e64 v4, 0, 1, vcc_lo
	s_waitcnt lgkmcnt(2)
	v_cmp_gt_i32_e32 vcc_lo, v5, v8
	v_cndmask_b32_e64 v6, 0, 1, vcc_lo
	v_cmp_gt_i32_e32 vcc_lo, v5, v7
	v_add_co_ci_u32_e32 v3, vcc_lo, v3, v4, vcc_lo
	s_waitcnt lgkmcnt(1)
	v_cmp_gt_i32_e32 vcc_lo, v5, v10
	v_cndmask_b32_e64 v4, 0, 1, vcc_lo
	v_cmp_gt_i32_e32 vcc_lo, v5, v9
	v_add_co_ci_u32_e32 v3, vcc_lo, v3, v6, vcc_lo
	;; [unrolled: 5-line block ×3, first 2 shown]
	v_cmp_gt_i32_e32 vcc_lo, v5, v13
	s_delay_alu instid0(VALU_DEP_2)
	v_add_co_ci_u32_e32 v3, vcc_lo, v3, v6, vcc_lo
	s_cbranch_scc0 .LBB30_70
; %bb.71:                               ;   in Loop: Header=BB30_68 Depth=1
	s_set_inst_prefetch_distance 0x2
	s_mov_b32 s0, s5
.LBB30_72:                              ;   in Loop: Header=BB30_68 Depth=1
	s_and_not1_b32 vcc_lo, exec_lo, s6
	s_cbranch_vccnz .LBB30_67
; %bb.73:                               ;   in Loop: Header=BB30_68 Depth=1
	s_lshl_b32 s0, s0, 2
	s_mov_b32 s8, s1
	s_add_i32 s0, s0, 0
.LBB30_74:                              ;   Parent Loop BB30_68 Depth=1
                                        ; =>  This Inner Loop Header: Depth=2
	s_delay_alu instid0(SALU_CYCLE_1)
	v_mov_b32_e32 v4, s0
	s_add_i32 s8, s8, -1
	s_add_i32 s0, s0, 4
	s_cmp_lg_u32 s8, 0
	ds_load_b32 v4, v4
	s_waitcnt lgkmcnt(0)
	v_cmp_gt_i32_e32 vcc_lo, v5, v4
	v_add_co_ci_u32_e32 v3, vcc_lo, 0, v3, vcc_lo
	s_cbranch_scc1 .LBB30_74
	s_branch .LBB30_67
.LBB30_75:
	s_nop 0
	s_sendmsg sendmsg(MSG_DEALLOC_VGPRS)
	s_endpgm
	.section	.rodata,"a",@progbits
	.p2align	6, 0x0
	.amdhsa_kernel _ZN9rocsparseL26csrgemm_fill_block_per_rowILj256ELj32ELj512ELj137ELj64EiidEEvT5_PKS1_S3_NS_24const_host_device_scalarIT6_EEPKT4_S3_PKS5_S9_S3_SB_S6_S9_S3_SB_S9_PS1_PS5_21rocsparse_index_base_SE_SE_SE_bbb
		.amdhsa_group_segment_fixed_size 0
		.amdhsa_private_segment_fixed_size 0
		.amdhsa_kernarg_size 156
		.amdhsa_user_sgpr_count 15
		.amdhsa_user_sgpr_dispatch_ptr 0
		.amdhsa_user_sgpr_queue_ptr 0
		.amdhsa_user_sgpr_kernarg_segment_ptr 1
		.amdhsa_user_sgpr_dispatch_id 0
		.amdhsa_user_sgpr_private_segment_size 0
		.amdhsa_wavefront_size32 1
		.amdhsa_uses_dynamic_stack 0
		.amdhsa_enable_private_segment 0
		.amdhsa_system_sgpr_workgroup_id_x 1
		.amdhsa_system_sgpr_workgroup_id_y 0
		.amdhsa_system_sgpr_workgroup_id_z 0
		.amdhsa_system_sgpr_workgroup_info 0
		.amdhsa_system_vgpr_workitem_id 0
		.amdhsa_next_free_vgpr 23
		.amdhsa_next_free_sgpr 44
		.amdhsa_reserve_vcc 1
		.amdhsa_float_round_mode_32 0
		.amdhsa_float_round_mode_16_64 0
		.amdhsa_float_denorm_mode_32 3
		.amdhsa_float_denorm_mode_16_64 3
		.amdhsa_dx10_clamp 1
		.amdhsa_ieee_mode 1
		.amdhsa_fp16_overflow 0
		.amdhsa_workgroup_processor_mode 1
		.amdhsa_memory_ordered 1
		.amdhsa_forward_progress 0
		.amdhsa_shared_vgpr_count 0
		.amdhsa_exception_fp_ieee_invalid_op 0
		.amdhsa_exception_fp_denorm_src 0
		.amdhsa_exception_fp_ieee_div_zero 0
		.amdhsa_exception_fp_ieee_overflow 0
		.amdhsa_exception_fp_ieee_underflow 0
		.amdhsa_exception_fp_ieee_inexact 0
		.amdhsa_exception_int_div_zero 0
	.end_amdhsa_kernel
	.section	.text._ZN9rocsparseL26csrgemm_fill_block_per_rowILj256ELj32ELj512ELj137ELj64EiidEEvT5_PKS1_S3_NS_24const_host_device_scalarIT6_EEPKT4_S3_PKS5_S9_S3_SB_S6_S9_S3_SB_S9_PS1_PS5_21rocsparse_index_base_SE_SE_SE_bbb,"axG",@progbits,_ZN9rocsparseL26csrgemm_fill_block_per_rowILj256ELj32ELj512ELj137ELj64EiidEEvT5_PKS1_S3_NS_24const_host_device_scalarIT6_EEPKT4_S3_PKS5_S9_S3_SB_S6_S9_S3_SB_S9_PS1_PS5_21rocsparse_index_base_SE_SE_SE_bbb,comdat
.Lfunc_end30:
	.size	_ZN9rocsparseL26csrgemm_fill_block_per_rowILj256ELj32ELj512ELj137ELj64EiidEEvT5_PKS1_S3_NS_24const_host_device_scalarIT6_EEPKT4_S3_PKS5_S9_S3_SB_S6_S9_S3_SB_S9_PS1_PS5_21rocsparse_index_base_SE_SE_SE_bbb, .Lfunc_end30-_ZN9rocsparseL26csrgemm_fill_block_per_rowILj256ELj32ELj512ELj137ELj64EiidEEvT5_PKS1_S3_NS_24const_host_device_scalarIT6_EEPKT4_S3_PKS5_S9_S3_SB_S6_S9_S3_SB_S9_PS1_PS5_21rocsparse_index_base_SE_SE_SE_bbb
                                        ; -- End function
	.section	.AMDGPU.csdata,"",@progbits
; Kernel info:
; codeLenInByte = 2956
; NumSgprs: 46
; NumVgprs: 23
; ScratchSize: 0
; MemoryBound: 0
; FloatMode: 240
; IeeeMode: 1
; LDSByteSize: 0 bytes/workgroup (compile time only)
; SGPRBlocks: 5
; VGPRBlocks: 2
; NumSGPRsForWavesPerEU: 46
; NumVGPRsForWavesPerEU: 23
; Occupancy: 16
; WaveLimiterHint : 1
; COMPUTE_PGM_RSRC2:SCRATCH_EN: 0
; COMPUTE_PGM_RSRC2:USER_SGPR: 15
; COMPUTE_PGM_RSRC2:TRAP_HANDLER: 0
; COMPUTE_PGM_RSRC2:TGID_X_EN: 1
; COMPUTE_PGM_RSRC2:TGID_Y_EN: 0
; COMPUTE_PGM_RSRC2:TGID_Z_EN: 0
; COMPUTE_PGM_RSRC2:TIDIG_COMP_CNT: 0
	.section	.text._ZN9rocsparseL26csrgemm_fill_block_per_rowILj512ELj32ELj1024ELj137ELj32EiidEEvT5_PKS1_S3_NS_24const_host_device_scalarIT6_EEPKT4_S3_PKS5_S9_S3_SB_S6_S9_S3_SB_S9_PS1_PS5_21rocsparse_index_base_SE_SE_SE_bbb,"axG",@progbits,_ZN9rocsparseL26csrgemm_fill_block_per_rowILj512ELj32ELj1024ELj137ELj32EiidEEvT5_PKS1_S3_NS_24const_host_device_scalarIT6_EEPKT4_S3_PKS5_S9_S3_SB_S6_S9_S3_SB_S9_PS1_PS5_21rocsparse_index_base_SE_SE_SE_bbb,comdat
	.globl	_ZN9rocsparseL26csrgemm_fill_block_per_rowILj512ELj32ELj1024ELj137ELj32EiidEEvT5_PKS1_S3_NS_24const_host_device_scalarIT6_EEPKT4_S3_PKS5_S9_S3_SB_S6_S9_S3_SB_S9_PS1_PS5_21rocsparse_index_base_SE_SE_SE_bbb ; -- Begin function _ZN9rocsparseL26csrgemm_fill_block_per_rowILj512ELj32ELj1024ELj137ELj32EiidEEvT5_PKS1_S3_NS_24const_host_device_scalarIT6_EEPKT4_S3_PKS5_S9_S3_SB_S6_S9_S3_SB_S9_PS1_PS5_21rocsparse_index_base_SE_SE_SE_bbb
	.p2align	8
	.type	_ZN9rocsparseL26csrgemm_fill_block_per_rowILj512ELj32ELj1024ELj137ELj32EiidEEvT5_PKS1_S3_NS_24const_host_device_scalarIT6_EEPKT4_S3_PKS5_S9_S3_SB_S6_S9_S3_SB_S9_PS1_PS5_21rocsparse_index_base_SE_SE_SE_bbb,@function
_ZN9rocsparseL26csrgemm_fill_block_per_rowILj512ELj32ELj1024ELj137ELj32EiidEEvT5_PKS1_S3_NS_24const_host_device_scalarIT6_EEPKT4_S3_PKS5_S9_S3_SB_S6_S9_S3_SB_S9_PS1_PS5_21rocsparse_index_base_SE_SE_SE_bbb: ; @_ZN9rocsparseL26csrgemm_fill_block_per_rowILj512ELj32ELj1024ELj137ELj32EiidEEvT5_PKS1_S3_NS_24const_host_device_scalarIT6_EEPKT4_S3_PKS5_S9_S3_SB_S6_S9_S3_SB_S9_PS1_PS5_21rocsparse_index_base_SE_SE_SE_bbb
; %bb.0:
	s_clause 0x3
	s_load_b32 s12, s[0:1], 0x98
	s_load_b64 s[4:5], s[0:1], 0x18
	s_load_b128 s[24:27], s[0:1], 0x88
	s_load_b64 s[2:3], s[0:1], 0x50
	s_waitcnt lgkmcnt(0)
	s_and_b32 s6, 1, s12
	s_bitcmp1_b32 s12, 16
	s_cselect_b32 s14, -1, 0
	s_cmp_eq_u32 s6, 1
	s_cselect_b32 s13, -1, 0
	s_delay_alu instid0(SALU_CYCLE_1)
	s_and_b32 s6, s13, exec_lo
	s_cselect_b32 s7, s5, 0
	s_cselect_b32 s6, s4, 0
	s_xor_b32 s8, s13, -1
	v_dual_mov_b32 v3, s6 :: v_dual_mov_b32 v4, s7
	s_or_b32 s8, s8, s14
	s_delay_alu instid0(SALU_CYCLE_1)
	s_and_b32 vcc_lo, exec_lo, s8
	s_cbranch_vccnz .LBB31_2
; %bb.1:
	v_dual_mov_b32 v1, s4 :: v_dual_mov_b32 v2, s5
	flat_load_b64 v[3:4], v[1:2]
.LBB31_2:
	s_clause 0x4
	s_load_b128 s[28:31], s[0:1], 0x78
	s_load_b256 s[16:23], s[0:1], 0x58
	s_load_b128 s[36:39], s[0:1], 0x40
	s_load_b128 s[40:43], s[0:1], 0x8
	s_load_b256 s[4:11], s[0:1], 0x20
	s_bitcmp1_b32 s12, 8
	s_cselect_b32 s12, -1, 0
	s_delay_alu instid0(SALU_CYCLE_1)
	s_and_b32 s33, s12, exec_lo
	s_cselect_b32 s35, s3, 0
	s_cselect_b32 s34, s2, 0
	s_xor_b32 s33, s12, -1
	v_dual_mov_b32 v1, s34 :: v_dual_mov_b32 v2, s35
	s_or_b32 s14, s33, s14
	s_delay_alu instid0(SALU_CYCLE_1)
	s_and_b32 vcc_lo, exec_lo, s14
	s_cbranch_vccnz .LBB31_4
; %bb.3:
	v_dual_mov_b32 v1, s2 :: v_dual_mov_b32 v2, s3
	flat_load_b64 v[1:2], v[1:2]
.LBB31_4:
	s_load_b32 s33, s[0:1], 0x0
	v_dual_mov_b32 v5, 0 :: v_dual_lshlrev_b32 v6, 3, v0
	v_lshl_add_u32 v15, v0, 2, 0
	v_or_b32_e32 v16, 0xfffffe00, v0
	s_mov_b32 s0, 0
	s_delay_alu instid0(VALU_DEP_3) | instskip(NEXT) | instid1(VALU_DEP_3)
	v_add3_u32 v17, v6, 0, 0x1000
	v_dual_mov_b32 v6, v5 :: v_dual_mov_b32 v7, v15
	s_delay_alu instid0(VALU_DEP_3) | instskip(SKIP_1) | instid1(VALU_DEP_3)
	v_mov_b32_e32 v8, v16
	s_waitcnt lgkmcnt(0)
	v_dual_mov_b32 v10, v17 :: v_dual_mov_b32 v9, s33
.LBB31_5:                               ; =>This Inner Loop Header: Depth=1
	s_delay_alu instid0(VALU_DEP_2) | instskip(NEXT) | instid1(VALU_DEP_1)
	v_add_co_u32 v8, s1, 0x200, v8
	s_xor_b32 s1, s1, -1
	ds_store_b32 v7, v9
	ds_store_b64 v10, v[5:6]
	v_add_nc_u32_e32 v10, 0x1000, v10
	v_add_nc_u32_e32 v7, 0x800, v7
	s_and_b32 s1, exec_lo, s1
	s_delay_alu instid0(SALU_CYCLE_1) | instskip(NEXT) | instid1(SALU_CYCLE_1)
	s_or_b32 s0, s1, s0
	s_and_not1_b32 exec_lo, exec_lo, s0
	s_cbranch_execnz .LBB31_5
; %bb.6:
	s_or_b32 exec_lo, exec_lo, s0
	s_waitcnt vmcnt(0) lgkmcnt(0)
	s_barrier
	buffer_gl0_inv
	s_load_b32 s0, s[40:41], 0x0
	s_mov_b32 s1, 0
	v_lshrrev_b32_e32 v18, 5, v0
	s_waitcnt lgkmcnt(0)
	s_add_i32 s0, s0, s15
	s_delay_alu instid0(SALU_CYCLE_1) | instskip(NEXT) | instid1(SALU_CYCLE_1)
	s_lshl_b64 s[0:1], s[0:1], 2
	s_add_u32 s0, s42, s0
	s_addc_u32 s1, s43, s1
	s_and_b32 vcc_lo, exec_lo, s13
	s_load_b32 s34, s[0:1], 0x0
	s_cbranch_vccz .LBB31_30
; %bb.7:
	s_waitcnt lgkmcnt(0)
	s_ashr_i32 s35, s34, 31
	v_subrev_nc_u32_e32 v5, s24, v18
	s_lshl_b64 s[0:1], s[34:35], 2
	s_delay_alu instid0(SALU_CYCLE_1)
	s_add_u32 s0, s4, s0
	s_addc_u32 s1, s5, s1
	s_load_b64 s[0:1], s[0:1], 0x0
	s_waitcnt lgkmcnt(0)
	v_add_nc_u32_e32 v5, s0, v5
	s_sub_i32 s0, s1, s24
	s_mov_b32 s1, exec_lo
	s_delay_alu instid0(VALU_DEP_1)
	v_cmpx_gt_i32_e64 s0, v5
	s_cbranch_execz .LBB31_29
; %bb.8:
	v_and_b32_e32 v6, 31, v0
	s_mov_b32 s2, 0
	s_delay_alu instid0(VALU_DEP_1)
	v_subrev_nc_u32_e32 v19, s25, v6
	s_branch .LBB31_10
.LBB31_9:                               ;   in Loop: Header=BB31_10 Depth=1
	s_or_b32 exec_lo, exec_lo, s3
	v_add_nc_u32_e32 v5, 16, v5
	s_delay_alu instid0(VALU_DEP_1) | instskip(SKIP_1) | instid1(SALU_CYCLE_1)
	v_cmp_le_i32_e32 vcc_lo, s0, v5
	s_or_b32 s2, vcc_lo, s2
	s_and_not1_b32 exec_lo, exec_lo, s2
	s_cbranch_execz .LBB31_29
.LBB31_10:                              ; =>This Loop Header: Depth=1
                                        ;     Child Loop BB31_13 Depth 2
                                        ;       Child Loop BB31_15 Depth 3
                                        ;         Child Loop BB31_21 Depth 4
                                        ;         Child Loop BB31_27 Depth 4
	v_ashrrev_i32_e32 v6, 31, v5
	s_mov_b32 s3, exec_lo
	s_delay_alu instid0(VALU_DEP_1) | instskip(NEXT) | instid1(VALU_DEP_1)
	v_lshlrev_b64 v[7:8], 2, v[5:6]
	v_add_co_u32 v7, vcc_lo, s6, v7
	s_delay_alu instid0(VALU_DEP_2) | instskip(SKIP_3) | instid1(VALU_DEP_1)
	v_add_co_ci_u32_e32 v8, vcc_lo, s7, v8, vcc_lo
	global_load_b32 v7, v[7:8], off
	s_waitcnt vmcnt(0)
	v_subrev_nc_u32_e32 v7, s24, v7
	v_ashrrev_i32_e32 v8, 31, v7
	s_delay_alu instid0(VALU_DEP_1) | instskip(NEXT) | instid1(VALU_DEP_1)
	v_lshlrev_b64 v[7:8], 2, v[7:8]
	v_add_co_u32 v7, vcc_lo, s10, v7
	s_delay_alu instid0(VALU_DEP_2) | instskip(SKIP_4) | instid1(VALU_DEP_1)
	v_add_co_ci_u32_e32 v8, vcc_lo, s11, v8, vcc_lo
	global_load_b64 v[7:8], v[7:8], off
	s_waitcnt vmcnt(0)
	v_subrev_nc_u32_e32 v20, s25, v8
	v_add_nc_u32_e32 v7, v7, v19
	v_cmpx_lt_i32_e64 v7, v20
	s_cbranch_execz .LBB31_9
; %bb.11:                               ;   in Loop: Header=BB31_10 Depth=1
	v_lshlrev_b64 v[8:9], 3, v[5:6]
	s_mov_b32 s4, 0
	s_delay_alu instid0(VALU_DEP_1) | instskip(NEXT) | instid1(VALU_DEP_2)
	v_add_co_u32 v8, vcc_lo, s8, v8
	v_add_co_ci_u32_e32 v9, vcc_lo, s9, v9, vcc_lo
	global_load_b64 v[8:9], v[8:9], off
	s_waitcnt vmcnt(0)
	v_mul_f64 v[9:10], v[3:4], v[8:9]
	s_branch .LBB31_13
.LBB31_12:                              ;   in Loop: Header=BB31_13 Depth=2
	s_or_b32 exec_lo, exec_lo, s5
	v_add_nc_u32_e32 v7, 32, v7
	s_delay_alu instid0(VALU_DEP_1) | instskip(SKIP_1) | instid1(SALU_CYCLE_1)
	v_cmp_ge_i32_e32 vcc_lo, v7, v20
	s_or_b32 s4, vcc_lo, s4
	s_and_not1_b32 exec_lo, exec_lo, s4
	s_cbranch_execz .LBB31_9
.LBB31_13:                              ;   Parent Loop BB31_10 Depth=1
                                        ; =>  This Loop Header: Depth=2
                                        ;       Child Loop BB31_15 Depth 3
                                        ;         Child Loop BB31_21 Depth 4
                                        ;         Child Loop BB31_27 Depth 4
	v_ashrrev_i32_e32 v8, 31, v7
	s_mov_b32 s5, 0
	s_delay_alu instid0(VALU_DEP_1) | instskip(SKIP_1) | instid1(VALU_DEP_2)
	v_lshlrev_b64 v[11:12], 3, v[7:8]
	v_lshlrev_b64 v[13:14], 2, v[7:8]
	v_add_co_u32 v11, vcc_lo, s38, v11
	s_delay_alu instid0(VALU_DEP_3) | instskip(NEXT) | instid1(VALU_DEP_3)
	v_add_co_ci_u32_e32 v12, vcc_lo, s39, v12, vcc_lo
	v_add_co_u32 v13, vcc_lo, s36, v13
	s_delay_alu instid0(VALU_DEP_4)
	v_add_co_ci_u32_e32 v14, vcc_lo, s37, v14, vcc_lo
	global_load_b64 v[11:12], v[11:12], off
	global_load_b32 v6, v[13:14], off
	s_waitcnt vmcnt(1)
	v_mul_f64 v[11:12], v[9:10], v[11:12]
	s_waitcnt vmcnt(0)
	v_subrev_nc_u32_e32 v6, s25, v6
	s_delay_alu instid0(VALU_DEP_1) | instskip(NEXT) | instid1(VALU_DEP_1)
	v_mul_lo_u32 v8, 0x89, v6
	v_and_b32_e32 v8, 0x3ff, v8
	s_branch .LBB31_15
.LBB31_14:                              ;   in Loop: Header=BB31_15 Depth=3
	s_or_b32 exec_lo, exec_lo, s13
	s_xor_b32 s13, s14, -1
	s_delay_alu instid0(SALU_CYCLE_1) | instskip(NEXT) | instid1(SALU_CYCLE_1)
	s_and_b32 s13, exec_lo, s13
	s_or_b32 s5, s13, s5
	s_delay_alu instid0(SALU_CYCLE_1)
	s_and_not1_b32 exec_lo, exec_lo, s5
	s_cbranch_execz .LBB31_12
.LBB31_15:                              ;   Parent Loop BB31_10 Depth=1
                                        ;     Parent Loop BB31_13 Depth=2
                                        ; =>    This Loop Header: Depth=3
                                        ;         Child Loop BB31_21 Depth 4
                                        ;         Child Loop BB31_27 Depth 4
	s_delay_alu instid0(VALU_DEP_1)
	v_lshl_add_u32 v13, v8, 2, 0
	s_mov_b32 s13, exec_lo
                                        ; implicit-def: $sgpr14
	ds_load_b32 v14, v13
	s_waitcnt lgkmcnt(0)
	v_cmpx_ne_u32_e64 v14, v6
	s_xor_b32 s13, exec_lo, s13
	s_cbranch_execz .LBB31_25
; %bb.16:                               ;   in Loop: Header=BB31_15 Depth=3
	s_mov_b32 s15, exec_lo
                                        ; implicit-def: $sgpr14
	v_cmpx_ne_u32_e64 s33, v14
	s_xor_b32 s15, exec_lo, s15
; %bb.17:                               ;   in Loop: Header=BB31_15 Depth=3
	v_add_nc_u32_e32 v8, 1, v8
	s_mov_b32 s14, -1
                                        ; implicit-def: $vgpr13
	s_delay_alu instid0(VALU_DEP_1)
	v_and_b32_e32 v8, 0x3ff, v8
; %bb.18:                               ;   in Loop: Header=BB31_15 Depth=3
	s_and_not1_saveexec_b32 s15, s15
	s_cbranch_execz .LBB31_24
; %bb.19:                               ;   in Loop: Header=BB31_15 Depth=3
	v_mov_b32_e32 v14, s33
	s_mov_b32 s40, -1
	s_mov_b32 s35, exec_lo
	ds_cmpstore_rtn_b32 v14, v13, v6, v14
	s_waitcnt lgkmcnt(0)
	v_cmpx_eq_u32_e64 s33, v14
	s_cbranch_execz .LBB31_23
; %bb.20:                               ;   in Loop: Header=BB31_15 Depth=3
	v_lshlrev_b32_e32 v14, 2, v8
	s_mov_b32 s40, 0
	s_delay_alu instid0(VALU_DEP_1)
	v_add_nc_u32_e32 v21, v13, v14
	ds_load_b64 v[13:14], v21 offset:4096
.LBB31_21:                              ;   Parent Loop BB31_10 Depth=1
                                        ;     Parent Loop BB31_13 Depth=2
                                        ;       Parent Loop BB31_15 Depth=3
                                        ; =>      This Inner Loop Header: Depth=4
	s_waitcnt lgkmcnt(0)
	v_add_f64 v[22:23], v[13:14], v[11:12]
	ds_cmpstore_rtn_b64 v[22:23], v21, v[22:23], v[13:14] offset:4096
	s_waitcnt lgkmcnt(0)
	v_cmp_eq_u64_e32 vcc_lo, v[22:23], v[13:14]
	v_dual_mov_b32 v13, v22 :: v_dual_mov_b32 v14, v23
	s_or_b32 s40, vcc_lo, s40
	s_delay_alu instid0(SALU_CYCLE_1)
	s_and_not1_b32 exec_lo, exec_lo, s40
	s_cbranch_execnz .LBB31_21
; %bb.22:                               ;   in Loop: Header=BB31_15 Depth=3
	s_or_b32 exec_lo, exec_lo, s40
	s_delay_alu instid0(SALU_CYCLE_1)
	s_xor_b32 s40, exec_lo, -1
.LBB31_23:                              ;   in Loop: Header=BB31_15 Depth=3
	s_or_b32 exec_lo, exec_lo, s35
	s_delay_alu instid0(SALU_CYCLE_1) | instskip(SKIP_1) | instid1(SALU_CYCLE_1)
	s_and_not1_b32 s14, s14, exec_lo
	s_and_b32 s35, s40, exec_lo
	s_or_b32 s14, s14, s35
.LBB31_24:                              ;   in Loop: Header=BB31_15 Depth=3
	s_or_b32 exec_lo, exec_lo, s15
	s_delay_alu instid0(SALU_CYCLE_1)
	s_and_b32 s14, s14, exec_lo
                                        ; implicit-def: $vgpr13
.LBB31_25:                              ;   in Loop: Header=BB31_15 Depth=3
	s_and_not1_saveexec_b32 s13, s13
	s_cbranch_execz .LBB31_14
; %bb.26:                               ;   in Loop: Header=BB31_15 Depth=3
	v_lshlrev_b32_e32 v14, 2, v8
	s_mov_b32 s15, 0
	s_delay_alu instid0(VALU_DEP_1)
	v_add_nc_u32_e32 v21, v13, v14
	ds_load_b64 v[13:14], v21 offset:4096
.LBB31_27:                              ;   Parent Loop BB31_10 Depth=1
                                        ;     Parent Loop BB31_13 Depth=2
                                        ;       Parent Loop BB31_15 Depth=3
                                        ; =>      This Inner Loop Header: Depth=4
	s_waitcnt lgkmcnt(0)
	v_add_f64 v[22:23], v[13:14], v[11:12]
	ds_cmpstore_rtn_b64 v[22:23], v21, v[22:23], v[13:14] offset:4096
	s_waitcnt lgkmcnt(0)
	v_cmp_eq_u64_e32 vcc_lo, v[22:23], v[13:14]
	v_dual_mov_b32 v13, v22 :: v_dual_mov_b32 v14, v23
	s_or_b32 s15, vcc_lo, s15
	s_delay_alu instid0(SALU_CYCLE_1)
	s_and_not1_b32 exec_lo, exec_lo, s15
	s_cbranch_execnz .LBB31_27
; %bb.28:                               ;   in Loop: Header=BB31_15 Depth=3
	s_or_b32 exec_lo, exec_lo, s15
	s_delay_alu instid0(SALU_CYCLE_1)
	s_and_not1_b32 s14, s14, exec_lo
	s_branch .LBB31_14
.LBB31_29:
	s_or_b32 exec_lo, exec_lo, s1
.LBB31_30:
	s_delay_alu instid0(SALU_CYCLE_1)
	s_and_not1_b32 vcc_lo, exec_lo, s12
	s_cbranch_vccnz .LBB31_51
; %bb.31:
	s_waitcnt lgkmcnt(0)
	s_ashr_i32 s35, s34, 31
	v_subrev_nc_u32_e32 v3, s27, v0
	s_lshl_b64 s[0:1], s[34:35], 2
	s_delay_alu instid0(SALU_CYCLE_1)
	s_add_u32 s0, s16, s0
	s_addc_u32 s1, s17, s1
	s_load_b64 s[0:1], s[0:1], 0x0
	s_waitcnt lgkmcnt(0)
	v_add_nc_u32_e32 v3, s0, v3
	s_sub_i32 s0, s1, s27
	s_mov_b32 s1, exec_lo
	s_delay_alu instid0(VALU_DEP_1)
	v_cmpx_gt_i32_e64 s0, v3
	s_cbranch_execz .LBB31_50
; %bb.32:
	s_mov_b32 s2, 0
	s_branch .LBB31_34
.LBB31_33:                              ;   in Loop: Header=BB31_34 Depth=1
	s_or_b32 exec_lo, exec_lo, s3
	v_add_nc_u32_e32 v3, 0x200, v3
	s_delay_alu instid0(VALU_DEP_1) | instskip(SKIP_1) | instid1(SALU_CYCLE_1)
	v_cmp_le_i32_e32 vcc_lo, s0, v3
	s_or_b32 s2, vcc_lo, s2
	s_and_not1_b32 exec_lo, exec_lo, s2
	s_cbranch_execz .LBB31_50
.LBB31_34:                              ; =>This Loop Header: Depth=1
                                        ;     Child Loop BB31_36 Depth 2
                                        ;       Child Loop BB31_42 Depth 3
                                        ;       Child Loop BB31_48 Depth 3
	v_ashrrev_i32_e32 v4, 31, v3
	s_mov_b32 s3, 0
	s_delay_alu instid0(VALU_DEP_1) | instskip(SKIP_1) | instid1(VALU_DEP_2)
	v_lshlrev_b64 v[5:6], 3, v[3:4]
	v_lshlrev_b64 v[7:8], 2, v[3:4]
	v_add_co_u32 v5, vcc_lo, s20, v5
	s_delay_alu instid0(VALU_DEP_3) | instskip(NEXT) | instid1(VALU_DEP_3)
	v_add_co_ci_u32_e32 v6, vcc_lo, s21, v6, vcc_lo
	v_add_co_u32 v7, vcc_lo, s18, v7
	s_delay_alu instid0(VALU_DEP_4)
	v_add_co_ci_u32_e32 v8, vcc_lo, s19, v8, vcc_lo
	global_load_b64 v[5:6], v[5:6], off
	global_load_b32 v7, v[7:8], off
	s_waitcnt vmcnt(1)
	v_mul_f64 v[4:5], v[1:2], v[5:6]
	s_waitcnt vmcnt(0)
	v_subrev_nc_u32_e32 v8, s27, v7
	s_delay_alu instid0(VALU_DEP_1) | instskip(NEXT) | instid1(VALU_DEP_1)
	v_mul_lo_u32 v6, 0x89, v8
	v_and_b32_e32 v9, 0x3ff, v6
	s_branch .LBB31_36
.LBB31_35:                              ;   in Loop: Header=BB31_36 Depth=2
	s_or_b32 exec_lo, exec_lo, s4
	s_xor_b32 s4, s5, -1
	s_delay_alu instid0(SALU_CYCLE_1) | instskip(NEXT) | instid1(SALU_CYCLE_1)
	s_and_b32 s4, exec_lo, s4
	s_or_b32 s3, s4, s3
	s_delay_alu instid0(SALU_CYCLE_1)
	s_and_not1_b32 exec_lo, exec_lo, s3
	s_cbranch_execz .LBB31_33
.LBB31_36:                              ;   Parent Loop BB31_34 Depth=1
                                        ; =>  This Loop Header: Depth=2
                                        ;       Child Loop BB31_42 Depth 3
                                        ;       Child Loop BB31_48 Depth 3
	s_delay_alu instid0(VALU_DEP_1)
	v_lshl_add_u32 v6, v9, 2, 0
	s_mov_b32 s4, exec_lo
                                        ; implicit-def: $sgpr5
	ds_load_b32 v7, v6
	s_waitcnt lgkmcnt(0)
	v_cmpx_ne_u32_e64 v7, v8
	s_xor_b32 s4, exec_lo, s4
	s_cbranch_execz .LBB31_46
; %bb.37:                               ;   in Loop: Header=BB31_36 Depth=2
	s_mov_b32 s6, exec_lo
                                        ; implicit-def: $sgpr5
	v_cmpx_ne_u32_e64 s33, v7
	s_xor_b32 s6, exec_lo, s6
; %bb.38:                               ;   in Loop: Header=BB31_36 Depth=2
	v_add_nc_u32_e32 v6, 1, v9
	s_mov_b32 s5, -1
	s_delay_alu instid0(VALU_DEP_1)
	v_and_b32_e32 v9, 0x3ff, v6
                                        ; implicit-def: $vgpr6
; %bb.39:                               ;   in Loop: Header=BB31_36 Depth=2
	s_and_not1_saveexec_b32 s6, s6
	s_cbranch_execz .LBB31_45
; %bb.40:                               ;   in Loop: Header=BB31_36 Depth=2
	v_mov_b32_e32 v7, s33
	s_mov_b32 s8, -1
	s_mov_b32 s7, exec_lo
	ds_cmpstore_rtn_b32 v7, v6, v8, v7
	s_waitcnt lgkmcnt(0)
	v_cmpx_eq_u32_e64 s33, v7
	s_cbranch_execz .LBB31_44
; %bb.41:                               ;   in Loop: Header=BB31_36 Depth=2
	v_lshlrev_b32_e32 v7, 2, v9
	s_mov_b32 s8, 0
	s_delay_alu instid0(VALU_DEP_1)
	v_add_nc_u32_e32 v10, v6, v7
	ds_load_b64 v[6:7], v10 offset:4096
.LBB31_42:                              ;   Parent Loop BB31_34 Depth=1
                                        ;     Parent Loop BB31_36 Depth=2
                                        ; =>    This Inner Loop Header: Depth=3
	s_waitcnt lgkmcnt(0)
	v_add_f64 v[11:12], v[6:7], v[4:5]
	ds_cmpstore_rtn_b64 v[11:12], v10, v[11:12], v[6:7] offset:4096
	s_waitcnt lgkmcnt(0)
	v_cmp_eq_u64_e32 vcc_lo, v[11:12], v[6:7]
	v_dual_mov_b32 v6, v11 :: v_dual_mov_b32 v7, v12
	s_or_b32 s8, vcc_lo, s8
	s_delay_alu instid0(SALU_CYCLE_1)
	s_and_not1_b32 exec_lo, exec_lo, s8
	s_cbranch_execnz .LBB31_42
; %bb.43:                               ;   in Loop: Header=BB31_36 Depth=2
	s_or_b32 exec_lo, exec_lo, s8
	s_delay_alu instid0(SALU_CYCLE_1)
	s_xor_b32 s8, exec_lo, -1
.LBB31_44:                              ;   in Loop: Header=BB31_36 Depth=2
	s_or_b32 exec_lo, exec_lo, s7
	s_delay_alu instid0(SALU_CYCLE_1) | instskip(SKIP_1) | instid1(SALU_CYCLE_1)
	s_and_not1_b32 s5, s5, exec_lo
	s_and_b32 s7, s8, exec_lo
	s_or_b32 s5, s5, s7
.LBB31_45:                              ;   in Loop: Header=BB31_36 Depth=2
	s_or_b32 exec_lo, exec_lo, s6
	s_delay_alu instid0(SALU_CYCLE_1)
	s_and_b32 s5, s5, exec_lo
                                        ; implicit-def: $vgpr6
.LBB31_46:                              ;   in Loop: Header=BB31_36 Depth=2
	s_and_not1_saveexec_b32 s4, s4
	s_cbranch_execz .LBB31_35
; %bb.47:                               ;   in Loop: Header=BB31_36 Depth=2
	v_lshlrev_b32_e32 v7, 2, v9
	s_mov_b32 s6, 0
	s_delay_alu instid0(VALU_DEP_1)
	v_add_nc_u32_e32 v10, v6, v7
	ds_load_b64 v[6:7], v10 offset:4096
.LBB31_48:                              ;   Parent Loop BB31_34 Depth=1
                                        ;     Parent Loop BB31_36 Depth=2
                                        ; =>    This Inner Loop Header: Depth=3
	s_waitcnt lgkmcnt(0)
	v_add_f64 v[11:12], v[6:7], v[4:5]
	ds_cmpstore_rtn_b64 v[11:12], v10, v[11:12], v[6:7] offset:4096
	s_waitcnt lgkmcnt(0)
	v_cmp_eq_u64_e32 vcc_lo, v[11:12], v[6:7]
	v_dual_mov_b32 v6, v11 :: v_dual_mov_b32 v7, v12
	s_or_b32 s6, vcc_lo, s6
	s_delay_alu instid0(SALU_CYCLE_1)
	s_and_not1_b32 exec_lo, exec_lo, s6
	s_cbranch_execnz .LBB31_48
; %bb.49:                               ;   in Loop: Header=BB31_36 Depth=2
	s_or_b32 exec_lo, exec_lo, s6
	s_delay_alu instid0(SALU_CYCLE_1)
	s_and_not1_b32 s5, s5, exec_lo
	s_branch .LBB31_35
.LBB31_50:
	s_or_b32 exec_lo, exec_lo, s1
.LBB31_51:
	v_mbcnt_lo_u32_b32 v1, -1, 0
	v_lshl_add_u32 v4, v18, 2, 0
	v_cmp_eq_u32_e32 vcc_lo, 0x1ff, v0
	v_cmp_lt_u32_e64 s0, 31, v0
	v_cmp_lt_u32_e64 s1, 63, v0
	v_xor_b32_e32 v1, 63, v1
	v_cmp_lt_u32_e64 s2, 0x5f, v0
	v_cmp_lt_u32_e64 s3, 0x7f, v0
	;; [unrolled: 1-line block ×4, first 2 shown]
	v_lshrrev_b64 v[1:2], v1, -1
	v_cmp_lt_u32_e64 s6, 0xdf, v0
	v_cmp_lt_u32_e64 s7, 0xff, v0
	;; [unrolled: 1-line block ×9, first 2 shown]
	v_dual_mov_b32 v5, 0 :: v_dual_mov_b32 v6, 0
	s_mov_b32 s16, 0
	s_waitcnt lgkmcnt(0)
	s_barrier
	buffer_gl0_inv
	s_branch .LBB31_53
.LBB31_52:                              ;   in Loop: Header=BB31_53 Depth=1
	s_or_b32 exec_lo, exec_lo, s15
	s_waitcnt lgkmcnt(0)
	s_barrier
	buffer_gl0_inv
	ds_load_b32 v2, v5 offset:12348
	v_add_co_u32 v16, s15, 0x200, v16
	s_delay_alu instid0(VALU_DEP_1) | instskip(SKIP_3) | instid1(SALU_CYCLE_1)
	s_xor_b32 s15, s15, -1
	v_add_nc_u32_e32 v17, 0x1000, v17
	v_add_nc_u32_e32 v15, 0x800, v15
	s_and_b32 s15, exec_lo, s15
	s_or_b32 s16, s15, s16
	s_waitcnt lgkmcnt(0)
	v_add_nc_u32_e32 v6, v2, v6
	s_and_not1_b32 exec_lo, exec_lo, s16
	s_cbranch_execz .LBB31_87
.LBB31_53:                              ; =>This Inner Loop Header: Depth=1
	ds_load_b32 v7, v15
	ds_load_b64 v[2:3], v17
	s_waitcnt lgkmcnt(0)
	s_barrier
	buffer_gl0_inv
	v_cmp_gt_i32_e64 s15, s33, v7
	s_delay_alu instid0(VALU_DEP_1) | instskip(NEXT) | instid1(SALU_CYCLE_1)
	s_bcnt1_i32_b32 s17, s15
	v_dual_mov_b32 v9, s17 :: v_dual_and_b32 v8, s15, v1
	s_delay_alu instid0(VALU_DEP_1)
	v_bcnt_u32_b32 v8, v8, 0
	ds_store_b32 v4, v9 offset:12288
	s_waitcnt lgkmcnt(0)
	s_barrier
	buffer_gl0_inv
	s_and_saveexec_b32 s17, s0
	s_cbranch_execnz .LBB31_70
; %bb.54:                               ;   in Loop: Header=BB31_53 Depth=1
	s_or_b32 exec_lo, exec_lo, s17
	s_and_saveexec_b32 s17, s1
	s_cbranch_execnz .LBB31_71
.LBB31_55:                              ;   in Loop: Header=BB31_53 Depth=1
	s_or_b32 exec_lo, exec_lo, s17
	s_and_saveexec_b32 s17, s2
	s_cbranch_execnz .LBB31_72
.LBB31_56:                              ;   in Loop: Header=BB31_53 Depth=1
	s_or_b32 exec_lo, exec_lo, s17
	s_and_saveexec_b32 s17, s3
	s_cbranch_execnz .LBB31_73
.LBB31_57:                              ;   in Loop: Header=BB31_53 Depth=1
	s_or_b32 exec_lo, exec_lo, s17
	s_and_saveexec_b32 s17, s4
	s_cbranch_execnz .LBB31_74
.LBB31_58:                              ;   in Loop: Header=BB31_53 Depth=1
	s_or_b32 exec_lo, exec_lo, s17
	s_and_saveexec_b32 s17, s5
	s_cbranch_execnz .LBB31_75
.LBB31_59:                              ;   in Loop: Header=BB31_53 Depth=1
	s_or_b32 exec_lo, exec_lo, s17
	s_and_saveexec_b32 s17, s6
	s_cbranch_execnz .LBB31_76
.LBB31_60:                              ;   in Loop: Header=BB31_53 Depth=1
	s_or_b32 exec_lo, exec_lo, s17
	s_and_saveexec_b32 s17, s7
	s_cbranch_execnz .LBB31_77
.LBB31_61:                              ;   in Loop: Header=BB31_53 Depth=1
	s_or_b32 exec_lo, exec_lo, s17
	s_and_saveexec_b32 s17, s8
	s_cbranch_execnz .LBB31_78
.LBB31_62:                              ;   in Loop: Header=BB31_53 Depth=1
	s_or_b32 exec_lo, exec_lo, s17
	s_and_saveexec_b32 s17, s9
	s_cbranch_execnz .LBB31_79
.LBB31_63:                              ;   in Loop: Header=BB31_53 Depth=1
	s_or_b32 exec_lo, exec_lo, s17
	s_and_saveexec_b32 s17, s10
	s_cbranch_execnz .LBB31_80
.LBB31_64:                              ;   in Loop: Header=BB31_53 Depth=1
	s_or_b32 exec_lo, exec_lo, s17
	s_and_saveexec_b32 s17, s11
	s_cbranch_execnz .LBB31_81
.LBB31_65:                              ;   in Loop: Header=BB31_53 Depth=1
	s_or_b32 exec_lo, exec_lo, s17
	s_and_saveexec_b32 s17, s12
	s_cbranch_execnz .LBB31_82
.LBB31_66:                              ;   in Loop: Header=BB31_53 Depth=1
	s_or_b32 exec_lo, exec_lo, s17
	s_and_saveexec_b32 s17, s13
	s_cbranch_execnz .LBB31_83
.LBB31_67:                              ;   in Loop: Header=BB31_53 Depth=1
	s_or_b32 exec_lo, exec_lo, s17
	s_and_saveexec_b32 s17, s14
	s_cbranch_execnz .LBB31_84
.LBB31_68:                              ;   in Loop: Header=BB31_53 Depth=1
	s_or_b32 exec_lo, exec_lo, s17
	s_and_saveexec_b32 s17, s15
	s_cbranch_execnz .LBB31_85
.LBB31_69:                              ;   in Loop: Header=BB31_53 Depth=1
	s_or_b32 exec_lo, exec_lo, s17
	s_and_saveexec_b32 s15, vcc_lo
	s_cbranch_execz .LBB31_52
	s_branch .LBB31_86
.LBB31_70:                              ;   in Loop: Header=BB31_53 Depth=1
	ds_load_b32 v9, v5 offset:12288
	s_waitcnt lgkmcnt(0)
	v_add_nc_u32_e32 v8, v9, v8
	s_or_b32 exec_lo, exec_lo, s17
	s_and_saveexec_b32 s17, s1
	s_cbranch_execz .LBB31_55
.LBB31_71:                              ;   in Loop: Header=BB31_53 Depth=1
	ds_load_b32 v9, v5 offset:12292
	s_waitcnt lgkmcnt(0)
	v_add_nc_u32_e32 v8, v9, v8
	s_or_b32 exec_lo, exec_lo, s17
	s_and_saveexec_b32 s17, s2
	s_cbranch_execz .LBB31_56
.LBB31_72:                              ;   in Loop: Header=BB31_53 Depth=1
	ds_load_b32 v9, v5 offset:12296
	s_waitcnt lgkmcnt(0)
	v_add_nc_u32_e32 v8, v9, v8
	s_or_b32 exec_lo, exec_lo, s17
	s_and_saveexec_b32 s17, s3
	s_cbranch_execz .LBB31_57
.LBB31_73:                              ;   in Loop: Header=BB31_53 Depth=1
	ds_load_b32 v9, v5 offset:12300
	s_waitcnt lgkmcnt(0)
	v_add_nc_u32_e32 v8, v9, v8
	s_or_b32 exec_lo, exec_lo, s17
	s_and_saveexec_b32 s17, s4
	s_cbranch_execz .LBB31_58
.LBB31_74:                              ;   in Loop: Header=BB31_53 Depth=1
	ds_load_b32 v9, v5 offset:12304
	s_waitcnt lgkmcnt(0)
	v_add_nc_u32_e32 v8, v9, v8
	s_or_b32 exec_lo, exec_lo, s17
	s_and_saveexec_b32 s17, s5
	s_cbranch_execz .LBB31_59
.LBB31_75:                              ;   in Loop: Header=BB31_53 Depth=1
	ds_load_b32 v9, v5 offset:12308
	s_waitcnt lgkmcnt(0)
	v_add_nc_u32_e32 v8, v9, v8
	s_or_b32 exec_lo, exec_lo, s17
	s_and_saveexec_b32 s17, s6
	s_cbranch_execz .LBB31_60
.LBB31_76:                              ;   in Loop: Header=BB31_53 Depth=1
	ds_load_b32 v9, v5 offset:12312
	s_waitcnt lgkmcnt(0)
	v_add_nc_u32_e32 v8, v9, v8
	s_or_b32 exec_lo, exec_lo, s17
	s_and_saveexec_b32 s17, s7
	s_cbranch_execz .LBB31_61
.LBB31_77:                              ;   in Loop: Header=BB31_53 Depth=1
	ds_load_b32 v9, v5 offset:12316
	s_waitcnt lgkmcnt(0)
	v_add_nc_u32_e32 v8, v9, v8
	s_or_b32 exec_lo, exec_lo, s17
	s_and_saveexec_b32 s17, s8
	s_cbranch_execz .LBB31_62
.LBB31_78:                              ;   in Loop: Header=BB31_53 Depth=1
	ds_load_b32 v9, v5 offset:12320
	s_waitcnt lgkmcnt(0)
	v_add_nc_u32_e32 v8, v9, v8
	s_or_b32 exec_lo, exec_lo, s17
	s_and_saveexec_b32 s17, s9
	s_cbranch_execz .LBB31_63
.LBB31_79:                              ;   in Loop: Header=BB31_53 Depth=1
	ds_load_b32 v9, v5 offset:12324
	s_waitcnt lgkmcnt(0)
	v_add_nc_u32_e32 v8, v9, v8
	s_or_b32 exec_lo, exec_lo, s17
	s_and_saveexec_b32 s17, s10
	s_cbranch_execz .LBB31_64
.LBB31_80:                              ;   in Loop: Header=BB31_53 Depth=1
	ds_load_b32 v9, v5 offset:12328
	s_waitcnt lgkmcnt(0)
	v_add_nc_u32_e32 v8, v9, v8
	s_or_b32 exec_lo, exec_lo, s17
	s_and_saveexec_b32 s17, s11
	s_cbranch_execz .LBB31_65
.LBB31_81:                              ;   in Loop: Header=BB31_53 Depth=1
	ds_load_b32 v9, v5 offset:12332
	s_waitcnt lgkmcnt(0)
	v_add_nc_u32_e32 v8, v9, v8
	s_or_b32 exec_lo, exec_lo, s17
	s_and_saveexec_b32 s17, s12
	s_cbranch_execz .LBB31_66
.LBB31_82:                              ;   in Loop: Header=BB31_53 Depth=1
	ds_load_b32 v9, v5 offset:12336
	s_waitcnt lgkmcnt(0)
	v_add_nc_u32_e32 v8, v9, v8
	s_or_b32 exec_lo, exec_lo, s17
	s_and_saveexec_b32 s17, s13
	s_cbranch_execz .LBB31_67
.LBB31_83:                              ;   in Loop: Header=BB31_53 Depth=1
	ds_load_b32 v9, v5 offset:12340
	s_waitcnt lgkmcnt(0)
	v_add_nc_u32_e32 v8, v9, v8
	s_or_b32 exec_lo, exec_lo, s17
	s_and_saveexec_b32 s17, s14
	s_cbranch_execz .LBB31_68
.LBB31_84:                              ;   in Loop: Header=BB31_53 Depth=1
	ds_load_b32 v9, v5 offset:12344
	s_waitcnt lgkmcnt(0)
	v_add_nc_u32_e32 v8, v9, v8
	s_or_b32 exec_lo, exec_lo, s17
	s_and_saveexec_b32 s17, s15
	s_cbranch_execz .LBB31_69
.LBB31_85:                              ;   in Loop: Header=BB31_53 Depth=1
	s_delay_alu instid0(VALU_DEP_1) | instskip(NEXT) | instid1(VALU_DEP_1)
	v_add3_u32 v9, v6, -1, v8
	v_lshl_add_u32 v10, v9, 2, 0
	v_lshl_add_u32 v9, v9, 3, 0
	ds_store_b32 v10, v7
	ds_store_b64 v9, v[2:3] offset:4096
	s_or_b32 exec_lo, exec_lo, s17
	s_and_saveexec_b32 s15, vcc_lo
	s_cbranch_execz .LBB31_52
.LBB31_86:                              ;   in Loop: Header=BB31_53 Depth=1
	ds_store_b32 v5, v8 offset:12348
	s_branch .LBB31_52
.LBB31_87:
	s_or_b32 exec_lo, exec_lo, s16
	s_ashr_i32 s35, s34, 31
	s_mov_b32 s3, exec_lo
	s_lshl_b64 s[0:1], s[34:35], 2
	s_delay_alu instid0(SALU_CYCLE_1) | instskip(SKIP_4) | instid1(SALU_CYCLE_1)
	s_add_u32 s0, s22, s0
	s_addc_u32 s1, s23, s1
	s_load_b64 s[0:1], s[0:1], 0x0
	s_waitcnt lgkmcnt(0)
	s_sub_i32 s2, s1, s0
	v_cmpx_gt_i32_e64 s2, v0
	s_cbranch_execz .LBB31_97
; %bb.88:
	s_sub_i32 s3, s0, s26
	s_sub_i32 s0, s0, s1
	s_and_b32 s1, s2, 7
	s_cmp_lt_u32 s0, -7
	s_mov_b32 s7, 0
	s_cselect_b32 s4, -1, 0
	s_and_b32 s5, s2, -8
	s_cmp_lg_u32 s1, 0
	s_cselect_b32 s6, -1, 0
	s_branch .LBB31_90
.LBB31_89:                              ;   in Loop: Header=BB31_90 Depth=1
	s_delay_alu instid0(VALU_DEP_1) | instskip(SKIP_3) | instid1(VALU_DEP_3)
	v_ashrrev_i32_e32 v4, 31, v3
	v_add_nc_u32_e32 v0, 0x200, v0
	s_waitcnt lgkmcnt(1)
	v_add_nc_u32_e32 v8, s26, v5
	v_lshlrev_b64 v[6:7], 2, v[3:4]
	v_lshlrev_b64 v[3:4], 3, v[3:4]
	v_cmp_le_i32_e32 vcc_lo, s2, v0
	s_delay_alu instid0(VALU_DEP_3) | instskip(NEXT) | instid1(VALU_DEP_1)
	v_add_co_u32 v5, s0, s28, v6
	v_add_co_ci_u32_e64 v6, s0, s29, v7, s0
	s_delay_alu instid0(VALU_DEP_4) | instskip(NEXT) | instid1(VALU_DEP_1)
	v_add_co_u32 v3, s0, s30, v3
	v_add_co_ci_u32_e64 v4, s0, s31, v4, s0
	s_or_b32 s7, vcc_lo, s7
	global_store_b32 v[5:6], v8, off
	s_waitcnt lgkmcnt(0)
	global_store_b64 v[3:4], v[1:2], off
	s_and_not1_b32 exec_lo, exec_lo, s7
	s_cbranch_execz .LBB31_97
.LBB31_90:                              ; =>This Loop Header: Depth=1
                                        ;     Child Loop BB31_92 Depth 2
                                        ;     Child Loop BB31_96 Depth 2
	v_lshlrev_b32_e32 v1, 2, v0
	s_and_not1_b32 vcc_lo, exec_lo, s4
	s_mov_b32 s0, 0
	s_delay_alu instid0(VALU_DEP_1) | instskip(NEXT) | instid1(VALU_DEP_1)
	v_dual_mov_b32 v3, s3 :: v_dual_add_nc_u32 v2, 0, v1
	v_add_nc_u32_e32 v1, v2, v1
	ds_load_b32 v5, v2
	ds_load_b64 v[1:2], v1 offset:4096
	s_cbranch_vccnz .LBB31_94
; %bb.91:                               ;   in Loop: Header=BB31_90 Depth=1
	v_mov_b32_e32 v3, s3
	s_mov_b32 s8, 0
	s_set_inst_prefetch_distance 0x1
	.p2align	6
.LBB31_92:                              ;   Parent Loop BB31_90 Depth=1
                                        ; =>  This Inner Loop Header: Depth=2
	v_mov_b32_e32 v4, s8
	s_add_i32 s0, s0, 8
	s_add_i32 s8, s8, 32
	s_cmp_eq_u32 s5, s0
	ds_load_2addr_b32 v[6:7], v4 offset1:1
	ds_load_2addr_b32 v[8:9], v4 offset0:2 offset1:3
	ds_load_2addr_b32 v[10:11], v4 offset0:4 offset1:5
	;; [unrolled: 1-line block ×3, first 2 shown]
	s_waitcnt lgkmcnt(3)
	v_cmp_gt_i32_e32 vcc_lo, v5, v6
	v_cndmask_b32_e64 v4, 0, 1, vcc_lo
	s_waitcnt lgkmcnt(2)
	v_cmp_gt_i32_e32 vcc_lo, v5, v8
	v_cndmask_b32_e64 v6, 0, 1, vcc_lo
	v_cmp_gt_i32_e32 vcc_lo, v5, v7
	v_add_co_ci_u32_e32 v3, vcc_lo, v3, v4, vcc_lo
	s_waitcnt lgkmcnt(1)
	v_cmp_gt_i32_e32 vcc_lo, v5, v10
	v_cndmask_b32_e64 v4, 0, 1, vcc_lo
	v_cmp_gt_i32_e32 vcc_lo, v5, v9
	v_add_co_ci_u32_e32 v3, vcc_lo, v3, v6, vcc_lo
	;; [unrolled: 5-line block ×3, first 2 shown]
	v_cmp_gt_i32_e32 vcc_lo, v5, v13
	s_delay_alu instid0(VALU_DEP_2)
	v_add_co_ci_u32_e32 v3, vcc_lo, v3, v6, vcc_lo
	s_cbranch_scc0 .LBB31_92
; %bb.93:                               ;   in Loop: Header=BB31_90 Depth=1
	s_set_inst_prefetch_distance 0x2
	s_mov_b32 s0, s5
.LBB31_94:                              ;   in Loop: Header=BB31_90 Depth=1
	s_and_not1_b32 vcc_lo, exec_lo, s6
	s_cbranch_vccnz .LBB31_89
; %bb.95:                               ;   in Loop: Header=BB31_90 Depth=1
	s_lshl_b32 s0, s0, 2
	s_mov_b32 s8, s1
	s_add_i32 s0, s0, 0
.LBB31_96:                              ;   Parent Loop BB31_90 Depth=1
                                        ; =>  This Inner Loop Header: Depth=2
	s_delay_alu instid0(SALU_CYCLE_1)
	v_mov_b32_e32 v4, s0
	s_add_i32 s8, s8, -1
	s_add_i32 s0, s0, 4
	s_cmp_lg_u32 s8, 0
	ds_load_b32 v4, v4
	s_waitcnt lgkmcnt(0)
	v_cmp_gt_i32_e32 vcc_lo, v5, v4
	v_add_co_ci_u32_e32 v3, vcc_lo, 0, v3, vcc_lo
	s_cbranch_scc1 .LBB31_96
	s_branch .LBB31_89
.LBB31_97:
	s_nop 0
	s_sendmsg sendmsg(MSG_DEALLOC_VGPRS)
	s_endpgm
	.section	.rodata,"a",@progbits
	.p2align	6, 0x0
	.amdhsa_kernel _ZN9rocsparseL26csrgemm_fill_block_per_rowILj512ELj32ELj1024ELj137ELj32EiidEEvT5_PKS1_S3_NS_24const_host_device_scalarIT6_EEPKT4_S3_PKS5_S9_S3_SB_S6_S9_S3_SB_S9_PS1_PS5_21rocsparse_index_base_SE_SE_SE_bbb
		.amdhsa_group_segment_fixed_size 0
		.amdhsa_private_segment_fixed_size 0
		.amdhsa_kernarg_size 156
		.amdhsa_user_sgpr_count 15
		.amdhsa_user_sgpr_dispatch_ptr 0
		.amdhsa_user_sgpr_queue_ptr 0
		.amdhsa_user_sgpr_kernarg_segment_ptr 1
		.amdhsa_user_sgpr_dispatch_id 0
		.amdhsa_user_sgpr_private_segment_size 0
		.amdhsa_wavefront_size32 1
		.amdhsa_uses_dynamic_stack 0
		.amdhsa_enable_private_segment 0
		.amdhsa_system_sgpr_workgroup_id_x 1
		.amdhsa_system_sgpr_workgroup_id_y 0
		.amdhsa_system_sgpr_workgroup_id_z 0
		.amdhsa_system_sgpr_workgroup_info 0
		.amdhsa_system_vgpr_workitem_id 0
		.amdhsa_next_free_vgpr 24
		.amdhsa_next_free_sgpr 44
		.amdhsa_reserve_vcc 1
		.amdhsa_float_round_mode_32 0
		.amdhsa_float_round_mode_16_64 0
		.amdhsa_float_denorm_mode_32 3
		.amdhsa_float_denorm_mode_16_64 3
		.amdhsa_dx10_clamp 1
		.amdhsa_ieee_mode 1
		.amdhsa_fp16_overflow 0
		.amdhsa_workgroup_processor_mode 1
		.amdhsa_memory_ordered 1
		.amdhsa_forward_progress 0
		.amdhsa_shared_vgpr_count 0
		.amdhsa_exception_fp_ieee_invalid_op 0
		.amdhsa_exception_fp_denorm_src 0
		.amdhsa_exception_fp_ieee_div_zero 0
		.amdhsa_exception_fp_ieee_overflow 0
		.amdhsa_exception_fp_ieee_underflow 0
		.amdhsa_exception_fp_ieee_inexact 0
		.amdhsa_exception_int_div_zero 0
	.end_amdhsa_kernel
	.section	.text._ZN9rocsparseL26csrgemm_fill_block_per_rowILj512ELj32ELj1024ELj137ELj32EiidEEvT5_PKS1_S3_NS_24const_host_device_scalarIT6_EEPKT4_S3_PKS5_S9_S3_SB_S6_S9_S3_SB_S9_PS1_PS5_21rocsparse_index_base_SE_SE_SE_bbb,"axG",@progbits,_ZN9rocsparseL26csrgemm_fill_block_per_rowILj512ELj32ELj1024ELj137ELj32EiidEEvT5_PKS1_S3_NS_24const_host_device_scalarIT6_EEPKT4_S3_PKS5_S9_S3_SB_S6_S9_S3_SB_S9_PS1_PS5_21rocsparse_index_base_SE_SE_SE_bbb,comdat
.Lfunc_end31:
	.size	_ZN9rocsparseL26csrgemm_fill_block_per_rowILj512ELj32ELj1024ELj137ELj32EiidEEvT5_PKS1_S3_NS_24const_host_device_scalarIT6_EEPKT4_S3_PKS5_S9_S3_SB_S6_S9_S3_SB_S9_PS1_PS5_21rocsparse_index_base_SE_SE_SE_bbb, .Lfunc_end31-_ZN9rocsparseL26csrgemm_fill_block_per_rowILj512ELj32ELj1024ELj137ELj32EiidEEvT5_PKS1_S3_NS_24const_host_device_scalarIT6_EEPKT4_S3_PKS5_S9_S3_SB_S6_S9_S3_SB_S9_PS1_PS5_21rocsparse_index_base_SE_SE_SE_bbb
                                        ; -- End function
	.section	.AMDGPU.csdata,"",@progbits
; Kernel info:
; codeLenInByte = 3524
; NumSgprs: 46
; NumVgprs: 24
; ScratchSize: 0
; MemoryBound: 0
; FloatMode: 240
; IeeeMode: 1
; LDSByteSize: 0 bytes/workgroup (compile time only)
; SGPRBlocks: 5
; VGPRBlocks: 2
; NumSGPRsForWavesPerEU: 46
; NumVGPRsForWavesPerEU: 24
; Occupancy: 16
; WaveLimiterHint : 1
; COMPUTE_PGM_RSRC2:SCRATCH_EN: 0
; COMPUTE_PGM_RSRC2:USER_SGPR: 15
; COMPUTE_PGM_RSRC2:TRAP_HANDLER: 0
; COMPUTE_PGM_RSRC2:TGID_X_EN: 1
; COMPUTE_PGM_RSRC2:TGID_Y_EN: 0
; COMPUTE_PGM_RSRC2:TGID_Z_EN: 0
; COMPUTE_PGM_RSRC2:TIDIG_COMP_CNT: 0
	.section	.text._ZN9rocsparseL26csrgemm_fill_block_per_rowILj512ELj32ELj1024ELj137ELj64EiidEEvT5_PKS1_S3_NS_24const_host_device_scalarIT6_EEPKT4_S3_PKS5_S9_S3_SB_S6_S9_S3_SB_S9_PS1_PS5_21rocsparse_index_base_SE_SE_SE_bbb,"axG",@progbits,_ZN9rocsparseL26csrgemm_fill_block_per_rowILj512ELj32ELj1024ELj137ELj64EiidEEvT5_PKS1_S3_NS_24const_host_device_scalarIT6_EEPKT4_S3_PKS5_S9_S3_SB_S6_S9_S3_SB_S9_PS1_PS5_21rocsparse_index_base_SE_SE_SE_bbb,comdat
	.globl	_ZN9rocsparseL26csrgemm_fill_block_per_rowILj512ELj32ELj1024ELj137ELj64EiidEEvT5_PKS1_S3_NS_24const_host_device_scalarIT6_EEPKT4_S3_PKS5_S9_S3_SB_S6_S9_S3_SB_S9_PS1_PS5_21rocsparse_index_base_SE_SE_SE_bbb ; -- Begin function _ZN9rocsparseL26csrgemm_fill_block_per_rowILj512ELj32ELj1024ELj137ELj64EiidEEvT5_PKS1_S3_NS_24const_host_device_scalarIT6_EEPKT4_S3_PKS5_S9_S3_SB_S6_S9_S3_SB_S9_PS1_PS5_21rocsparse_index_base_SE_SE_SE_bbb
	.p2align	8
	.type	_ZN9rocsparseL26csrgemm_fill_block_per_rowILj512ELj32ELj1024ELj137ELj64EiidEEvT5_PKS1_S3_NS_24const_host_device_scalarIT6_EEPKT4_S3_PKS5_S9_S3_SB_S6_S9_S3_SB_S9_PS1_PS5_21rocsparse_index_base_SE_SE_SE_bbb,@function
_ZN9rocsparseL26csrgemm_fill_block_per_rowILj512ELj32ELj1024ELj137ELj64EiidEEvT5_PKS1_S3_NS_24const_host_device_scalarIT6_EEPKT4_S3_PKS5_S9_S3_SB_S6_S9_S3_SB_S9_PS1_PS5_21rocsparse_index_base_SE_SE_SE_bbb: ; @_ZN9rocsparseL26csrgemm_fill_block_per_rowILj512ELj32ELj1024ELj137ELj64EiidEEvT5_PKS1_S3_NS_24const_host_device_scalarIT6_EEPKT4_S3_PKS5_S9_S3_SB_S6_S9_S3_SB_S9_PS1_PS5_21rocsparse_index_base_SE_SE_SE_bbb
; %bb.0:
	s_clause 0x3
	s_load_b32 s12, s[0:1], 0x98
	s_load_b64 s[4:5], s[0:1], 0x18
	s_load_b128 s[24:27], s[0:1], 0x88
	s_load_b64 s[2:3], s[0:1], 0x50
	s_waitcnt lgkmcnt(0)
	s_and_b32 s6, 1, s12
	s_bitcmp1_b32 s12, 16
	s_cselect_b32 s14, -1, 0
	s_cmp_eq_u32 s6, 1
	s_cselect_b32 s13, -1, 0
	s_delay_alu instid0(SALU_CYCLE_1)
	s_and_b32 s6, s13, exec_lo
	s_cselect_b32 s7, s5, 0
	s_cselect_b32 s6, s4, 0
	s_xor_b32 s8, s13, -1
	v_dual_mov_b32 v3, s6 :: v_dual_mov_b32 v4, s7
	s_or_b32 s8, s8, s14
	s_delay_alu instid0(SALU_CYCLE_1)
	s_and_b32 vcc_lo, exec_lo, s8
	s_cbranch_vccnz .LBB32_2
; %bb.1:
	v_dual_mov_b32 v1, s4 :: v_dual_mov_b32 v2, s5
	flat_load_b64 v[3:4], v[1:2]
.LBB32_2:
	s_clause 0x4
	s_load_b128 s[28:31], s[0:1], 0x78
	s_load_b256 s[4:11], s[0:1], 0x58
	s_load_b128 s[36:39], s[0:1], 0x40
	s_load_b128 s[40:43], s[0:1], 0x8
	s_load_b256 s[16:23], s[0:1], 0x20
	s_bitcmp1_b32 s12, 8
	s_cselect_b32 s33, -1, 0
	s_delay_alu instid0(SALU_CYCLE_1)
	s_and_b32 s12, s33, exec_lo
	s_cselect_b32 s35, s3, 0
	s_cselect_b32 s34, s2, 0
	s_xor_b32 s12, s33, -1
	v_dual_mov_b32 v1, s34 :: v_dual_mov_b32 v2, s35
	s_or_b32 s12, s12, s14
	s_delay_alu instid0(SALU_CYCLE_1)
	s_and_b32 vcc_lo, exec_lo, s12
	s_cbranch_vccnz .LBB32_4
; %bb.3:
	v_dual_mov_b32 v1, s2 :: v_dual_mov_b32 v2, s3
	flat_load_b64 v[1:2], v[1:2]
.LBB32_4:
	s_load_b32 s14, s[0:1], 0x0
	v_dual_mov_b32 v5, 0 :: v_dual_lshlrev_b32 v6, 3, v0
	v_lshl_add_u32 v15, v0, 2, 0
	v_or_b32_e32 v16, 0xfffffe00, v0
	s_mov_b32 s0, 0
	s_delay_alu instid0(VALU_DEP_3) | instskip(NEXT) | instid1(VALU_DEP_3)
	v_add3_u32 v17, v6, 0, 0x1000
	v_dual_mov_b32 v6, v5 :: v_dual_mov_b32 v7, v15
	s_delay_alu instid0(VALU_DEP_3) | instskip(SKIP_1) | instid1(VALU_DEP_3)
	v_mov_b32_e32 v8, v16
	s_waitcnt lgkmcnt(0)
	v_dual_mov_b32 v10, v17 :: v_dual_mov_b32 v9, s14
.LBB32_5:                               ; =>This Inner Loop Header: Depth=1
	s_delay_alu instid0(VALU_DEP_2) | instskip(NEXT) | instid1(VALU_DEP_1)
	v_add_co_u32 v8, s1, 0x200, v8
	s_xor_b32 s1, s1, -1
	ds_store_b32 v7, v9
	ds_store_b64 v10, v[5:6]
	v_add_nc_u32_e32 v10, 0x1000, v10
	v_add_nc_u32_e32 v7, 0x800, v7
	s_and_b32 s1, exec_lo, s1
	s_delay_alu instid0(SALU_CYCLE_1) | instskip(NEXT) | instid1(SALU_CYCLE_1)
	s_or_b32 s0, s1, s0
	s_and_not1_b32 exec_lo, exec_lo, s0
	s_cbranch_execnz .LBB32_5
; %bb.6:
	s_or_b32 exec_lo, exec_lo, s0
	s_waitcnt vmcnt(0) lgkmcnt(0)
	s_barrier
	buffer_gl0_inv
	s_load_b32 s0, s[40:41], 0x0
	s_mov_b32 s1, 0
	s_waitcnt lgkmcnt(0)
	s_add_i32 s0, s0, s15
	s_delay_alu instid0(SALU_CYCLE_1) | instskip(NEXT) | instid1(SALU_CYCLE_1)
	s_lshl_b64 s[0:1], s[0:1], 2
	s_add_u32 s0, s42, s0
	s_addc_u32 s1, s43, s1
	s_and_b32 vcc_lo, exec_lo, s13
	s_load_b32 s12, s[0:1], 0x0
	s_cbranch_vccz .LBB32_30
; %bb.7:
	s_waitcnt lgkmcnt(0)
	s_ashr_i32 s13, s12, 31
	v_lshrrev_b32_e32 v5, 5, v0
	s_lshl_b64 s[0:1], s[12:13], 2
	s_delay_alu instid0(SALU_CYCLE_1) | instskip(SKIP_1) | instid1(VALU_DEP_1)
	s_add_u32 s0, s16, s0
	s_addc_u32 s1, s17, s1
	v_subrev_nc_u32_e32 v5, s24, v5
	s_load_b64 s[0:1], s[0:1], 0x0
	s_waitcnt lgkmcnt(0)
	s_delay_alu instid0(VALU_DEP_1) | instskip(SKIP_2) | instid1(VALU_DEP_1)
	v_add_nc_u32_e32 v5, s0, v5
	s_sub_i32 s0, s1, s24
	s_mov_b32 s1, exec_lo
	v_cmpx_gt_i32_e64 s0, v5
	s_cbranch_execz .LBB32_29
; %bb.8:
	v_and_b32_e32 v6, 31, v0
	s_mov_b32 s2, 0
	s_delay_alu instid0(VALU_DEP_1)
	v_subrev_nc_u32_e32 v18, s25, v6
	s_branch .LBB32_10
.LBB32_9:                               ;   in Loop: Header=BB32_10 Depth=1
	s_or_b32 exec_lo, exec_lo, s3
	v_add_nc_u32_e32 v5, 16, v5
	s_delay_alu instid0(VALU_DEP_1) | instskip(SKIP_1) | instid1(SALU_CYCLE_1)
	v_cmp_le_i32_e32 vcc_lo, s0, v5
	s_or_b32 s2, vcc_lo, s2
	s_and_not1_b32 exec_lo, exec_lo, s2
	s_cbranch_execz .LBB32_29
.LBB32_10:                              ; =>This Loop Header: Depth=1
                                        ;     Child Loop BB32_13 Depth 2
                                        ;       Child Loop BB32_15 Depth 3
                                        ;         Child Loop BB32_21 Depth 4
                                        ;         Child Loop BB32_27 Depth 4
	v_ashrrev_i32_e32 v6, 31, v5
	s_mov_b32 s3, exec_lo
	s_delay_alu instid0(VALU_DEP_1) | instskip(NEXT) | instid1(VALU_DEP_1)
	v_lshlrev_b64 v[7:8], 2, v[5:6]
	v_add_co_u32 v7, vcc_lo, s18, v7
	s_delay_alu instid0(VALU_DEP_2) | instskip(SKIP_3) | instid1(VALU_DEP_1)
	v_add_co_ci_u32_e32 v8, vcc_lo, s19, v8, vcc_lo
	global_load_b32 v7, v[7:8], off
	s_waitcnt vmcnt(0)
	v_subrev_nc_u32_e32 v7, s24, v7
	v_ashrrev_i32_e32 v8, 31, v7
	s_delay_alu instid0(VALU_DEP_1) | instskip(NEXT) | instid1(VALU_DEP_1)
	v_lshlrev_b64 v[7:8], 2, v[7:8]
	v_add_co_u32 v7, vcc_lo, s22, v7
	s_delay_alu instid0(VALU_DEP_2) | instskip(SKIP_4) | instid1(VALU_DEP_1)
	v_add_co_ci_u32_e32 v8, vcc_lo, s23, v8, vcc_lo
	global_load_b64 v[7:8], v[7:8], off
	s_waitcnt vmcnt(0)
	v_subrev_nc_u32_e32 v19, s25, v8
	v_add_nc_u32_e32 v7, v7, v18
	v_cmpx_lt_i32_e64 v7, v19
	s_cbranch_execz .LBB32_9
; %bb.11:                               ;   in Loop: Header=BB32_10 Depth=1
	v_lshlrev_b64 v[8:9], 3, v[5:6]
	s_mov_b32 s13, 0
	s_delay_alu instid0(VALU_DEP_1) | instskip(NEXT) | instid1(VALU_DEP_2)
	v_add_co_u32 v8, vcc_lo, s20, v8
	v_add_co_ci_u32_e32 v9, vcc_lo, s21, v9, vcc_lo
	global_load_b64 v[8:9], v[8:9], off
	s_waitcnt vmcnt(0)
	v_mul_f64 v[9:10], v[3:4], v[8:9]
	s_branch .LBB32_13
.LBB32_12:                              ;   in Loop: Header=BB32_13 Depth=2
	s_or_b32 exec_lo, exec_lo, s15
	v_add_nc_u32_e32 v7, 32, v7
	s_delay_alu instid0(VALU_DEP_1) | instskip(SKIP_1) | instid1(SALU_CYCLE_1)
	v_cmp_ge_i32_e32 vcc_lo, v7, v19
	s_or_b32 s13, vcc_lo, s13
	s_and_not1_b32 exec_lo, exec_lo, s13
	s_cbranch_execz .LBB32_9
.LBB32_13:                              ;   Parent Loop BB32_10 Depth=1
                                        ; =>  This Loop Header: Depth=2
                                        ;       Child Loop BB32_15 Depth 3
                                        ;         Child Loop BB32_21 Depth 4
                                        ;         Child Loop BB32_27 Depth 4
	v_ashrrev_i32_e32 v8, 31, v7
	s_mov_b32 s15, 0
	s_delay_alu instid0(VALU_DEP_1) | instskip(SKIP_1) | instid1(VALU_DEP_2)
	v_lshlrev_b64 v[11:12], 3, v[7:8]
	v_lshlrev_b64 v[13:14], 2, v[7:8]
	v_add_co_u32 v11, vcc_lo, s38, v11
	s_delay_alu instid0(VALU_DEP_3) | instskip(NEXT) | instid1(VALU_DEP_3)
	v_add_co_ci_u32_e32 v12, vcc_lo, s39, v12, vcc_lo
	v_add_co_u32 v13, vcc_lo, s36, v13
	s_delay_alu instid0(VALU_DEP_4)
	v_add_co_ci_u32_e32 v14, vcc_lo, s37, v14, vcc_lo
	global_load_b64 v[11:12], v[11:12], off
	global_load_b32 v6, v[13:14], off
	s_waitcnt vmcnt(1)
	v_mul_f64 v[11:12], v[9:10], v[11:12]
	s_waitcnt vmcnt(0)
	v_subrev_nc_u32_e32 v6, s25, v6
	s_delay_alu instid0(VALU_DEP_1) | instskip(NEXT) | instid1(VALU_DEP_1)
	v_mul_lo_u32 v8, 0x89, v6
	v_and_b32_e32 v8, 0x3ff, v8
	s_branch .LBB32_15
.LBB32_14:                              ;   in Loop: Header=BB32_15 Depth=3
	s_or_b32 exec_lo, exec_lo, s16
	s_xor_b32 s16, s17, -1
	s_delay_alu instid0(SALU_CYCLE_1) | instskip(NEXT) | instid1(SALU_CYCLE_1)
	s_and_b32 s16, exec_lo, s16
	s_or_b32 s15, s16, s15
	s_delay_alu instid0(SALU_CYCLE_1)
	s_and_not1_b32 exec_lo, exec_lo, s15
	s_cbranch_execz .LBB32_12
.LBB32_15:                              ;   Parent Loop BB32_10 Depth=1
                                        ;     Parent Loop BB32_13 Depth=2
                                        ; =>    This Loop Header: Depth=3
                                        ;         Child Loop BB32_21 Depth 4
                                        ;         Child Loop BB32_27 Depth 4
	s_delay_alu instid0(VALU_DEP_1)
	v_lshl_add_u32 v13, v8, 2, 0
	s_mov_b32 s16, exec_lo
                                        ; implicit-def: $sgpr17
	ds_load_b32 v14, v13
	s_waitcnt lgkmcnt(0)
	v_cmpx_ne_u32_e64 v14, v6
	s_xor_b32 s16, exec_lo, s16
	s_cbranch_execz .LBB32_25
; %bb.16:                               ;   in Loop: Header=BB32_15 Depth=3
	s_mov_b32 s34, exec_lo
                                        ; implicit-def: $sgpr17
	v_cmpx_ne_u32_e64 s14, v14
	s_xor_b32 s34, exec_lo, s34
; %bb.17:                               ;   in Loop: Header=BB32_15 Depth=3
	v_add_nc_u32_e32 v8, 1, v8
	s_mov_b32 s17, -1
                                        ; implicit-def: $vgpr13
	s_delay_alu instid0(VALU_DEP_1)
	v_and_b32_e32 v8, 0x3ff, v8
; %bb.18:                               ;   in Loop: Header=BB32_15 Depth=3
	s_and_not1_saveexec_b32 s34, s34
	s_cbranch_execz .LBB32_24
; %bb.19:                               ;   in Loop: Header=BB32_15 Depth=3
	v_mov_b32_e32 v14, s14
	s_mov_b32 s40, -1
	s_mov_b32 s35, exec_lo
	ds_cmpstore_rtn_b32 v14, v13, v6, v14
	s_waitcnt lgkmcnt(0)
	v_cmpx_eq_u32_e64 s14, v14
	s_cbranch_execz .LBB32_23
; %bb.20:                               ;   in Loop: Header=BB32_15 Depth=3
	v_lshlrev_b32_e32 v14, 2, v8
	s_mov_b32 s40, 0
	s_delay_alu instid0(VALU_DEP_1)
	v_add_nc_u32_e32 v20, v13, v14
	ds_load_b64 v[13:14], v20 offset:4096
.LBB32_21:                              ;   Parent Loop BB32_10 Depth=1
                                        ;     Parent Loop BB32_13 Depth=2
                                        ;       Parent Loop BB32_15 Depth=3
                                        ; =>      This Inner Loop Header: Depth=4
	s_waitcnt lgkmcnt(0)
	v_add_f64 v[21:22], v[13:14], v[11:12]
	ds_cmpstore_rtn_b64 v[21:22], v20, v[21:22], v[13:14] offset:4096
	s_waitcnt lgkmcnt(0)
	v_cmp_eq_u64_e32 vcc_lo, v[21:22], v[13:14]
	v_dual_mov_b32 v13, v21 :: v_dual_mov_b32 v14, v22
	s_or_b32 s40, vcc_lo, s40
	s_delay_alu instid0(SALU_CYCLE_1)
	s_and_not1_b32 exec_lo, exec_lo, s40
	s_cbranch_execnz .LBB32_21
; %bb.22:                               ;   in Loop: Header=BB32_15 Depth=3
	s_or_b32 exec_lo, exec_lo, s40
	s_delay_alu instid0(SALU_CYCLE_1)
	s_xor_b32 s40, exec_lo, -1
.LBB32_23:                              ;   in Loop: Header=BB32_15 Depth=3
	s_or_b32 exec_lo, exec_lo, s35
	s_delay_alu instid0(SALU_CYCLE_1) | instskip(SKIP_1) | instid1(SALU_CYCLE_1)
	s_and_not1_b32 s17, s17, exec_lo
	s_and_b32 s35, s40, exec_lo
	s_or_b32 s17, s17, s35
.LBB32_24:                              ;   in Loop: Header=BB32_15 Depth=3
	s_or_b32 exec_lo, exec_lo, s34
	s_delay_alu instid0(SALU_CYCLE_1)
	s_and_b32 s17, s17, exec_lo
                                        ; implicit-def: $vgpr13
.LBB32_25:                              ;   in Loop: Header=BB32_15 Depth=3
	s_and_not1_saveexec_b32 s16, s16
	s_cbranch_execz .LBB32_14
; %bb.26:                               ;   in Loop: Header=BB32_15 Depth=3
	v_lshlrev_b32_e32 v14, 2, v8
	s_mov_b32 s34, 0
	s_delay_alu instid0(VALU_DEP_1)
	v_add_nc_u32_e32 v20, v13, v14
	ds_load_b64 v[13:14], v20 offset:4096
.LBB32_27:                              ;   Parent Loop BB32_10 Depth=1
                                        ;     Parent Loop BB32_13 Depth=2
                                        ;       Parent Loop BB32_15 Depth=3
                                        ; =>      This Inner Loop Header: Depth=4
	s_waitcnt lgkmcnt(0)
	v_add_f64 v[21:22], v[13:14], v[11:12]
	ds_cmpstore_rtn_b64 v[21:22], v20, v[21:22], v[13:14] offset:4096
	s_waitcnt lgkmcnt(0)
	v_cmp_eq_u64_e32 vcc_lo, v[21:22], v[13:14]
	v_dual_mov_b32 v13, v21 :: v_dual_mov_b32 v14, v22
	s_or_b32 s34, vcc_lo, s34
	s_delay_alu instid0(SALU_CYCLE_1)
	s_and_not1_b32 exec_lo, exec_lo, s34
	s_cbranch_execnz .LBB32_27
; %bb.28:                               ;   in Loop: Header=BB32_15 Depth=3
	s_or_b32 exec_lo, exec_lo, s34
	s_delay_alu instid0(SALU_CYCLE_1)
	s_and_not1_b32 s17, s17, exec_lo
	s_branch .LBB32_14
.LBB32_29:
	s_or_b32 exec_lo, exec_lo, s1
.LBB32_30:
	s_delay_alu instid0(SALU_CYCLE_1)
	s_and_not1_b32 vcc_lo, exec_lo, s33
	s_cbranch_vccnz .LBB32_51
; %bb.31:
	s_waitcnt lgkmcnt(0)
	s_ashr_i32 s13, s12, 31
	v_subrev_nc_u32_e32 v3, s27, v0
	s_lshl_b64 s[0:1], s[12:13], 2
	s_delay_alu instid0(SALU_CYCLE_1)
	s_add_u32 s0, s4, s0
	s_addc_u32 s1, s5, s1
	s_load_b64 s[0:1], s[0:1], 0x0
	s_waitcnt lgkmcnt(0)
	v_add_nc_u32_e32 v3, s0, v3
	s_sub_i32 s0, s1, s27
	s_mov_b32 s1, exec_lo
	s_delay_alu instid0(VALU_DEP_1)
	v_cmpx_gt_i32_e64 s0, v3
	s_cbranch_execz .LBB32_50
; %bb.32:
	s_mov_b32 s2, 0
	s_branch .LBB32_34
.LBB32_33:                              ;   in Loop: Header=BB32_34 Depth=1
	s_or_b32 exec_lo, exec_lo, s3
	v_add_nc_u32_e32 v3, 0x200, v3
	s_delay_alu instid0(VALU_DEP_1) | instskip(SKIP_1) | instid1(SALU_CYCLE_1)
	v_cmp_le_i32_e32 vcc_lo, s0, v3
	s_or_b32 s2, vcc_lo, s2
	s_and_not1_b32 exec_lo, exec_lo, s2
	s_cbranch_execz .LBB32_50
.LBB32_34:                              ; =>This Loop Header: Depth=1
                                        ;     Child Loop BB32_36 Depth 2
                                        ;       Child Loop BB32_42 Depth 3
                                        ;       Child Loop BB32_48 Depth 3
	v_ashrrev_i32_e32 v4, 31, v3
	s_mov_b32 s3, 0
	s_delay_alu instid0(VALU_DEP_1) | instskip(SKIP_1) | instid1(VALU_DEP_2)
	v_lshlrev_b64 v[5:6], 3, v[3:4]
	v_lshlrev_b64 v[7:8], 2, v[3:4]
	v_add_co_u32 v5, vcc_lo, s8, v5
	s_delay_alu instid0(VALU_DEP_3) | instskip(NEXT) | instid1(VALU_DEP_3)
	v_add_co_ci_u32_e32 v6, vcc_lo, s9, v6, vcc_lo
	v_add_co_u32 v7, vcc_lo, s6, v7
	s_delay_alu instid0(VALU_DEP_4)
	v_add_co_ci_u32_e32 v8, vcc_lo, s7, v8, vcc_lo
	global_load_b64 v[5:6], v[5:6], off
	global_load_b32 v7, v[7:8], off
	s_waitcnt vmcnt(1)
	v_mul_f64 v[4:5], v[1:2], v[5:6]
	s_waitcnt vmcnt(0)
	v_subrev_nc_u32_e32 v8, s27, v7
	s_delay_alu instid0(VALU_DEP_1) | instskip(NEXT) | instid1(VALU_DEP_1)
	v_mul_lo_u32 v6, 0x89, v8
	v_and_b32_e32 v9, 0x3ff, v6
	s_branch .LBB32_36
.LBB32_35:                              ;   in Loop: Header=BB32_36 Depth=2
	s_or_b32 exec_lo, exec_lo, s4
	s_xor_b32 s4, s5, -1
	s_delay_alu instid0(SALU_CYCLE_1) | instskip(NEXT) | instid1(SALU_CYCLE_1)
	s_and_b32 s4, exec_lo, s4
	s_or_b32 s3, s4, s3
	s_delay_alu instid0(SALU_CYCLE_1)
	s_and_not1_b32 exec_lo, exec_lo, s3
	s_cbranch_execz .LBB32_33
.LBB32_36:                              ;   Parent Loop BB32_34 Depth=1
                                        ; =>  This Loop Header: Depth=2
                                        ;       Child Loop BB32_42 Depth 3
                                        ;       Child Loop BB32_48 Depth 3
	s_delay_alu instid0(VALU_DEP_1)
	v_lshl_add_u32 v6, v9, 2, 0
	s_mov_b32 s4, exec_lo
                                        ; implicit-def: $sgpr5
	ds_load_b32 v7, v6
	s_waitcnt lgkmcnt(0)
	v_cmpx_ne_u32_e64 v7, v8
	s_xor_b32 s4, exec_lo, s4
	s_cbranch_execz .LBB32_46
; %bb.37:                               ;   in Loop: Header=BB32_36 Depth=2
	s_mov_b32 s13, exec_lo
                                        ; implicit-def: $sgpr5
	v_cmpx_ne_u32_e64 s14, v7
	s_xor_b32 s13, exec_lo, s13
; %bb.38:                               ;   in Loop: Header=BB32_36 Depth=2
	v_add_nc_u32_e32 v6, 1, v9
	s_mov_b32 s5, -1
	s_delay_alu instid0(VALU_DEP_1)
	v_and_b32_e32 v9, 0x3ff, v6
                                        ; implicit-def: $vgpr6
; %bb.39:                               ;   in Loop: Header=BB32_36 Depth=2
	s_and_not1_saveexec_b32 s13, s13
	s_cbranch_execz .LBB32_45
; %bb.40:                               ;   in Loop: Header=BB32_36 Depth=2
	v_mov_b32_e32 v7, s14
	s_mov_b32 s16, -1
	s_mov_b32 s15, exec_lo
	ds_cmpstore_rtn_b32 v7, v6, v8, v7
	s_waitcnt lgkmcnt(0)
	v_cmpx_eq_u32_e64 s14, v7
	s_cbranch_execz .LBB32_44
; %bb.41:                               ;   in Loop: Header=BB32_36 Depth=2
	v_lshlrev_b32_e32 v7, 2, v9
	s_mov_b32 s16, 0
	s_delay_alu instid0(VALU_DEP_1)
	v_add_nc_u32_e32 v10, v6, v7
	ds_load_b64 v[6:7], v10 offset:4096
.LBB32_42:                              ;   Parent Loop BB32_34 Depth=1
                                        ;     Parent Loop BB32_36 Depth=2
                                        ; =>    This Inner Loop Header: Depth=3
	s_waitcnt lgkmcnt(0)
	v_add_f64 v[11:12], v[6:7], v[4:5]
	ds_cmpstore_rtn_b64 v[11:12], v10, v[11:12], v[6:7] offset:4096
	s_waitcnt lgkmcnt(0)
	v_cmp_eq_u64_e32 vcc_lo, v[11:12], v[6:7]
	v_dual_mov_b32 v6, v11 :: v_dual_mov_b32 v7, v12
	s_or_b32 s16, vcc_lo, s16
	s_delay_alu instid0(SALU_CYCLE_1)
	s_and_not1_b32 exec_lo, exec_lo, s16
	s_cbranch_execnz .LBB32_42
; %bb.43:                               ;   in Loop: Header=BB32_36 Depth=2
	s_or_b32 exec_lo, exec_lo, s16
	s_delay_alu instid0(SALU_CYCLE_1)
	s_xor_b32 s16, exec_lo, -1
.LBB32_44:                              ;   in Loop: Header=BB32_36 Depth=2
	s_or_b32 exec_lo, exec_lo, s15
	s_delay_alu instid0(SALU_CYCLE_1) | instskip(SKIP_1) | instid1(SALU_CYCLE_1)
	s_and_not1_b32 s5, s5, exec_lo
	s_and_b32 s15, s16, exec_lo
	s_or_b32 s5, s5, s15
.LBB32_45:                              ;   in Loop: Header=BB32_36 Depth=2
	s_or_b32 exec_lo, exec_lo, s13
	s_delay_alu instid0(SALU_CYCLE_1)
	s_and_b32 s5, s5, exec_lo
                                        ; implicit-def: $vgpr6
.LBB32_46:                              ;   in Loop: Header=BB32_36 Depth=2
	s_and_not1_saveexec_b32 s4, s4
	s_cbranch_execz .LBB32_35
; %bb.47:                               ;   in Loop: Header=BB32_36 Depth=2
	v_lshlrev_b32_e32 v7, 2, v9
	s_mov_b32 s13, 0
	s_delay_alu instid0(VALU_DEP_1)
	v_add_nc_u32_e32 v10, v6, v7
	ds_load_b64 v[6:7], v10 offset:4096
.LBB32_48:                              ;   Parent Loop BB32_34 Depth=1
                                        ;     Parent Loop BB32_36 Depth=2
                                        ; =>    This Inner Loop Header: Depth=3
	s_waitcnt lgkmcnt(0)
	v_add_f64 v[11:12], v[6:7], v[4:5]
	ds_cmpstore_rtn_b64 v[11:12], v10, v[11:12], v[6:7] offset:4096
	s_waitcnt lgkmcnt(0)
	v_cmp_eq_u64_e32 vcc_lo, v[11:12], v[6:7]
	v_dual_mov_b32 v6, v11 :: v_dual_mov_b32 v7, v12
	s_or_b32 s13, vcc_lo, s13
	s_delay_alu instid0(SALU_CYCLE_1)
	s_and_not1_b32 exec_lo, exec_lo, s13
	s_cbranch_execnz .LBB32_48
; %bb.49:                               ;   in Loop: Header=BB32_36 Depth=2
	s_or_b32 exec_lo, exec_lo, s13
	s_delay_alu instid0(SALU_CYCLE_1)
	s_and_not1_b32 s5, s5, exec_lo
	s_branch .LBB32_35
.LBB32_50:
	s_or_b32 exec_lo, exec_lo, s1
.LBB32_51:
	v_mbcnt_lo_u32_b32 v1, -1, 0
	v_lshrrev_b32_e32 v2, 4, v0
	v_cmp_eq_u32_e32 vcc_lo, 0x1ff, v0
	v_cmp_lt_u32_e64 s0, 63, v0
	v_cmp_lt_u32_e64 s1, 0x7f, v0
	v_xor_b32_e32 v1, 63, v1
	v_dual_mov_b32 v6, 0 :: v_dual_and_b32 v3, 28, v2
	v_cmp_lt_u32_e64 s2, 0xbf, v0
	v_cmp_lt_u32_e64 s3, 0xff, v0
	s_delay_alu instid0(VALU_DEP_4) | instskip(NEXT) | instid1(VALU_DEP_4)
	v_lshrrev_b64 v[1:2], v1, -1
	v_dual_mov_b32 v5, 0 :: v_dual_add_nc_u32 v4, 0, v3
	v_cmp_lt_u32_e64 s4, 0x13f, v0
	v_cmp_lt_u32_e64 s5, 0x17f, v0
	;; [unrolled: 1-line block ×3, first 2 shown]
	s_mov_b32 s8, 0
	s_waitcnt lgkmcnt(0)
	s_barrier
	buffer_gl0_inv
	s_branch .LBB32_53
.LBB32_52:                              ;   in Loop: Header=BB32_53 Depth=1
	s_or_b32 exec_lo, exec_lo, s7
	s_waitcnt lgkmcnt(0)
	s_barrier
	buffer_gl0_inv
	ds_load_b32 v2, v5 offset:12316
	v_add_co_u32 v16, s7, 0x200, v16
	s_delay_alu instid0(VALU_DEP_1) | instskip(SKIP_3) | instid1(SALU_CYCLE_1)
	s_xor_b32 s7, s7, -1
	v_add_nc_u32_e32 v17, 0x1000, v17
	v_add_nc_u32_e32 v15, 0x800, v15
	s_and_b32 s7, exec_lo, s7
	s_or_b32 s8, s7, s8
	s_waitcnt lgkmcnt(0)
	v_add_nc_u32_e32 v6, v2, v6
	s_and_not1_b32 exec_lo, exec_lo, s8
	s_cbranch_execz .LBB32_71
.LBB32_53:                              ; =>This Inner Loop Header: Depth=1
	ds_load_b32 v7, v15
	ds_load_b64 v[2:3], v17
	s_waitcnt lgkmcnt(0)
	s_barrier
	buffer_gl0_inv
	v_cmp_gt_i32_e64 s7, s14, v7
	s_delay_alu instid0(VALU_DEP_1) | instskip(NEXT) | instid1(SALU_CYCLE_1)
	s_bcnt1_i32_b32 s9, s7
	v_dual_mov_b32 v9, s9 :: v_dual_and_b32 v8, s7, v1
	s_delay_alu instid0(VALU_DEP_1)
	v_bcnt_u32_b32 v8, v8, 0
	ds_store_b32 v4, v9 offset:12288
	s_waitcnt lgkmcnt(0)
	s_barrier
	buffer_gl0_inv
	s_and_saveexec_b32 s9, s0
	s_cbranch_execnz .LBB32_62
; %bb.54:                               ;   in Loop: Header=BB32_53 Depth=1
	s_or_b32 exec_lo, exec_lo, s9
	s_and_saveexec_b32 s9, s1
	s_cbranch_execnz .LBB32_63
.LBB32_55:                              ;   in Loop: Header=BB32_53 Depth=1
	s_or_b32 exec_lo, exec_lo, s9
	s_and_saveexec_b32 s9, s2
	s_cbranch_execnz .LBB32_64
.LBB32_56:                              ;   in Loop: Header=BB32_53 Depth=1
	s_or_b32 exec_lo, exec_lo, s9
	s_and_saveexec_b32 s9, s3
	s_cbranch_execnz .LBB32_65
.LBB32_57:                              ;   in Loop: Header=BB32_53 Depth=1
	s_or_b32 exec_lo, exec_lo, s9
	s_and_saveexec_b32 s9, s4
	s_cbranch_execnz .LBB32_66
.LBB32_58:                              ;   in Loop: Header=BB32_53 Depth=1
	s_or_b32 exec_lo, exec_lo, s9
	s_and_saveexec_b32 s9, s5
	s_cbranch_execnz .LBB32_67
.LBB32_59:                              ;   in Loop: Header=BB32_53 Depth=1
	s_or_b32 exec_lo, exec_lo, s9
	s_and_saveexec_b32 s9, s6
	s_cbranch_execnz .LBB32_68
.LBB32_60:                              ;   in Loop: Header=BB32_53 Depth=1
	s_or_b32 exec_lo, exec_lo, s9
	s_and_saveexec_b32 s9, s7
	s_cbranch_execnz .LBB32_69
.LBB32_61:                              ;   in Loop: Header=BB32_53 Depth=1
	s_or_b32 exec_lo, exec_lo, s9
	s_and_saveexec_b32 s7, vcc_lo
	s_cbranch_execz .LBB32_52
	s_branch .LBB32_70
.LBB32_62:                              ;   in Loop: Header=BB32_53 Depth=1
	ds_load_b32 v9, v5 offset:12288
	s_waitcnt lgkmcnt(0)
	v_add_nc_u32_e32 v8, v9, v8
	s_or_b32 exec_lo, exec_lo, s9
	s_and_saveexec_b32 s9, s1
	s_cbranch_execz .LBB32_55
.LBB32_63:                              ;   in Loop: Header=BB32_53 Depth=1
	ds_load_b32 v9, v5 offset:12292
	s_waitcnt lgkmcnt(0)
	v_add_nc_u32_e32 v8, v9, v8
	s_or_b32 exec_lo, exec_lo, s9
	s_and_saveexec_b32 s9, s2
	s_cbranch_execz .LBB32_56
.LBB32_64:                              ;   in Loop: Header=BB32_53 Depth=1
	ds_load_b32 v9, v5 offset:12296
	s_waitcnt lgkmcnt(0)
	v_add_nc_u32_e32 v8, v9, v8
	s_or_b32 exec_lo, exec_lo, s9
	s_and_saveexec_b32 s9, s3
	s_cbranch_execz .LBB32_57
.LBB32_65:                              ;   in Loop: Header=BB32_53 Depth=1
	ds_load_b32 v9, v5 offset:12300
	s_waitcnt lgkmcnt(0)
	v_add_nc_u32_e32 v8, v9, v8
	s_or_b32 exec_lo, exec_lo, s9
	s_and_saveexec_b32 s9, s4
	s_cbranch_execz .LBB32_58
.LBB32_66:                              ;   in Loop: Header=BB32_53 Depth=1
	ds_load_b32 v9, v5 offset:12304
	s_waitcnt lgkmcnt(0)
	v_add_nc_u32_e32 v8, v9, v8
	s_or_b32 exec_lo, exec_lo, s9
	s_and_saveexec_b32 s9, s5
	s_cbranch_execz .LBB32_59
.LBB32_67:                              ;   in Loop: Header=BB32_53 Depth=1
	ds_load_b32 v9, v5 offset:12308
	s_waitcnt lgkmcnt(0)
	v_add_nc_u32_e32 v8, v9, v8
	s_or_b32 exec_lo, exec_lo, s9
	s_and_saveexec_b32 s9, s6
	s_cbranch_execz .LBB32_60
.LBB32_68:                              ;   in Loop: Header=BB32_53 Depth=1
	ds_load_b32 v9, v5 offset:12312
	s_waitcnt lgkmcnt(0)
	v_add_nc_u32_e32 v8, v9, v8
	s_or_b32 exec_lo, exec_lo, s9
	s_and_saveexec_b32 s9, s7
	s_cbranch_execz .LBB32_61
.LBB32_69:                              ;   in Loop: Header=BB32_53 Depth=1
	s_delay_alu instid0(VALU_DEP_1) | instskip(NEXT) | instid1(VALU_DEP_1)
	v_add3_u32 v9, v6, -1, v8
	v_lshl_add_u32 v10, v9, 2, 0
	v_lshl_add_u32 v9, v9, 3, 0
	ds_store_b32 v10, v7
	ds_store_b64 v9, v[2:3] offset:4096
	s_or_b32 exec_lo, exec_lo, s9
	s_and_saveexec_b32 s7, vcc_lo
	s_cbranch_execz .LBB32_52
.LBB32_70:                              ;   in Loop: Header=BB32_53 Depth=1
	ds_store_b32 v5, v8 offset:12316
	s_branch .LBB32_52
.LBB32_71:
	s_or_b32 exec_lo, exec_lo, s8
	s_ashr_i32 s13, s12, 31
	s_mov_b32 s3, exec_lo
	s_lshl_b64 s[0:1], s[12:13], 2
	s_delay_alu instid0(SALU_CYCLE_1) | instskip(SKIP_4) | instid1(SALU_CYCLE_1)
	s_add_u32 s0, s10, s0
	s_addc_u32 s1, s11, s1
	s_load_b64 s[0:1], s[0:1], 0x0
	s_waitcnt lgkmcnt(0)
	s_sub_i32 s2, s1, s0
	v_cmpx_gt_i32_e64 s2, v0
	s_cbranch_execz .LBB32_81
; %bb.72:
	s_sub_i32 s3, s0, s26
	s_sub_i32 s0, s0, s1
	s_and_b32 s1, s2, 7
	s_cmp_lt_u32 s0, -7
	s_mov_b32 s7, 0
	s_cselect_b32 s4, -1, 0
	s_and_b32 s5, s2, -8
	s_cmp_lg_u32 s1, 0
	s_cselect_b32 s6, -1, 0
	s_branch .LBB32_74
.LBB32_73:                              ;   in Loop: Header=BB32_74 Depth=1
	s_delay_alu instid0(VALU_DEP_1) | instskip(SKIP_3) | instid1(VALU_DEP_3)
	v_ashrrev_i32_e32 v4, 31, v3
	v_add_nc_u32_e32 v0, 0x200, v0
	s_waitcnt lgkmcnt(1)
	v_add_nc_u32_e32 v8, s26, v5
	v_lshlrev_b64 v[6:7], 2, v[3:4]
	v_lshlrev_b64 v[3:4], 3, v[3:4]
	v_cmp_le_i32_e32 vcc_lo, s2, v0
	s_delay_alu instid0(VALU_DEP_3) | instskip(NEXT) | instid1(VALU_DEP_1)
	v_add_co_u32 v5, s0, s28, v6
	v_add_co_ci_u32_e64 v6, s0, s29, v7, s0
	s_delay_alu instid0(VALU_DEP_4) | instskip(NEXT) | instid1(VALU_DEP_1)
	v_add_co_u32 v3, s0, s30, v3
	v_add_co_ci_u32_e64 v4, s0, s31, v4, s0
	s_or_b32 s7, vcc_lo, s7
	global_store_b32 v[5:6], v8, off
	s_waitcnt lgkmcnt(0)
	global_store_b64 v[3:4], v[1:2], off
	s_and_not1_b32 exec_lo, exec_lo, s7
	s_cbranch_execz .LBB32_81
.LBB32_74:                              ; =>This Loop Header: Depth=1
                                        ;     Child Loop BB32_76 Depth 2
                                        ;     Child Loop BB32_80 Depth 2
	v_lshlrev_b32_e32 v1, 2, v0
	s_and_not1_b32 vcc_lo, exec_lo, s4
	s_mov_b32 s0, 0
	s_delay_alu instid0(VALU_DEP_1) | instskip(NEXT) | instid1(VALU_DEP_1)
	v_dual_mov_b32 v3, s3 :: v_dual_add_nc_u32 v2, 0, v1
	v_add_nc_u32_e32 v1, v2, v1
	ds_load_b32 v5, v2
	ds_load_b64 v[1:2], v1 offset:4096
	s_cbranch_vccnz .LBB32_78
; %bb.75:                               ;   in Loop: Header=BB32_74 Depth=1
	v_mov_b32_e32 v3, s3
	s_mov_b32 s8, 0
	s_set_inst_prefetch_distance 0x1
	.p2align	6
.LBB32_76:                              ;   Parent Loop BB32_74 Depth=1
                                        ; =>  This Inner Loop Header: Depth=2
	v_mov_b32_e32 v4, s8
	s_add_i32 s0, s0, 8
	s_add_i32 s8, s8, 32
	s_cmp_eq_u32 s5, s0
	ds_load_2addr_b32 v[6:7], v4 offset1:1
	ds_load_2addr_b32 v[8:9], v4 offset0:2 offset1:3
	ds_load_2addr_b32 v[10:11], v4 offset0:4 offset1:5
	;; [unrolled: 1-line block ×3, first 2 shown]
	s_waitcnt lgkmcnt(3)
	v_cmp_gt_i32_e32 vcc_lo, v5, v6
	v_cndmask_b32_e64 v4, 0, 1, vcc_lo
	s_waitcnt lgkmcnt(2)
	v_cmp_gt_i32_e32 vcc_lo, v5, v8
	v_cndmask_b32_e64 v6, 0, 1, vcc_lo
	v_cmp_gt_i32_e32 vcc_lo, v5, v7
	v_add_co_ci_u32_e32 v3, vcc_lo, v3, v4, vcc_lo
	s_waitcnt lgkmcnt(1)
	v_cmp_gt_i32_e32 vcc_lo, v5, v10
	v_cndmask_b32_e64 v4, 0, 1, vcc_lo
	v_cmp_gt_i32_e32 vcc_lo, v5, v9
	v_add_co_ci_u32_e32 v3, vcc_lo, v3, v6, vcc_lo
	;; [unrolled: 5-line block ×3, first 2 shown]
	v_cmp_gt_i32_e32 vcc_lo, v5, v13
	s_delay_alu instid0(VALU_DEP_2)
	v_add_co_ci_u32_e32 v3, vcc_lo, v3, v6, vcc_lo
	s_cbranch_scc0 .LBB32_76
; %bb.77:                               ;   in Loop: Header=BB32_74 Depth=1
	s_set_inst_prefetch_distance 0x2
	s_mov_b32 s0, s5
.LBB32_78:                              ;   in Loop: Header=BB32_74 Depth=1
	s_and_not1_b32 vcc_lo, exec_lo, s6
	s_cbranch_vccnz .LBB32_73
; %bb.79:                               ;   in Loop: Header=BB32_74 Depth=1
	s_lshl_b32 s0, s0, 2
	s_mov_b32 s8, s1
	s_add_i32 s0, s0, 0
.LBB32_80:                              ;   Parent Loop BB32_74 Depth=1
                                        ; =>  This Inner Loop Header: Depth=2
	s_delay_alu instid0(SALU_CYCLE_1)
	v_mov_b32_e32 v4, s0
	s_add_i32 s8, s8, -1
	s_add_i32 s0, s0, 4
	s_cmp_lg_u32 s8, 0
	ds_load_b32 v4, v4
	s_waitcnt lgkmcnt(0)
	v_cmp_gt_i32_e32 vcc_lo, v5, v4
	v_add_co_ci_u32_e32 v3, vcc_lo, 0, v3, vcc_lo
	s_cbranch_scc1 .LBB32_80
	s_branch .LBB32_73
.LBB32_81:
	s_nop 0
	s_sendmsg sendmsg(MSG_DEALLOC_VGPRS)
	s_endpgm
	.section	.rodata,"a",@progbits
	.p2align	6, 0x0
	.amdhsa_kernel _ZN9rocsparseL26csrgemm_fill_block_per_rowILj512ELj32ELj1024ELj137ELj64EiidEEvT5_PKS1_S3_NS_24const_host_device_scalarIT6_EEPKT4_S3_PKS5_S9_S3_SB_S6_S9_S3_SB_S9_PS1_PS5_21rocsparse_index_base_SE_SE_SE_bbb
		.amdhsa_group_segment_fixed_size 0
		.amdhsa_private_segment_fixed_size 0
		.amdhsa_kernarg_size 156
		.amdhsa_user_sgpr_count 15
		.amdhsa_user_sgpr_dispatch_ptr 0
		.amdhsa_user_sgpr_queue_ptr 0
		.amdhsa_user_sgpr_kernarg_segment_ptr 1
		.amdhsa_user_sgpr_dispatch_id 0
		.amdhsa_user_sgpr_private_segment_size 0
		.amdhsa_wavefront_size32 1
		.amdhsa_uses_dynamic_stack 0
		.amdhsa_enable_private_segment 0
		.amdhsa_system_sgpr_workgroup_id_x 1
		.amdhsa_system_sgpr_workgroup_id_y 0
		.amdhsa_system_sgpr_workgroup_id_z 0
		.amdhsa_system_sgpr_workgroup_info 0
		.amdhsa_system_vgpr_workitem_id 0
		.amdhsa_next_free_vgpr 23
		.amdhsa_next_free_sgpr 44
		.amdhsa_reserve_vcc 1
		.amdhsa_float_round_mode_32 0
		.amdhsa_float_round_mode_16_64 0
		.amdhsa_float_denorm_mode_32 3
		.amdhsa_float_denorm_mode_16_64 3
		.amdhsa_dx10_clamp 1
		.amdhsa_ieee_mode 1
		.amdhsa_fp16_overflow 0
		.amdhsa_workgroup_processor_mode 1
		.amdhsa_memory_ordered 1
		.amdhsa_forward_progress 0
		.amdhsa_shared_vgpr_count 0
		.amdhsa_exception_fp_ieee_invalid_op 0
		.amdhsa_exception_fp_denorm_src 0
		.amdhsa_exception_fp_ieee_div_zero 0
		.amdhsa_exception_fp_ieee_overflow 0
		.amdhsa_exception_fp_ieee_underflow 0
		.amdhsa_exception_fp_ieee_inexact 0
		.amdhsa_exception_int_div_zero 0
	.end_amdhsa_kernel
	.section	.text._ZN9rocsparseL26csrgemm_fill_block_per_rowILj512ELj32ELj1024ELj137ELj64EiidEEvT5_PKS1_S3_NS_24const_host_device_scalarIT6_EEPKT4_S3_PKS5_S9_S3_SB_S6_S9_S3_SB_S9_PS1_PS5_21rocsparse_index_base_SE_SE_SE_bbb,"axG",@progbits,_ZN9rocsparseL26csrgemm_fill_block_per_rowILj512ELj32ELj1024ELj137ELj64EiidEEvT5_PKS1_S3_NS_24const_host_device_scalarIT6_EEPKT4_S3_PKS5_S9_S3_SB_S6_S9_S3_SB_S9_PS1_PS5_21rocsparse_index_base_SE_SE_SE_bbb,comdat
.Lfunc_end32:
	.size	_ZN9rocsparseL26csrgemm_fill_block_per_rowILj512ELj32ELj1024ELj137ELj64EiidEEvT5_PKS1_S3_NS_24const_host_device_scalarIT6_EEPKT4_S3_PKS5_S9_S3_SB_S6_S9_S3_SB_S9_PS1_PS5_21rocsparse_index_base_SE_SE_SE_bbb, .Lfunc_end32-_ZN9rocsparseL26csrgemm_fill_block_per_rowILj512ELj32ELj1024ELj137ELj64EiidEEvT5_PKS1_S3_NS_24const_host_device_scalarIT6_EEPKT4_S3_PKS5_S9_S3_SB_S6_S9_S3_SB_S9_PS1_PS5_21rocsparse_index_base_SE_SE_SE_bbb
                                        ; -- End function
	.section	.AMDGPU.csdata,"",@progbits
; Kernel info:
; codeLenInByte = 3120
; NumSgprs: 46
; NumVgprs: 23
; ScratchSize: 0
; MemoryBound: 0
; FloatMode: 240
; IeeeMode: 1
; LDSByteSize: 0 bytes/workgroup (compile time only)
; SGPRBlocks: 5
; VGPRBlocks: 2
; NumSGPRsForWavesPerEU: 46
; NumVGPRsForWavesPerEU: 23
; Occupancy: 16
; WaveLimiterHint : 1
; COMPUTE_PGM_RSRC2:SCRATCH_EN: 0
; COMPUTE_PGM_RSRC2:USER_SGPR: 15
; COMPUTE_PGM_RSRC2:TRAP_HANDLER: 0
; COMPUTE_PGM_RSRC2:TGID_X_EN: 1
; COMPUTE_PGM_RSRC2:TGID_Y_EN: 0
; COMPUTE_PGM_RSRC2:TGID_Z_EN: 0
; COMPUTE_PGM_RSRC2:TIDIG_COMP_CNT: 0
	.section	.text._ZN9rocsparseL26csrgemm_fill_block_per_rowILj1024ELj32ELj2048ELj137ELj32EiidEEvT5_PKS1_S3_NS_24const_host_device_scalarIT6_EEPKT4_S3_PKS5_S9_S3_SB_S6_S9_S3_SB_S9_PS1_PS5_21rocsparse_index_base_SE_SE_SE_bbb,"axG",@progbits,_ZN9rocsparseL26csrgemm_fill_block_per_rowILj1024ELj32ELj2048ELj137ELj32EiidEEvT5_PKS1_S3_NS_24const_host_device_scalarIT6_EEPKT4_S3_PKS5_S9_S3_SB_S6_S9_S3_SB_S9_PS1_PS5_21rocsparse_index_base_SE_SE_SE_bbb,comdat
	.globl	_ZN9rocsparseL26csrgemm_fill_block_per_rowILj1024ELj32ELj2048ELj137ELj32EiidEEvT5_PKS1_S3_NS_24const_host_device_scalarIT6_EEPKT4_S3_PKS5_S9_S3_SB_S6_S9_S3_SB_S9_PS1_PS5_21rocsparse_index_base_SE_SE_SE_bbb ; -- Begin function _ZN9rocsparseL26csrgemm_fill_block_per_rowILj1024ELj32ELj2048ELj137ELj32EiidEEvT5_PKS1_S3_NS_24const_host_device_scalarIT6_EEPKT4_S3_PKS5_S9_S3_SB_S6_S9_S3_SB_S9_PS1_PS5_21rocsparse_index_base_SE_SE_SE_bbb
	.p2align	8
	.type	_ZN9rocsparseL26csrgemm_fill_block_per_rowILj1024ELj32ELj2048ELj137ELj32EiidEEvT5_PKS1_S3_NS_24const_host_device_scalarIT6_EEPKT4_S3_PKS5_S9_S3_SB_S6_S9_S3_SB_S9_PS1_PS5_21rocsparse_index_base_SE_SE_SE_bbb,@function
_ZN9rocsparseL26csrgemm_fill_block_per_rowILj1024ELj32ELj2048ELj137ELj32EiidEEvT5_PKS1_S3_NS_24const_host_device_scalarIT6_EEPKT4_S3_PKS5_S9_S3_SB_S6_S9_S3_SB_S9_PS1_PS5_21rocsparse_index_base_SE_SE_SE_bbb: ; @_ZN9rocsparseL26csrgemm_fill_block_per_rowILj1024ELj32ELj2048ELj137ELj32EiidEEvT5_PKS1_S3_NS_24const_host_device_scalarIT6_EEPKT4_S3_PKS5_S9_S3_SB_S6_S9_S3_SB_S9_PS1_PS5_21rocsparse_index_base_SE_SE_SE_bbb
; %bb.0:
	s_clause 0x3
	s_load_b32 s12, s[0:1], 0x98
	s_load_b64 s[4:5], s[0:1], 0x18
	s_load_b128 s[44:47], s[0:1], 0x88
	s_load_b64 s[2:3], s[0:1], 0x50
	s_waitcnt lgkmcnt(0)
	s_and_b32 s6, 1, s12
	s_bitcmp1_b32 s12, 16
	s_cselect_b32 s14, -1, 0
	s_cmp_eq_u32 s6, 1
	s_cselect_b32 s13, -1, 0
	s_delay_alu instid0(SALU_CYCLE_1)
	s_and_b32 s6, s13, exec_lo
	s_cselect_b32 s7, s5, 0
	s_cselect_b32 s6, s4, 0
	s_xor_b32 s8, s13, -1
	v_dual_mov_b32 v3, s6 :: v_dual_mov_b32 v4, s7
	s_or_b32 s8, s8, s14
	s_delay_alu instid0(SALU_CYCLE_1)
	s_and_b32 vcc_lo, exec_lo, s8
	s_cbranch_vccnz .LBB33_2
; %bb.1:
	v_dual_mov_b32 v1, s4 :: v_dual_mov_b32 v2, s5
	flat_load_b64 v[3:4], v[1:2]
.LBB33_2:
	s_clause 0x4
	s_load_b128 s[48:51], s[0:1], 0x78
	s_load_b256 s[36:43], s[0:1], 0x58
	s_load_b128 s[16:19], s[0:1], 0x40
	s_load_b128 s[20:23], s[0:1], 0x8
	s_load_b256 s[4:11], s[0:1], 0x20
	s_bitcmp1_b32 s12, 8
	s_cselect_b32 s12, -1, 0
	s_delay_alu instid0(SALU_CYCLE_1)
	s_and_b32 s24, s12, exec_lo
	s_cselect_b32 s25, s3, 0
	s_cselect_b32 s24, s2, 0
	s_xor_b32 s26, s12, -1
	v_dual_mov_b32 v1, s24 :: v_dual_mov_b32 v2, s25
	s_or_b32 s14, s26, s14
	s_delay_alu instid0(SALU_CYCLE_1)
	s_and_b32 vcc_lo, exec_lo, s14
	s_cbranch_vccnz .LBB33_4
; %bb.3:
	v_dual_mov_b32 v1, s2 :: v_dual_mov_b32 v2, s3
	flat_load_b64 v[1:2], v[1:2]
.LBB33_4:
	s_load_b32 s33, s[0:1], 0x0
	v_dual_mov_b32 v5, 0 :: v_dual_lshlrev_b32 v6, 3, v0
	v_lshl_add_u32 v15, v0, 2, 0
	v_or_b32_e32 v16, 0xfffffc00, v0
	s_mov_b32 s0, 0
	s_delay_alu instid0(VALU_DEP_3) | instskip(NEXT) | instid1(VALU_DEP_3)
	v_add3_u32 v17, v6, 0, 0x2000
	v_dual_mov_b32 v6, v5 :: v_dual_mov_b32 v7, v15
	s_delay_alu instid0(VALU_DEP_3) | instskip(SKIP_1) | instid1(VALU_DEP_3)
	v_mov_b32_e32 v8, v16
	s_waitcnt lgkmcnt(0)
	v_dual_mov_b32 v10, v17 :: v_dual_mov_b32 v9, s33
.LBB33_5:                               ; =>This Inner Loop Header: Depth=1
	s_delay_alu instid0(VALU_DEP_2) | instskip(NEXT) | instid1(VALU_DEP_1)
	v_add_co_u32 v8, s1, 0x400, v8
	s_xor_b32 s1, s1, -1
	ds_store_b32 v7, v9
	ds_store_b64 v10, v[5:6]
	v_add_nc_u32_e32 v10, 0x2000, v10
	v_add_nc_u32_e32 v7, 0x1000, v7
	s_and_b32 s1, exec_lo, s1
	s_delay_alu instid0(SALU_CYCLE_1) | instskip(NEXT) | instid1(SALU_CYCLE_1)
	s_or_b32 s0, s1, s0
	s_and_not1_b32 exec_lo, exec_lo, s0
	s_cbranch_execnz .LBB33_5
; %bb.6:
	s_or_b32 exec_lo, exec_lo, s0
	s_waitcnt vmcnt(0) lgkmcnt(0)
	s_barrier
	buffer_gl0_inv
	s_load_b32 s0, s[20:21], 0x0
	s_mov_b32 s1, 0
	v_lshrrev_b32_e32 v18, 5, v0
	s_waitcnt lgkmcnt(0)
	s_add_i32 s0, s0, s15
	s_delay_alu instid0(SALU_CYCLE_1) | instskip(NEXT) | instid1(SALU_CYCLE_1)
	s_lshl_b64 s[0:1], s[0:1], 2
	s_add_u32 s0, s22, s0
	s_addc_u32 s1, s23, s1
	s_and_b32 vcc_lo, exec_lo, s13
	s_load_b32 s34, s[0:1], 0x0
	s_cbranch_vccz .LBB33_30
; %bb.7:
	s_waitcnt lgkmcnt(0)
	s_ashr_i32 s35, s34, 31
	v_subrev_nc_u32_e32 v5, s44, v18
	s_lshl_b64 s[0:1], s[34:35], 2
	s_delay_alu instid0(SALU_CYCLE_1)
	s_add_u32 s0, s4, s0
	s_addc_u32 s1, s5, s1
	s_load_b64 s[0:1], s[0:1], 0x0
	s_waitcnt lgkmcnt(0)
	v_add_nc_u32_e32 v5, s0, v5
	s_sub_i32 s0, s1, s44
	s_mov_b32 s1, exec_lo
	s_delay_alu instid0(VALU_DEP_1)
	v_cmpx_gt_i32_e64 s0, v5
	s_cbranch_execz .LBB33_29
; %bb.8:
	v_and_b32_e32 v6, 31, v0
	s_mov_b32 s2, 0
	s_delay_alu instid0(VALU_DEP_1)
	v_subrev_nc_u32_e32 v19, s45, v6
	s_branch .LBB33_10
.LBB33_9:                               ;   in Loop: Header=BB33_10 Depth=1
	s_or_b32 exec_lo, exec_lo, s3
	v_add_nc_u32_e32 v5, 32, v5
	s_delay_alu instid0(VALU_DEP_1) | instskip(SKIP_1) | instid1(SALU_CYCLE_1)
	v_cmp_le_i32_e32 vcc_lo, s0, v5
	s_or_b32 s2, vcc_lo, s2
	s_and_not1_b32 exec_lo, exec_lo, s2
	s_cbranch_execz .LBB33_29
.LBB33_10:                              ; =>This Loop Header: Depth=1
                                        ;     Child Loop BB33_13 Depth 2
                                        ;       Child Loop BB33_15 Depth 3
                                        ;         Child Loop BB33_21 Depth 4
                                        ;         Child Loop BB33_27 Depth 4
	v_ashrrev_i32_e32 v6, 31, v5
	s_mov_b32 s3, exec_lo
	s_delay_alu instid0(VALU_DEP_1) | instskip(NEXT) | instid1(VALU_DEP_1)
	v_lshlrev_b64 v[7:8], 2, v[5:6]
	v_add_co_u32 v7, vcc_lo, s6, v7
	s_delay_alu instid0(VALU_DEP_2) | instskip(SKIP_3) | instid1(VALU_DEP_1)
	v_add_co_ci_u32_e32 v8, vcc_lo, s7, v8, vcc_lo
	global_load_b32 v7, v[7:8], off
	s_waitcnt vmcnt(0)
	v_subrev_nc_u32_e32 v7, s44, v7
	v_ashrrev_i32_e32 v8, 31, v7
	s_delay_alu instid0(VALU_DEP_1) | instskip(NEXT) | instid1(VALU_DEP_1)
	v_lshlrev_b64 v[7:8], 2, v[7:8]
	v_add_co_u32 v7, vcc_lo, s10, v7
	s_delay_alu instid0(VALU_DEP_2) | instskip(SKIP_4) | instid1(VALU_DEP_1)
	v_add_co_ci_u32_e32 v8, vcc_lo, s11, v8, vcc_lo
	global_load_b64 v[7:8], v[7:8], off
	s_waitcnt vmcnt(0)
	v_subrev_nc_u32_e32 v20, s45, v8
	v_add_nc_u32_e32 v7, v7, v19
	v_cmpx_lt_i32_e64 v7, v20
	s_cbranch_execz .LBB33_9
; %bb.11:                               ;   in Loop: Header=BB33_10 Depth=1
	v_lshlrev_b64 v[8:9], 3, v[5:6]
	s_mov_b32 s4, 0
	s_delay_alu instid0(VALU_DEP_1) | instskip(NEXT) | instid1(VALU_DEP_2)
	v_add_co_u32 v8, vcc_lo, s8, v8
	v_add_co_ci_u32_e32 v9, vcc_lo, s9, v9, vcc_lo
	global_load_b64 v[8:9], v[8:9], off
	s_waitcnt vmcnt(0)
	v_mul_f64 v[9:10], v[3:4], v[8:9]
	s_branch .LBB33_13
.LBB33_12:                              ;   in Loop: Header=BB33_13 Depth=2
	s_or_b32 exec_lo, exec_lo, s5
	v_add_nc_u32_e32 v7, 32, v7
	s_delay_alu instid0(VALU_DEP_1) | instskip(SKIP_1) | instid1(SALU_CYCLE_1)
	v_cmp_ge_i32_e32 vcc_lo, v7, v20
	s_or_b32 s4, vcc_lo, s4
	s_and_not1_b32 exec_lo, exec_lo, s4
	s_cbranch_execz .LBB33_9
.LBB33_13:                              ;   Parent Loop BB33_10 Depth=1
                                        ; =>  This Loop Header: Depth=2
                                        ;       Child Loop BB33_15 Depth 3
                                        ;         Child Loop BB33_21 Depth 4
                                        ;         Child Loop BB33_27 Depth 4
	v_ashrrev_i32_e32 v8, 31, v7
	s_mov_b32 s5, 0
	s_delay_alu instid0(VALU_DEP_1) | instskip(SKIP_1) | instid1(VALU_DEP_2)
	v_lshlrev_b64 v[11:12], 3, v[7:8]
	v_lshlrev_b64 v[13:14], 2, v[7:8]
	v_add_co_u32 v11, vcc_lo, s18, v11
	s_delay_alu instid0(VALU_DEP_3) | instskip(NEXT) | instid1(VALU_DEP_3)
	v_add_co_ci_u32_e32 v12, vcc_lo, s19, v12, vcc_lo
	v_add_co_u32 v13, vcc_lo, s16, v13
	s_delay_alu instid0(VALU_DEP_4)
	v_add_co_ci_u32_e32 v14, vcc_lo, s17, v14, vcc_lo
	global_load_b64 v[11:12], v[11:12], off
	global_load_b32 v6, v[13:14], off
	s_waitcnt vmcnt(1)
	v_mul_f64 v[11:12], v[9:10], v[11:12]
	s_waitcnt vmcnt(0)
	v_subrev_nc_u32_e32 v6, s45, v6
	s_delay_alu instid0(VALU_DEP_1) | instskip(NEXT) | instid1(VALU_DEP_1)
	v_mul_lo_u32 v8, 0x89, v6
	v_and_b32_e32 v8, 0x7ff, v8
	s_branch .LBB33_15
.LBB33_14:                              ;   in Loop: Header=BB33_15 Depth=3
	s_or_b32 exec_lo, exec_lo, s13
	s_xor_b32 s13, s14, -1
	s_delay_alu instid0(SALU_CYCLE_1) | instskip(NEXT) | instid1(SALU_CYCLE_1)
	s_and_b32 s13, exec_lo, s13
	s_or_b32 s5, s13, s5
	s_delay_alu instid0(SALU_CYCLE_1)
	s_and_not1_b32 exec_lo, exec_lo, s5
	s_cbranch_execz .LBB33_12
.LBB33_15:                              ;   Parent Loop BB33_10 Depth=1
                                        ;     Parent Loop BB33_13 Depth=2
                                        ; =>    This Loop Header: Depth=3
                                        ;         Child Loop BB33_21 Depth 4
                                        ;         Child Loop BB33_27 Depth 4
	s_delay_alu instid0(VALU_DEP_1)
	v_lshl_add_u32 v13, v8, 2, 0
	s_mov_b32 s13, exec_lo
                                        ; implicit-def: $sgpr14
	ds_load_b32 v14, v13
	s_waitcnt lgkmcnt(0)
	v_cmpx_ne_u32_e64 v14, v6
	s_xor_b32 s13, exec_lo, s13
	s_cbranch_execz .LBB33_25
; %bb.16:                               ;   in Loop: Header=BB33_15 Depth=3
	s_mov_b32 s15, exec_lo
                                        ; implicit-def: $sgpr14
	v_cmpx_ne_u32_e64 s33, v14
	s_xor_b32 s15, exec_lo, s15
; %bb.17:                               ;   in Loop: Header=BB33_15 Depth=3
	v_add_nc_u32_e32 v8, 1, v8
	s_mov_b32 s14, -1
                                        ; implicit-def: $vgpr13
	s_delay_alu instid0(VALU_DEP_1)
	v_and_b32_e32 v8, 0x7ff, v8
; %bb.18:                               ;   in Loop: Header=BB33_15 Depth=3
	s_and_not1_saveexec_b32 s15, s15
	s_cbranch_execz .LBB33_24
; %bb.19:                               ;   in Loop: Header=BB33_15 Depth=3
	v_mov_b32_e32 v14, s33
	s_mov_b32 s21, -1
	s_mov_b32 s20, exec_lo
	ds_cmpstore_rtn_b32 v14, v13, v6, v14
	s_waitcnt lgkmcnt(0)
	v_cmpx_eq_u32_e64 s33, v14
	s_cbranch_execz .LBB33_23
; %bb.20:                               ;   in Loop: Header=BB33_15 Depth=3
	v_lshlrev_b32_e32 v14, 2, v8
	s_mov_b32 s21, 0
	s_delay_alu instid0(VALU_DEP_1)
	v_add_nc_u32_e32 v21, v13, v14
	ds_load_b64 v[13:14], v21 offset:8192
.LBB33_21:                              ;   Parent Loop BB33_10 Depth=1
                                        ;     Parent Loop BB33_13 Depth=2
                                        ;       Parent Loop BB33_15 Depth=3
                                        ; =>      This Inner Loop Header: Depth=4
	s_waitcnt lgkmcnt(0)
	v_add_f64 v[22:23], v[13:14], v[11:12]
	ds_cmpstore_rtn_b64 v[22:23], v21, v[22:23], v[13:14] offset:8192
	s_waitcnt lgkmcnt(0)
	v_cmp_eq_u64_e32 vcc_lo, v[22:23], v[13:14]
	v_dual_mov_b32 v13, v22 :: v_dual_mov_b32 v14, v23
	s_or_b32 s21, vcc_lo, s21
	s_delay_alu instid0(SALU_CYCLE_1)
	s_and_not1_b32 exec_lo, exec_lo, s21
	s_cbranch_execnz .LBB33_21
; %bb.22:                               ;   in Loop: Header=BB33_15 Depth=3
	s_or_b32 exec_lo, exec_lo, s21
	s_delay_alu instid0(SALU_CYCLE_1)
	s_xor_b32 s21, exec_lo, -1
.LBB33_23:                              ;   in Loop: Header=BB33_15 Depth=3
	s_or_b32 exec_lo, exec_lo, s20
	s_delay_alu instid0(SALU_CYCLE_1) | instskip(SKIP_1) | instid1(SALU_CYCLE_1)
	s_and_not1_b32 s14, s14, exec_lo
	s_and_b32 s20, s21, exec_lo
	s_or_b32 s14, s14, s20
.LBB33_24:                              ;   in Loop: Header=BB33_15 Depth=3
	s_or_b32 exec_lo, exec_lo, s15
	s_delay_alu instid0(SALU_CYCLE_1)
	s_and_b32 s14, s14, exec_lo
                                        ; implicit-def: $vgpr13
.LBB33_25:                              ;   in Loop: Header=BB33_15 Depth=3
	s_and_not1_saveexec_b32 s13, s13
	s_cbranch_execz .LBB33_14
; %bb.26:                               ;   in Loop: Header=BB33_15 Depth=3
	v_lshlrev_b32_e32 v14, 2, v8
	s_mov_b32 s15, 0
	s_delay_alu instid0(VALU_DEP_1)
	v_add_nc_u32_e32 v21, v13, v14
	ds_load_b64 v[13:14], v21 offset:8192
.LBB33_27:                              ;   Parent Loop BB33_10 Depth=1
                                        ;     Parent Loop BB33_13 Depth=2
                                        ;       Parent Loop BB33_15 Depth=3
                                        ; =>      This Inner Loop Header: Depth=4
	s_waitcnt lgkmcnt(0)
	v_add_f64 v[22:23], v[13:14], v[11:12]
	ds_cmpstore_rtn_b64 v[22:23], v21, v[22:23], v[13:14] offset:8192
	s_waitcnt lgkmcnt(0)
	v_cmp_eq_u64_e32 vcc_lo, v[22:23], v[13:14]
	v_dual_mov_b32 v13, v22 :: v_dual_mov_b32 v14, v23
	s_or_b32 s15, vcc_lo, s15
	s_delay_alu instid0(SALU_CYCLE_1)
	s_and_not1_b32 exec_lo, exec_lo, s15
	s_cbranch_execnz .LBB33_27
; %bb.28:                               ;   in Loop: Header=BB33_15 Depth=3
	s_or_b32 exec_lo, exec_lo, s15
	s_delay_alu instid0(SALU_CYCLE_1)
	s_and_not1_b32 s14, s14, exec_lo
	s_branch .LBB33_14
.LBB33_29:
	s_or_b32 exec_lo, exec_lo, s1
.LBB33_30:
	s_delay_alu instid0(SALU_CYCLE_1)
	s_and_not1_b32 vcc_lo, exec_lo, s12
	s_cbranch_vccnz .LBB33_51
; %bb.31:
	s_waitcnt lgkmcnt(0)
	s_ashr_i32 s35, s34, 31
	v_subrev_nc_u32_e32 v3, s47, v0
	s_lshl_b64 s[0:1], s[34:35], 2
	s_delay_alu instid0(SALU_CYCLE_1)
	s_add_u32 s0, s36, s0
	s_addc_u32 s1, s37, s1
	s_load_b64 s[0:1], s[0:1], 0x0
	s_waitcnt lgkmcnt(0)
	v_add_nc_u32_e32 v3, s0, v3
	s_sub_i32 s0, s1, s47
	s_mov_b32 s1, exec_lo
	s_delay_alu instid0(VALU_DEP_1)
	v_cmpx_gt_i32_e64 s0, v3
	s_cbranch_execz .LBB33_50
; %bb.32:
	s_mov_b32 s2, 0
	s_branch .LBB33_34
.LBB33_33:                              ;   in Loop: Header=BB33_34 Depth=1
	s_or_b32 exec_lo, exec_lo, s3
	v_add_nc_u32_e32 v3, 0x400, v3
	s_delay_alu instid0(VALU_DEP_1) | instskip(SKIP_1) | instid1(SALU_CYCLE_1)
	v_cmp_le_i32_e32 vcc_lo, s0, v3
	s_or_b32 s2, vcc_lo, s2
	s_and_not1_b32 exec_lo, exec_lo, s2
	s_cbranch_execz .LBB33_50
.LBB33_34:                              ; =>This Loop Header: Depth=1
                                        ;     Child Loop BB33_36 Depth 2
                                        ;       Child Loop BB33_42 Depth 3
                                        ;       Child Loop BB33_48 Depth 3
	v_ashrrev_i32_e32 v4, 31, v3
	s_mov_b32 s3, 0
	s_delay_alu instid0(VALU_DEP_1) | instskip(SKIP_1) | instid1(VALU_DEP_2)
	v_lshlrev_b64 v[5:6], 3, v[3:4]
	v_lshlrev_b64 v[7:8], 2, v[3:4]
	v_add_co_u32 v5, vcc_lo, s40, v5
	s_delay_alu instid0(VALU_DEP_3) | instskip(NEXT) | instid1(VALU_DEP_3)
	v_add_co_ci_u32_e32 v6, vcc_lo, s41, v6, vcc_lo
	v_add_co_u32 v7, vcc_lo, s38, v7
	s_delay_alu instid0(VALU_DEP_4)
	v_add_co_ci_u32_e32 v8, vcc_lo, s39, v8, vcc_lo
	global_load_b64 v[5:6], v[5:6], off
	global_load_b32 v7, v[7:8], off
	s_waitcnt vmcnt(1)
	v_mul_f64 v[4:5], v[1:2], v[5:6]
	s_waitcnt vmcnt(0)
	v_subrev_nc_u32_e32 v8, s47, v7
	s_delay_alu instid0(VALU_DEP_1) | instskip(NEXT) | instid1(VALU_DEP_1)
	v_mul_lo_u32 v6, 0x89, v8
	v_and_b32_e32 v9, 0x7ff, v6
	s_branch .LBB33_36
.LBB33_35:                              ;   in Loop: Header=BB33_36 Depth=2
	s_or_b32 exec_lo, exec_lo, s4
	s_xor_b32 s4, s5, -1
	s_delay_alu instid0(SALU_CYCLE_1) | instskip(NEXT) | instid1(SALU_CYCLE_1)
	s_and_b32 s4, exec_lo, s4
	s_or_b32 s3, s4, s3
	s_delay_alu instid0(SALU_CYCLE_1)
	s_and_not1_b32 exec_lo, exec_lo, s3
	s_cbranch_execz .LBB33_33
.LBB33_36:                              ;   Parent Loop BB33_34 Depth=1
                                        ; =>  This Loop Header: Depth=2
                                        ;       Child Loop BB33_42 Depth 3
                                        ;       Child Loop BB33_48 Depth 3
	s_delay_alu instid0(VALU_DEP_1)
	v_lshl_add_u32 v6, v9, 2, 0
	s_mov_b32 s4, exec_lo
                                        ; implicit-def: $sgpr5
	ds_load_b32 v7, v6
	s_waitcnt lgkmcnt(0)
	v_cmpx_ne_u32_e64 v7, v8
	s_xor_b32 s4, exec_lo, s4
	s_cbranch_execz .LBB33_46
; %bb.37:                               ;   in Loop: Header=BB33_36 Depth=2
	s_mov_b32 s6, exec_lo
                                        ; implicit-def: $sgpr5
	v_cmpx_ne_u32_e64 s33, v7
	s_xor_b32 s6, exec_lo, s6
; %bb.38:                               ;   in Loop: Header=BB33_36 Depth=2
	v_add_nc_u32_e32 v6, 1, v9
	s_mov_b32 s5, -1
	s_delay_alu instid0(VALU_DEP_1)
	v_and_b32_e32 v9, 0x7ff, v6
                                        ; implicit-def: $vgpr6
; %bb.39:                               ;   in Loop: Header=BB33_36 Depth=2
	s_and_not1_saveexec_b32 s6, s6
	s_cbranch_execz .LBB33_45
; %bb.40:                               ;   in Loop: Header=BB33_36 Depth=2
	v_mov_b32_e32 v7, s33
	s_mov_b32 s8, -1
	s_mov_b32 s7, exec_lo
	ds_cmpstore_rtn_b32 v7, v6, v8, v7
	s_waitcnt lgkmcnt(0)
	v_cmpx_eq_u32_e64 s33, v7
	s_cbranch_execz .LBB33_44
; %bb.41:                               ;   in Loop: Header=BB33_36 Depth=2
	v_lshlrev_b32_e32 v7, 2, v9
	s_mov_b32 s8, 0
	s_delay_alu instid0(VALU_DEP_1)
	v_add_nc_u32_e32 v10, v6, v7
	ds_load_b64 v[6:7], v10 offset:8192
.LBB33_42:                              ;   Parent Loop BB33_34 Depth=1
                                        ;     Parent Loop BB33_36 Depth=2
                                        ; =>    This Inner Loop Header: Depth=3
	s_waitcnt lgkmcnt(0)
	v_add_f64 v[11:12], v[6:7], v[4:5]
	ds_cmpstore_rtn_b64 v[11:12], v10, v[11:12], v[6:7] offset:8192
	s_waitcnt lgkmcnt(0)
	v_cmp_eq_u64_e32 vcc_lo, v[11:12], v[6:7]
	v_dual_mov_b32 v6, v11 :: v_dual_mov_b32 v7, v12
	s_or_b32 s8, vcc_lo, s8
	s_delay_alu instid0(SALU_CYCLE_1)
	s_and_not1_b32 exec_lo, exec_lo, s8
	s_cbranch_execnz .LBB33_42
; %bb.43:                               ;   in Loop: Header=BB33_36 Depth=2
	s_or_b32 exec_lo, exec_lo, s8
	s_delay_alu instid0(SALU_CYCLE_1)
	s_xor_b32 s8, exec_lo, -1
.LBB33_44:                              ;   in Loop: Header=BB33_36 Depth=2
	s_or_b32 exec_lo, exec_lo, s7
	s_delay_alu instid0(SALU_CYCLE_1) | instskip(SKIP_1) | instid1(SALU_CYCLE_1)
	s_and_not1_b32 s5, s5, exec_lo
	s_and_b32 s7, s8, exec_lo
	s_or_b32 s5, s5, s7
.LBB33_45:                              ;   in Loop: Header=BB33_36 Depth=2
	s_or_b32 exec_lo, exec_lo, s6
	s_delay_alu instid0(SALU_CYCLE_1)
	s_and_b32 s5, s5, exec_lo
                                        ; implicit-def: $vgpr6
.LBB33_46:                              ;   in Loop: Header=BB33_36 Depth=2
	s_and_not1_saveexec_b32 s4, s4
	s_cbranch_execz .LBB33_35
; %bb.47:                               ;   in Loop: Header=BB33_36 Depth=2
	v_lshlrev_b32_e32 v7, 2, v9
	s_mov_b32 s6, 0
	s_delay_alu instid0(VALU_DEP_1)
	v_add_nc_u32_e32 v10, v6, v7
	ds_load_b64 v[6:7], v10 offset:8192
.LBB33_48:                              ;   Parent Loop BB33_34 Depth=1
                                        ;     Parent Loop BB33_36 Depth=2
                                        ; =>    This Inner Loop Header: Depth=3
	s_waitcnt lgkmcnt(0)
	v_add_f64 v[11:12], v[6:7], v[4:5]
	ds_cmpstore_rtn_b64 v[11:12], v10, v[11:12], v[6:7] offset:8192
	s_waitcnt lgkmcnt(0)
	v_cmp_eq_u64_e32 vcc_lo, v[11:12], v[6:7]
	v_dual_mov_b32 v6, v11 :: v_dual_mov_b32 v7, v12
	s_or_b32 s6, vcc_lo, s6
	s_delay_alu instid0(SALU_CYCLE_1)
	s_and_not1_b32 exec_lo, exec_lo, s6
	s_cbranch_execnz .LBB33_48
; %bb.49:                               ;   in Loop: Header=BB33_36 Depth=2
	s_or_b32 exec_lo, exec_lo, s6
	s_delay_alu instid0(SALU_CYCLE_1)
	s_and_not1_b32 s5, s5, exec_lo
	s_branch .LBB33_35
.LBB33_50:
	s_or_b32 exec_lo, exec_lo, s1
.LBB33_51:
	v_mbcnt_lo_u32_b32 v1, -1, 0
	v_lshl_add_u32 v4, v18, 2, 0
	v_cmp_eq_u32_e32 vcc_lo, 0x3ff, v0
	v_cmp_lt_u32_e64 s0, 31, v0
	v_cmp_lt_u32_e64 s1, 63, v0
	v_xor_b32_e32 v1, 63, v1
	v_cmp_lt_u32_e64 s2, 0x5f, v0
	v_cmp_lt_u32_e64 s3, 0x7f, v0
	;; [unrolled: 1-line block ×4, first 2 shown]
	v_lshrrev_b64 v[1:2], v1, -1
	v_cmp_lt_u32_e64 s6, 0xdf, v0
	v_cmp_lt_u32_e64 s7, 0xff, v0
	;; [unrolled: 1-line block ×25, first 2 shown]
	v_dual_mov_b32 v5, 0 :: v_dual_mov_b32 v6, 0
	s_mov_b32 s35, 0
	s_waitcnt lgkmcnt(0)
	s_barrier
	buffer_gl0_inv
	s_branch .LBB33_53
.LBB33_52:                              ;   in Loop: Header=BB33_53 Depth=1
	s_or_b32 exec_lo, exec_lo, s31
	s_waitcnt lgkmcnt(0)
	s_barrier
	buffer_gl0_inv
	ds_load_b32 v2, v5 offset:24700
	v_add_co_u32 v16, s31, 0x400, v16
	s_delay_alu instid0(VALU_DEP_1) | instskip(SKIP_3) | instid1(SALU_CYCLE_1)
	s_xor_b32 s31, s31, -1
	v_add_nc_u32_e32 v17, 0x2000, v17
	v_add_nc_u32_e32 v15, 0x1000, v15
	s_and_b32 s31, exec_lo, s31
	s_or_b32 s35, s31, s35
	s_waitcnt lgkmcnt(0)
	v_add_nc_u32_e32 v6, v2, v6
	s_and_not1_b32 exec_lo, exec_lo, s35
	s_cbranch_execz .LBB33_119
.LBB33_53:                              ; =>This Inner Loop Header: Depth=1
	ds_load_b32 v7, v15
	ds_load_b64 v[2:3], v17
	s_waitcnt lgkmcnt(0)
	s_barrier
	buffer_gl0_inv
	v_cmp_gt_i32_e64 s31, s33, v7
	s_delay_alu instid0(VALU_DEP_1) | instskip(NEXT) | instid1(SALU_CYCLE_1)
	s_bcnt1_i32_b32 s36, s31
	v_dual_mov_b32 v9, s36 :: v_dual_and_b32 v8, s31, v1
	s_delay_alu instid0(VALU_DEP_1)
	v_bcnt_u32_b32 v8, v8, 0
	ds_store_b32 v4, v9 offset:24576
	s_waitcnt lgkmcnt(0)
	s_barrier
	buffer_gl0_inv
	s_and_saveexec_b32 s36, s0
	s_cbranch_execnz .LBB33_86
; %bb.54:                               ;   in Loop: Header=BB33_53 Depth=1
	s_or_b32 exec_lo, exec_lo, s36
	s_and_saveexec_b32 s36, s1
	s_cbranch_execnz .LBB33_87
.LBB33_55:                              ;   in Loop: Header=BB33_53 Depth=1
	s_or_b32 exec_lo, exec_lo, s36
	s_and_saveexec_b32 s36, s2
	s_cbranch_execnz .LBB33_88
.LBB33_56:                              ;   in Loop: Header=BB33_53 Depth=1
	s_or_b32 exec_lo, exec_lo, s36
	s_and_saveexec_b32 s36, s3
	s_cbranch_execnz .LBB33_89
.LBB33_57:                              ;   in Loop: Header=BB33_53 Depth=1
	s_or_b32 exec_lo, exec_lo, s36
	s_and_saveexec_b32 s36, s4
	s_cbranch_execnz .LBB33_90
.LBB33_58:                              ;   in Loop: Header=BB33_53 Depth=1
	s_or_b32 exec_lo, exec_lo, s36
	s_and_saveexec_b32 s36, s5
	s_cbranch_execnz .LBB33_91
.LBB33_59:                              ;   in Loop: Header=BB33_53 Depth=1
	s_or_b32 exec_lo, exec_lo, s36
	s_and_saveexec_b32 s36, s6
	s_cbranch_execnz .LBB33_92
.LBB33_60:                              ;   in Loop: Header=BB33_53 Depth=1
	s_or_b32 exec_lo, exec_lo, s36
	s_and_saveexec_b32 s36, s7
	s_cbranch_execnz .LBB33_93
.LBB33_61:                              ;   in Loop: Header=BB33_53 Depth=1
	s_or_b32 exec_lo, exec_lo, s36
	s_and_saveexec_b32 s36, s8
	s_cbranch_execnz .LBB33_94
.LBB33_62:                              ;   in Loop: Header=BB33_53 Depth=1
	s_or_b32 exec_lo, exec_lo, s36
	s_and_saveexec_b32 s36, s9
	s_cbranch_execnz .LBB33_95
.LBB33_63:                              ;   in Loop: Header=BB33_53 Depth=1
	s_or_b32 exec_lo, exec_lo, s36
	s_and_saveexec_b32 s36, s10
	s_cbranch_execnz .LBB33_96
.LBB33_64:                              ;   in Loop: Header=BB33_53 Depth=1
	s_or_b32 exec_lo, exec_lo, s36
	s_and_saveexec_b32 s36, s11
	s_cbranch_execnz .LBB33_97
.LBB33_65:                              ;   in Loop: Header=BB33_53 Depth=1
	s_or_b32 exec_lo, exec_lo, s36
	s_and_saveexec_b32 s36, s12
	s_cbranch_execnz .LBB33_98
.LBB33_66:                              ;   in Loop: Header=BB33_53 Depth=1
	s_or_b32 exec_lo, exec_lo, s36
	s_and_saveexec_b32 s36, s13
	s_cbranch_execnz .LBB33_99
.LBB33_67:                              ;   in Loop: Header=BB33_53 Depth=1
	s_or_b32 exec_lo, exec_lo, s36
	s_and_saveexec_b32 s36, s14
	s_cbranch_execnz .LBB33_100
.LBB33_68:                              ;   in Loop: Header=BB33_53 Depth=1
	s_or_b32 exec_lo, exec_lo, s36
	s_and_saveexec_b32 s36, s15
	s_cbranch_execnz .LBB33_101
.LBB33_69:                              ;   in Loop: Header=BB33_53 Depth=1
	s_or_b32 exec_lo, exec_lo, s36
	s_and_saveexec_b32 s36, s16
	s_cbranch_execnz .LBB33_102
.LBB33_70:                              ;   in Loop: Header=BB33_53 Depth=1
	s_or_b32 exec_lo, exec_lo, s36
	s_and_saveexec_b32 s36, s17
	s_cbranch_execnz .LBB33_103
.LBB33_71:                              ;   in Loop: Header=BB33_53 Depth=1
	s_or_b32 exec_lo, exec_lo, s36
	s_and_saveexec_b32 s36, s18
	s_cbranch_execnz .LBB33_104
.LBB33_72:                              ;   in Loop: Header=BB33_53 Depth=1
	s_or_b32 exec_lo, exec_lo, s36
	s_and_saveexec_b32 s36, s19
	s_cbranch_execnz .LBB33_105
.LBB33_73:                              ;   in Loop: Header=BB33_53 Depth=1
	s_or_b32 exec_lo, exec_lo, s36
	s_and_saveexec_b32 s36, s20
	s_cbranch_execnz .LBB33_106
.LBB33_74:                              ;   in Loop: Header=BB33_53 Depth=1
	s_or_b32 exec_lo, exec_lo, s36
	s_and_saveexec_b32 s36, s21
	s_cbranch_execnz .LBB33_107
.LBB33_75:                              ;   in Loop: Header=BB33_53 Depth=1
	s_or_b32 exec_lo, exec_lo, s36
	s_and_saveexec_b32 s36, s22
	s_cbranch_execnz .LBB33_108
.LBB33_76:                              ;   in Loop: Header=BB33_53 Depth=1
	s_or_b32 exec_lo, exec_lo, s36
	s_and_saveexec_b32 s36, s23
	s_cbranch_execnz .LBB33_109
.LBB33_77:                              ;   in Loop: Header=BB33_53 Depth=1
	s_or_b32 exec_lo, exec_lo, s36
	s_and_saveexec_b32 s36, s24
	s_cbranch_execnz .LBB33_110
.LBB33_78:                              ;   in Loop: Header=BB33_53 Depth=1
	s_or_b32 exec_lo, exec_lo, s36
	s_and_saveexec_b32 s36, s25
	s_cbranch_execnz .LBB33_111
.LBB33_79:                              ;   in Loop: Header=BB33_53 Depth=1
	s_or_b32 exec_lo, exec_lo, s36
	s_and_saveexec_b32 s36, s26
	s_cbranch_execnz .LBB33_112
.LBB33_80:                              ;   in Loop: Header=BB33_53 Depth=1
	s_or_b32 exec_lo, exec_lo, s36
	s_and_saveexec_b32 s36, s27
	s_cbranch_execnz .LBB33_113
.LBB33_81:                              ;   in Loop: Header=BB33_53 Depth=1
	s_or_b32 exec_lo, exec_lo, s36
	s_and_saveexec_b32 s36, s28
	s_cbranch_execnz .LBB33_114
.LBB33_82:                              ;   in Loop: Header=BB33_53 Depth=1
	s_or_b32 exec_lo, exec_lo, s36
	s_and_saveexec_b32 s36, s29
	s_cbranch_execnz .LBB33_115
.LBB33_83:                              ;   in Loop: Header=BB33_53 Depth=1
	s_or_b32 exec_lo, exec_lo, s36
	s_and_saveexec_b32 s36, s30
	s_cbranch_execnz .LBB33_116
.LBB33_84:                              ;   in Loop: Header=BB33_53 Depth=1
	s_or_b32 exec_lo, exec_lo, s36
	s_and_saveexec_b32 s36, s31
	s_cbranch_execnz .LBB33_117
.LBB33_85:                              ;   in Loop: Header=BB33_53 Depth=1
	s_or_b32 exec_lo, exec_lo, s36
	s_and_saveexec_b32 s31, vcc_lo
	s_cbranch_execz .LBB33_52
	s_branch .LBB33_118
.LBB33_86:                              ;   in Loop: Header=BB33_53 Depth=1
	ds_load_b32 v9, v5 offset:24576
	s_waitcnt lgkmcnt(0)
	v_add_nc_u32_e32 v8, v9, v8
	s_or_b32 exec_lo, exec_lo, s36
	s_and_saveexec_b32 s36, s1
	s_cbranch_execz .LBB33_55
.LBB33_87:                              ;   in Loop: Header=BB33_53 Depth=1
	ds_load_b32 v9, v5 offset:24580
	s_waitcnt lgkmcnt(0)
	v_add_nc_u32_e32 v8, v9, v8
	s_or_b32 exec_lo, exec_lo, s36
	s_and_saveexec_b32 s36, s2
	s_cbranch_execz .LBB33_56
.LBB33_88:                              ;   in Loop: Header=BB33_53 Depth=1
	ds_load_b32 v9, v5 offset:24584
	s_waitcnt lgkmcnt(0)
	v_add_nc_u32_e32 v8, v9, v8
	s_or_b32 exec_lo, exec_lo, s36
	s_and_saveexec_b32 s36, s3
	s_cbranch_execz .LBB33_57
.LBB33_89:                              ;   in Loop: Header=BB33_53 Depth=1
	ds_load_b32 v9, v5 offset:24588
	s_waitcnt lgkmcnt(0)
	v_add_nc_u32_e32 v8, v9, v8
	s_or_b32 exec_lo, exec_lo, s36
	s_and_saveexec_b32 s36, s4
	s_cbranch_execz .LBB33_58
.LBB33_90:                              ;   in Loop: Header=BB33_53 Depth=1
	ds_load_b32 v9, v5 offset:24592
	s_waitcnt lgkmcnt(0)
	v_add_nc_u32_e32 v8, v9, v8
	s_or_b32 exec_lo, exec_lo, s36
	s_and_saveexec_b32 s36, s5
	s_cbranch_execz .LBB33_59
.LBB33_91:                              ;   in Loop: Header=BB33_53 Depth=1
	ds_load_b32 v9, v5 offset:24596
	s_waitcnt lgkmcnt(0)
	v_add_nc_u32_e32 v8, v9, v8
	s_or_b32 exec_lo, exec_lo, s36
	s_and_saveexec_b32 s36, s6
	s_cbranch_execz .LBB33_60
.LBB33_92:                              ;   in Loop: Header=BB33_53 Depth=1
	ds_load_b32 v9, v5 offset:24600
	s_waitcnt lgkmcnt(0)
	v_add_nc_u32_e32 v8, v9, v8
	s_or_b32 exec_lo, exec_lo, s36
	s_and_saveexec_b32 s36, s7
	s_cbranch_execz .LBB33_61
.LBB33_93:                              ;   in Loop: Header=BB33_53 Depth=1
	ds_load_b32 v9, v5 offset:24604
	s_waitcnt lgkmcnt(0)
	v_add_nc_u32_e32 v8, v9, v8
	s_or_b32 exec_lo, exec_lo, s36
	s_and_saveexec_b32 s36, s8
	s_cbranch_execz .LBB33_62
.LBB33_94:                              ;   in Loop: Header=BB33_53 Depth=1
	ds_load_b32 v9, v5 offset:24608
	s_waitcnt lgkmcnt(0)
	v_add_nc_u32_e32 v8, v9, v8
	s_or_b32 exec_lo, exec_lo, s36
	s_and_saveexec_b32 s36, s9
	s_cbranch_execz .LBB33_63
.LBB33_95:                              ;   in Loop: Header=BB33_53 Depth=1
	ds_load_b32 v9, v5 offset:24612
	s_waitcnt lgkmcnt(0)
	v_add_nc_u32_e32 v8, v9, v8
	s_or_b32 exec_lo, exec_lo, s36
	s_and_saveexec_b32 s36, s10
	s_cbranch_execz .LBB33_64
.LBB33_96:                              ;   in Loop: Header=BB33_53 Depth=1
	ds_load_b32 v9, v5 offset:24616
	s_waitcnt lgkmcnt(0)
	v_add_nc_u32_e32 v8, v9, v8
	s_or_b32 exec_lo, exec_lo, s36
	s_and_saveexec_b32 s36, s11
	s_cbranch_execz .LBB33_65
.LBB33_97:                              ;   in Loop: Header=BB33_53 Depth=1
	ds_load_b32 v9, v5 offset:24620
	s_waitcnt lgkmcnt(0)
	v_add_nc_u32_e32 v8, v9, v8
	s_or_b32 exec_lo, exec_lo, s36
	s_and_saveexec_b32 s36, s12
	s_cbranch_execz .LBB33_66
.LBB33_98:                              ;   in Loop: Header=BB33_53 Depth=1
	ds_load_b32 v9, v5 offset:24624
	s_waitcnt lgkmcnt(0)
	v_add_nc_u32_e32 v8, v9, v8
	s_or_b32 exec_lo, exec_lo, s36
	s_and_saveexec_b32 s36, s13
	s_cbranch_execz .LBB33_67
.LBB33_99:                              ;   in Loop: Header=BB33_53 Depth=1
	ds_load_b32 v9, v5 offset:24628
	s_waitcnt lgkmcnt(0)
	v_add_nc_u32_e32 v8, v9, v8
	s_or_b32 exec_lo, exec_lo, s36
	s_and_saveexec_b32 s36, s14
	s_cbranch_execz .LBB33_68
.LBB33_100:                             ;   in Loop: Header=BB33_53 Depth=1
	ds_load_b32 v9, v5 offset:24632
	s_waitcnt lgkmcnt(0)
	v_add_nc_u32_e32 v8, v9, v8
	s_or_b32 exec_lo, exec_lo, s36
	s_and_saveexec_b32 s36, s15
	s_cbranch_execz .LBB33_69
.LBB33_101:                             ;   in Loop: Header=BB33_53 Depth=1
	ds_load_b32 v9, v5 offset:24636
	s_waitcnt lgkmcnt(0)
	v_add_nc_u32_e32 v8, v9, v8
	s_or_b32 exec_lo, exec_lo, s36
	s_and_saveexec_b32 s36, s16
	s_cbranch_execz .LBB33_70
.LBB33_102:                             ;   in Loop: Header=BB33_53 Depth=1
	ds_load_b32 v9, v5 offset:24640
	s_waitcnt lgkmcnt(0)
	v_add_nc_u32_e32 v8, v9, v8
	s_or_b32 exec_lo, exec_lo, s36
	s_and_saveexec_b32 s36, s17
	s_cbranch_execz .LBB33_71
.LBB33_103:                             ;   in Loop: Header=BB33_53 Depth=1
	ds_load_b32 v9, v5 offset:24644
	s_waitcnt lgkmcnt(0)
	v_add_nc_u32_e32 v8, v9, v8
	s_or_b32 exec_lo, exec_lo, s36
	s_and_saveexec_b32 s36, s18
	s_cbranch_execz .LBB33_72
.LBB33_104:                             ;   in Loop: Header=BB33_53 Depth=1
	ds_load_b32 v9, v5 offset:24648
	s_waitcnt lgkmcnt(0)
	v_add_nc_u32_e32 v8, v9, v8
	s_or_b32 exec_lo, exec_lo, s36
	s_and_saveexec_b32 s36, s19
	s_cbranch_execz .LBB33_73
.LBB33_105:                             ;   in Loop: Header=BB33_53 Depth=1
	ds_load_b32 v9, v5 offset:24652
	s_waitcnt lgkmcnt(0)
	v_add_nc_u32_e32 v8, v9, v8
	s_or_b32 exec_lo, exec_lo, s36
	s_and_saveexec_b32 s36, s20
	s_cbranch_execz .LBB33_74
.LBB33_106:                             ;   in Loop: Header=BB33_53 Depth=1
	ds_load_b32 v9, v5 offset:24656
	s_waitcnt lgkmcnt(0)
	v_add_nc_u32_e32 v8, v9, v8
	s_or_b32 exec_lo, exec_lo, s36
	s_and_saveexec_b32 s36, s21
	s_cbranch_execz .LBB33_75
.LBB33_107:                             ;   in Loop: Header=BB33_53 Depth=1
	ds_load_b32 v9, v5 offset:24660
	s_waitcnt lgkmcnt(0)
	v_add_nc_u32_e32 v8, v9, v8
	s_or_b32 exec_lo, exec_lo, s36
	s_and_saveexec_b32 s36, s22
	s_cbranch_execz .LBB33_76
.LBB33_108:                             ;   in Loop: Header=BB33_53 Depth=1
	ds_load_b32 v9, v5 offset:24664
	s_waitcnt lgkmcnt(0)
	v_add_nc_u32_e32 v8, v9, v8
	s_or_b32 exec_lo, exec_lo, s36
	s_and_saveexec_b32 s36, s23
	s_cbranch_execz .LBB33_77
.LBB33_109:                             ;   in Loop: Header=BB33_53 Depth=1
	ds_load_b32 v9, v5 offset:24668
	s_waitcnt lgkmcnt(0)
	v_add_nc_u32_e32 v8, v9, v8
	s_or_b32 exec_lo, exec_lo, s36
	s_and_saveexec_b32 s36, s24
	s_cbranch_execz .LBB33_78
.LBB33_110:                             ;   in Loop: Header=BB33_53 Depth=1
	ds_load_b32 v9, v5 offset:24672
	s_waitcnt lgkmcnt(0)
	v_add_nc_u32_e32 v8, v9, v8
	s_or_b32 exec_lo, exec_lo, s36
	s_and_saveexec_b32 s36, s25
	s_cbranch_execz .LBB33_79
.LBB33_111:                             ;   in Loop: Header=BB33_53 Depth=1
	ds_load_b32 v9, v5 offset:24676
	s_waitcnt lgkmcnt(0)
	v_add_nc_u32_e32 v8, v9, v8
	s_or_b32 exec_lo, exec_lo, s36
	s_and_saveexec_b32 s36, s26
	s_cbranch_execz .LBB33_80
.LBB33_112:                             ;   in Loop: Header=BB33_53 Depth=1
	ds_load_b32 v9, v5 offset:24680
	s_waitcnt lgkmcnt(0)
	v_add_nc_u32_e32 v8, v9, v8
	s_or_b32 exec_lo, exec_lo, s36
	s_and_saveexec_b32 s36, s27
	s_cbranch_execz .LBB33_81
.LBB33_113:                             ;   in Loop: Header=BB33_53 Depth=1
	ds_load_b32 v9, v5 offset:24684
	s_waitcnt lgkmcnt(0)
	v_add_nc_u32_e32 v8, v9, v8
	s_or_b32 exec_lo, exec_lo, s36
	s_and_saveexec_b32 s36, s28
	s_cbranch_execz .LBB33_82
.LBB33_114:                             ;   in Loop: Header=BB33_53 Depth=1
	ds_load_b32 v9, v5 offset:24688
	s_waitcnt lgkmcnt(0)
	v_add_nc_u32_e32 v8, v9, v8
	s_or_b32 exec_lo, exec_lo, s36
	s_and_saveexec_b32 s36, s29
	s_cbranch_execz .LBB33_83
.LBB33_115:                             ;   in Loop: Header=BB33_53 Depth=1
	ds_load_b32 v9, v5 offset:24692
	s_waitcnt lgkmcnt(0)
	v_add_nc_u32_e32 v8, v9, v8
	s_or_b32 exec_lo, exec_lo, s36
	s_and_saveexec_b32 s36, s30
	s_cbranch_execz .LBB33_84
.LBB33_116:                             ;   in Loop: Header=BB33_53 Depth=1
	ds_load_b32 v9, v5 offset:24696
	s_waitcnt lgkmcnt(0)
	v_add_nc_u32_e32 v8, v9, v8
	s_or_b32 exec_lo, exec_lo, s36
	s_and_saveexec_b32 s36, s31
	s_cbranch_execz .LBB33_85
.LBB33_117:                             ;   in Loop: Header=BB33_53 Depth=1
	s_delay_alu instid0(VALU_DEP_1) | instskip(NEXT) | instid1(VALU_DEP_1)
	v_add3_u32 v9, v6, -1, v8
	v_lshl_add_u32 v10, v9, 2, 0
	v_lshl_add_u32 v9, v9, 3, 0
	ds_store_b32 v10, v7
	ds_store_b64 v9, v[2:3] offset:8192
	s_or_b32 exec_lo, exec_lo, s36
	s_and_saveexec_b32 s31, vcc_lo
	s_cbranch_execz .LBB33_52
.LBB33_118:                             ;   in Loop: Header=BB33_53 Depth=1
	ds_store_b32 v5, v8 offset:24700
	s_branch .LBB33_52
.LBB33_119:
	s_or_b32 exec_lo, exec_lo, s35
	s_ashr_i32 s35, s34, 31
	s_mov_b32 s3, exec_lo
	s_lshl_b64 s[0:1], s[34:35], 2
	s_delay_alu instid0(SALU_CYCLE_1) | instskip(SKIP_4) | instid1(SALU_CYCLE_1)
	s_add_u32 s0, s42, s0
	s_addc_u32 s1, s43, s1
	s_load_b64 s[0:1], s[0:1], 0x0
	s_waitcnt lgkmcnt(0)
	s_sub_i32 s2, s1, s0
	v_cmpx_gt_i32_e64 s2, v0
	s_cbranch_execz .LBB33_129
; %bb.120:
	s_sub_i32 s3, s0, s46
	s_sub_i32 s0, s0, s1
	s_and_b32 s1, s2, 7
	s_cmp_lt_u32 s0, -7
	s_mov_b32 s7, 0
	s_cselect_b32 s4, -1, 0
	s_and_b32 s5, s2, -8
	s_cmp_lg_u32 s1, 0
	s_cselect_b32 s6, -1, 0
	s_branch .LBB33_122
.LBB33_121:                             ;   in Loop: Header=BB33_122 Depth=1
	s_delay_alu instid0(VALU_DEP_1) | instskip(SKIP_3) | instid1(VALU_DEP_3)
	v_ashrrev_i32_e32 v4, 31, v3
	v_add_nc_u32_e32 v0, 0x400, v0
	s_waitcnt lgkmcnt(1)
	v_add_nc_u32_e32 v8, s46, v5
	v_lshlrev_b64 v[6:7], 2, v[3:4]
	v_lshlrev_b64 v[3:4], 3, v[3:4]
	v_cmp_le_i32_e32 vcc_lo, s2, v0
	s_delay_alu instid0(VALU_DEP_3) | instskip(NEXT) | instid1(VALU_DEP_1)
	v_add_co_u32 v5, s0, s48, v6
	v_add_co_ci_u32_e64 v6, s0, s49, v7, s0
	s_delay_alu instid0(VALU_DEP_4) | instskip(NEXT) | instid1(VALU_DEP_1)
	v_add_co_u32 v3, s0, s50, v3
	v_add_co_ci_u32_e64 v4, s0, s51, v4, s0
	s_or_b32 s7, vcc_lo, s7
	global_store_b32 v[5:6], v8, off
	s_waitcnt lgkmcnt(0)
	global_store_b64 v[3:4], v[1:2], off
	s_and_not1_b32 exec_lo, exec_lo, s7
	s_cbranch_execz .LBB33_129
.LBB33_122:                             ; =>This Loop Header: Depth=1
                                        ;     Child Loop BB33_124 Depth 2
                                        ;     Child Loop BB33_128 Depth 2
	v_lshlrev_b32_e32 v1, 2, v0
	s_and_not1_b32 vcc_lo, exec_lo, s4
	s_mov_b32 s0, 0
	s_delay_alu instid0(VALU_DEP_1) | instskip(NEXT) | instid1(VALU_DEP_1)
	v_dual_mov_b32 v3, s3 :: v_dual_add_nc_u32 v2, 0, v1
	v_add_nc_u32_e32 v1, v2, v1
	ds_load_b32 v5, v2
	ds_load_b64 v[1:2], v1 offset:8192
	s_cbranch_vccnz .LBB33_126
; %bb.123:                              ;   in Loop: Header=BB33_122 Depth=1
	v_mov_b32_e32 v3, s3
	s_mov_b32 s8, 0
	s_set_inst_prefetch_distance 0x1
	.p2align	6
.LBB33_124:                             ;   Parent Loop BB33_122 Depth=1
                                        ; =>  This Inner Loop Header: Depth=2
	v_mov_b32_e32 v4, s8
	s_add_i32 s0, s0, 8
	s_add_i32 s8, s8, 32
	s_cmp_eq_u32 s5, s0
	ds_load_2addr_b32 v[6:7], v4 offset1:1
	ds_load_2addr_b32 v[8:9], v4 offset0:2 offset1:3
	ds_load_2addr_b32 v[10:11], v4 offset0:4 offset1:5
	;; [unrolled: 1-line block ×3, first 2 shown]
	s_waitcnt lgkmcnt(3)
	v_cmp_gt_i32_e32 vcc_lo, v5, v6
	v_cndmask_b32_e64 v4, 0, 1, vcc_lo
	s_waitcnt lgkmcnt(2)
	v_cmp_gt_i32_e32 vcc_lo, v5, v8
	v_cndmask_b32_e64 v6, 0, 1, vcc_lo
	v_cmp_gt_i32_e32 vcc_lo, v5, v7
	v_add_co_ci_u32_e32 v3, vcc_lo, v3, v4, vcc_lo
	s_waitcnt lgkmcnt(1)
	v_cmp_gt_i32_e32 vcc_lo, v5, v10
	v_cndmask_b32_e64 v4, 0, 1, vcc_lo
	v_cmp_gt_i32_e32 vcc_lo, v5, v9
	v_add_co_ci_u32_e32 v3, vcc_lo, v3, v6, vcc_lo
	;; [unrolled: 5-line block ×3, first 2 shown]
	v_cmp_gt_i32_e32 vcc_lo, v5, v13
	s_delay_alu instid0(VALU_DEP_2)
	v_add_co_ci_u32_e32 v3, vcc_lo, v3, v6, vcc_lo
	s_cbranch_scc0 .LBB33_124
; %bb.125:                              ;   in Loop: Header=BB33_122 Depth=1
	s_set_inst_prefetch_distance 0x2
	s_mov_b32 s0, s5
.LBB33_126:                             ;   in Loop: Header=BB33_122 Depth=1
	s_and_not1_b32 vcc_lo, exec_lo, s6
	s_cbranch_vccnz .LBB33_121
; %bb.127:                              ;   in Loop: Header=BB33_122 Depth=1
	s_lshl_b32 s0, s0, 2
	s_mov_b32 s8, s1
	s_add_i32 s0, s0, 0
.LBB33_128:                             ;   Parent Loop BB33_122 Depth=1
                                        ; =>  This Inner Loop Header: Depth=2
	s_delay_alu instid0(SALU_CYCLE_1)
	v_mov_b32_e32 v4, s0
	s_add_i32 s8, s8, -1
	s_add_i32 s0, s0, 4
	s_cmp_lg_u32 s8, 0
	ds_load_b32 v4, v4
	s_waitcnt lgkmcnt(0)
	v_cmp_gt_i32_e32 vcc_lo, v5, v4
	v_add_co_ci_u32_e32 v3, vcc_lo, 0, v3, vcc_lo
	s_cbranch_scc1 .LBB33_128
	s_branch .LBB33_121
.LBB33_129:
	s_nop 0
	s_sendmsg sendmsg(MSG_DEALLOC_VGPRS)
	s_endpgm
	.section	.rodata,"a",@progbits
	.p2align	6, 0x0
	.amdhsa_kernel _ZN9rocsparseL26csrgemm_fill_block_per_rowILj1024ELj32ELj2048ELj137ELj32EiidEEvT5_PKS1_S3_NS_24const_host_device_scalarIT6_EEPKT4_S3_PKS5_S9_S3_SB_S6_S9_S3_SB_S9_PS1_PS5_21rocsparse_index_base_SE_SE_SE_bbb
		.amdhsa_group_segment_fixed_size 0
		.amdhsa_private_segment_fixed_size 0
		.amdhsa_kernarg_size 156
		.amdhsa_user_sgpr_count 15
		.amdhsa_user_sgpr_dispatch_ptr 0
		.amdhsa_user_sgpr_queue_ptr 0
		.amdhsa_user_sgpr_kernarg_segment_ptr 1
		.amdhsa_user_sgpr_dispatch_id 0
		.amdhsa_user_sgpr_private_segment_size 0
		.amdhsa_wavefront_size32 1
		.amdhsa_uses_dynamic_stack 0
		.amdhsa_enable_private_segment 0
		.amdhsa_system_sgpr_workgroup_id_x 1
		.amdhsa_system_sgpr_workgroup_id_y 0
		.amdhsa_system_sgpr_workgroup_id_z 0
		.amdhsa_system_sgpr_workgroup_info 0
		.amdhsa_system_vgpr_workitem_id 0
		.amdhsa_next_free_vgpr 24
		.amdhsa_next_free_sgpr 52
		.amdhsa_reserve_vcc 1
		.amdhsa_float_round_mode_32 0
		.amdhsa_float_round_mode_16_64 0
		.amdhsa_float_denorm_mode_32 3
		.amdhsa_float_denorm_mode_16_64 3
		.amdhsa_dx10_clamp 1
		.amdhsa_ieee_mode 1
		.amdhsa_fp16_overflow 0
		.amdhsa_workgroup_processor_mode 1
		.amdhsa_memory_ordered 1
		.amdhsa_forward_progress 0
		.amdhsa_shared_vgpr_count 0
		.amdhsa_exception_fp_ieee_invalid_op 0
		.amdhsa_exception_fp_denorm_src 0
		.amdhsa_exception_fp_ieee_div_zero 0
		.amdhsa_exception_fp_ieee_overflow 0
		.amdhsa_exception_fp_ieee_underflow 0
		.amdhsa_exception_fp_ieee_inexact 0
		.amdhsa_exception_int_div_zero 0
	.end_amdhsa_kernel
	.section	.text._ZN9rocsparseL26csrgemm_fill_block_per_rowILj1024ELj32ELj2048ELj137ELj32EiidEEvT5_PKS1_S3_NS_24const_host_device_scalarIT6_EEPKT4_S3_PKS5_S9_S3_SB_S6_S9_S3_SB_S9_PS1_PS5_21rocsparse_index_base_SE_SE_SE_bbb,"axG",@progbits,_ZN9rocsparseL26csrgemm_fill_block_per_rowILj1024ELj32ELj2048ELj137ELj32EiidEEvT5_PKS1_S3_NS_24const_host_device_scalarIT6_EEPKT4_S3_PKS5_S9_S3_SB_S6_S9_S3_SB_S9_PS1_PS5_21rocsparse_index_base_SE_SE_SE_bbb,comdat
.Lfunc_end33:
	.size	_ZN9rocsparseL26csrgemm_fill_block_per_rowILj1024ELj32ELj2048ELj137ELj32EiidEEvT5_PKS1_S3_NS_24const_host_device_scalarIT6_EEPKT4_S3_PKS5_S9_S3_SB_S6_S9_S3_SB_S9_PS1_PS5_21rocsparse_index_base_SE_SE_SE_bbb, .Lfunc_end33-_ZN9rocsparseL26csrgemm_fill_block_per_rowILj1024ELj32ELj2048ELj137ELj32EiidEEvT5_PKS1_S3_NS_24const_host_device_scalarIT6_EEPKT4_S3_PKS5_S9_S3_SB_S6_S9_S3_SB_S9_PS1_PS5_21rocsparse_index_base_SE_SE_SE_bbb
                                        ; -- End function
	.section	.AMDGPU.csdata,"",@progbits
; Kernel info:
; codeLenInByte = 4356
; NumSgprs: 54
; NumVgprs: 24
; ScratchSize: 0
; MemoryBound: 0
; FloatMode: 240
; IeeeMode: 1
; LDSByteSize: 0 bytes/workgroup (compile time only)
; SGPRBlocks: 6
; VGPRBlocks: 2
; NumSGPRsForWavesPerEU: 54
; NumVGPRsForWavesPerEU: 24
; Occupancy: 16
; WaveLimiterHint : 1
; COMPUTE_PGM_RSRC2:SCRATCH_EN: 0
; COMPUTE_PGM_RSRC2:USER_SGPR: 15
; COMPUTE_PGM_RSRC2:TRAP_HANDLER: 0
; COMPUTE_PGM_RSRC2:TGID_X_EN: 1
; COMPUTE_PGM_RSRC2:TGID_Y_EN: 0
; COMPUTE_PGM_RSRC2:TGID_Z_EN: 0
; COMPUTE_PGM_RSRC2:TIDIG_COMP_CNT: 0
	.section	.text._ZN9rocsparseL26csrgemm_fill_block_per_rowILj1024ELj32ELj2048ELj137ELj64EiidEEvT5_PKS1_S3_NS_24const_host_device_scalarIT6_EEPKT4_S3_PKS5_S9_S3_SB_S6_S9_S3_SB_S9_PS1_PS5_21rocsparse_index_base_SE_SE_SE_bbb,"axG",@progbits,_ZN9rocsparseL26csrgemm_fill_block_per_rowILj1024ELj32ELj2048ELj137ELj64EiidEEvT5_PKS1_S3_NS_24const_host_device_scalarIT6_EEPKT4_S3_PKS5_S9_S3_SB_S6_S9_S3_SB_S9_PS1_PS5_21rocsparse_index_base_SE_SE_SE_bbb,comdat
	.globl	_ZN9rocsparseL26csrgemm_fill_block_per_rowILj1024ELj32ELj2048ELj137ELj64EiidEEvT5_PKS1_S3_NS_24const_host_device_scalarIT6_EEPKT4_S3_PKS5_S9_S3_SB_S6_S9_S3_SB_S9_PS1_PS5_21rocsparse_index_base_SE_SE_SE_bbb ; -- Begin function _ZN9rocsparseL26csrgemm_fill_block_per_rowILj1024ELj32ELj2048ELj137ELj64EiidEEvT5_PKS1_S3_NS_24const_host_device_scalarIT6_EEPKT4_S3_PKS5_S9_S3_SB_S6_S9_S3_SB_S9_PS1_PS5_21rocsparse_index_base_SE_SE_SE_bbb
	.p2align	8
	.type	_ZN9rocsparseL26csrgemm_fill_block_per_rowILj1024ELj32ELj2048ELj137ELj64EiidEEvT5_PKS1_S3_NS_24const_host_device_scalarIT6_EEPKT4_S3_PKS5_S9_S3_SB_S6_S9_S3_SB_S9_PS1_PS5_21rocsparse_index_base_SE_SE_SE_bbb,@function
_ZN9rocsparseL26csrgemm_fill_block_per_rowILj1024ELj32ELj2048ELj137ELj64EiidEEvT5_PKS1_S3_NS_24const_host_device_scalarIT6_EEPKT4_S3_PKS5_S9_S3_SB_S6_S9_S3_SB_S9_PS1_PS5_21rocsparse_index_base_SE_SE_SE_bbb: ; @_ZN9rocsparseL26csrgemm_fill_block_per_rowILj1024ELj32ELj2048ELj137ELj64EiidEEvT5_PKS1_S3_NS_24const_host_device_scalarIT6_EEPKT4_S3_PKS5_S9_S3_SB_S6_S9_S3_SB_S9_PS1_PS5_21rocsparse_index_base_SE_SE_SE_bbb
; %bb.0:
	s_clause 0x3
	s_load_b32 s12, s[0:1], 0x98
	s_load_b64 s[4:5], s[0:1], 0x18
	s_load_b128 s[24:27], s[0:1], 0x88
	s_load_b64 s[2:3], s[0:1], 0x50
	s_waitcnt lgkmcnt(0)
	s_and_b32 s6, 1, s12
	s_bitcmp1_b32 s12, 16
	s_cselect_b32 s14, -1, 0
	s_cmp_eq_u32 s6, 1
	s_cselect_b32 s13, -1, 0
	s_delay_alu instid0(SALU_CYCLE_1)
	s_and_b32 s6, s13, exec_lo
	s_cselect_b32 s7, s5, 0
	s_cselect_b32 s6, s4, 0
	s_xor_b32 s8, s13, -1
	v_dual_mov_b32 v3, s6 :: v_dual_mov_b32 v4, s7
	s_or_b32 s8, s8, s14
	s_delay_alu instid0(SALU_CYCLE_1)
	s_and_b32 vcc_lo, exec_lo, s8
	s_cbranch_vccnz .LBB34_2
; %bb.1:
	v_dual_mov_b32 v1, s4 :: v_dual_mov_b32 v2, s5
	flat_load_b64 v[3:4], v[1:2]
.LBB34_2:
	s_clause 0x4
	s_load_b128 s[28:31], s[0:1], 0x78
	s_load_b256 s[16:23], s[0:1], 0x58
	s_load_b128 s[36:39], s[0:1], 0x40
	s_load_b128 s[40:43], s[0:1], 0x8
	s_load_b256 s[4:11], s[0:1], 0x20
	s_bitcmp1_b32 s12, 8
	s_cselect_b32 s12, -1, 0
	s_delay_alu instid0(SALU_CYCLE_1)
	s_and_b32 s33, s12, exec_lo
	s_cselect_b32 s35, s3, 0
	s_cselect_b32 s34, s2, 0
	s_xor_b32 s33, s12, -1
	v_dual_mov_b32 v1, s34 :: v_dual_mov_b32 v2, s35
	s_or_b32 s14, s33, s14
	s_delay_alu instid0(SALU_CYCLE_1)
	s_and_b32 vcc_lo, exec_lo, s14
	s_cbranch_vccnz .LBB34_4
; %bb.3:
	v_dual_mov_b32 v1, s2 :: v_dual_mov_b32 v2, s3
	flat_load_b64 v[1:2], v[1:2]
.LBB34_4:
	s_load_b32 s33, s[0:1], 0x0
	v_dual_mov_b32 v5, 0 :: v_dual_lshlrev_b32 v6, 3, v0
	v_lshl_add_u32 v15, v0, 2, 0
	v_or_b32_e32 v16, 0xfffffc00, v0
	s_mov_b32 s0, 0
	s_delay_alu instid0(VALU_DEP_3) | instskip(NEXT) | instid1(VALU_DEP_3)
	v_add3_u32 v17, v6, 0, 0x2000
	v_dual_mov_b32 v6, v5 :: v_dual_mov_b32 v7, v15
	s_delay_alu instid0(VALU_DEP_3) | instskip(SKIP_1) | instid1(VALU_DEP_3)
	v_mov_b32_e32 v8, v16
	s_waitcnt lgkmcnt(0)
	v_dual_mov_b32 v10, v17 :: v_dual_mov_b32 v9, s33
.LBB34_5:                               ; =>This Inner Loop Header: Depth=1
	s_delay_alu instid0(VALU_DEP_2) | instskip(NEXT) | instid1(VALU_DEP_1)
	v_add_co_u32 v8, s1, 0x400, v8
	s_xor_b32 s1, s1, -1
	ds_store_b32 v7, v9
	ds_store_b64 v10, v[5:6]
	v_add_nc_u32_e32 v10, 0x2000, v10
	v_add_nc_u32_e32 v7, 0x1000, v7
	s_and_b32 s1, exec_lo, s1
	s_delay_alu instid0(SALU_CYCLE_1) | instskip(NEXT) | instid1(SALU_CYCLE_1)
	s_or_b32 s0, s1, s0
	s_and_not1_b32 exec_lo, exec_lo, s0
	s_cbranch_execnz .LBB34_5
; %bb.6:
	s_or_b32 exec_lo, exec_lo, s0
	s_waitcnt vmcnt(0) lgkmcnt(0)
	s_barrier
	buffer_gl0_inv
	s_load_b32 s0, s[40:41], 0x0
	s_mov_b32 s1, 0
	s_waitcnt lgkmcnt(0)
	s_add_i32 s0, s0, s15
	s_delay_alu instid0(SALU_CYCLE_1) | instskip(NEXT) | instid1(SALU_CYCLE_1)
	s_lshl_b64 s[0:1], s[0:1], 2
	s_add_u32 s0, s42, s0
	s_addc_u32 s1, s43, s1
	s_and_b32 vcc_lo, exec_lo, s13
	s_load_b32 s34, s[0:1], 0x0
	s_cbranch_vccz .LBB34_30
; %bb.7:
	s_waitcnt lgkmcnt(0)
	s_ashr_i32 s35, s34, 31
	v_lshrrev_b32_e32 v5, 5, v0
	s_lshl_b64 s[0:1], s[34:35], 2
	s_delay_alu instid0(SALU_CYCLE_1) | instskip(SKIP_1) | instid1(VALU_DEP_1)
	s_add_u32 s0, s4, s0
	s_addc_u32 s1, s5, s1
	v_subrev_nc_u32_e32 v5, s24, v5
	s_load_b64 s[0:1], s[0:1], 0x0
	s_waitcnt lgkmcnt(0)
	s_delay_alu instid0(VALU_DEP_1) | instskip(SKIP_2) | instid1(VALU_DEP_1)
	v_add_nc_u32_e32 v5, s0, v5
	s_sub_i32 s0, s1, s24
	s_mov_b32 s1, exec_lo
	v_cmpx_gt_i32_e64 s0, v5
	s_cbranch_execz .LBB34_29
; %bb.8:
	v_and_b32_e32 v6, 31, v0
	s_mov_b32 s2, 0
	s_delay_alu instid0(VALU_DEP_1)
	v_subrev_nc_u32_e32 v18, s25, v6
	s_branch .LBB34_10
.LBB34_9:                               ;   in Loop: Header=BB34_10 Depth=1
	s_or_b32 exec_lo, exec_lo, s3
	v_add_nc_u32_e32 v5, 32, v5
	s_delay_alu instid0(VALU_DEP_1) | instskip(SKIP_1) | instid1(SALU_CYCLE_1)
	v_cmp_le_i32_e32 vcc_lo, s0, v5
	s_or_b32 s2, vcc_lo, s2
	s_and_not1_b32 exec_lo, exec_lo, s2
	s_cbranch_execz .LBB34_29
.LBB34_10:                              ; =>This Loop Header: Depth=1
                                        ;     Child Loop BB34_13 Depth 2
                                        ;       Child Loop BB34_15 Depth 3
                                        ;         Child Loop BB34_21 Depth 4
                                        ;         Child Loop BB34_27 Depth 4
	v_ashrrev_i32_e32 v6, 31, v5
	s_mov_b32 s3, exec_lo
	s_delay_alu instid0(VALU_DEP_1) | instskip(NEXT) | instid1(VALU_DEP_1)
	v_lshlrev_b64 v[7:8], 2, v[5:6]
	v_add_co_u32 v7, vcc_lo, s6, v7
	s_delay_alu instid0(VALU_DEP_2) | instskip(SKIP_3) | instid1(VALU_DEP_1)
	v_add_co_ci_u32_e32 v8, vcc_lo, s7, v8, vcc_lo
	global_load_b32 v7, v[7:8], off
	s_waitcnt vmcnt(0)
	v_subrev_nc_u32_e32 v7, s24, v7
	v_ashrrev_i32_e32 v8, 31, v7
	s_delay_alu instid0(VALU_DEP_1) | instskip(NEXT) | instid1(VALU_DEP_1)
	v_lshlrev_b64 v[7:8], 2, v[7:8]
	v_add_co_u32 v7, vcc_lo, s10, v7
	s_delay_alu instid0(VALU_DEP_2) | instskip(SKIP_4) | instid1(VALU_DEP_1)
	v_add_co_ci_u32_e32 v8, vcc_lo, s11, v8, vcc_lo
	global_load_b64 v[7:8], v[7:8], off
	s_waitcnt vmcnt(0)
	v_subrev_nc_u32_e32 v19, s25, v8
	v_add_nc_u32_e32 v7, v7, v18
	v_cmpx_lt_i32_e64 v7, v19
	s_cbranch_execz .LBB34_9
; %bb.11:                               ;   in Loop: Header=BB34_10 Depth=1
	v_lshlrev_b64 v[8:9], 3, v[5:6]
	s_mov_b32 s4, 0
	s_delay_alu instid0(VALU_DEP_1) | instskip(NEXT) | instid1(VALU_DEP_2)
	v_add_co_u32 v8, vcc_lo, s8, v8
	v_add_co_ci_u32_e32 v9, vcc_lo, s9, v9, vcc_lo
	global_load_b64 v[8:9], v[8:9], off
	s_waitcnt vmcnt(0)
	v_mul_f64 v[9:10], v[3:4], v[8:9]
	s_branch .LBB34_13
.LBB34_12:                              ;   in Loop: Header=BB34_13 Depth=2
	s_or_b32 exec_lo, exec_lo, s5
	v_add_nc_u32_e32 v7, 32, v7
	s_delay_alu instid0(VALU_DEP_1) | instskip(SKIP_1) | instid1(SALU_CYCLE_1)
	v_cmp_ge_i32_e32 vcc_lo, v7, v19
	s_or_b32 s4, vcc_lo, s4
	s_and_not1_b32 exec_lo, exec_lo, s4
	s_cbranch_execz .LBB34_9
.LBB34_13:                              ;   Parent Loop BB34_10 Depth=1
                                        ; =>  This Loop Header: Depth=2
                                        ;       Child Loop BB34_15 Depth 3
                                        ;         Child Loop BB34_21 Depth 4
                                        ;         Child Loop BB34_27 Depth 4
	v_ashrrev_i32_e32 v8, 31, v7
	s_mov_b32 s5, 0
	s_delay_alu instid0(VALU_DEP_1) | instskip(SKIP_1) | instid1(VALU_DEP_2)
	v_lshlrev_b64 v[11:12], 3, v[7:8]
	v_lshlrev_b64 v[13:14], 2, v[7:8]
	v_add_co_u32 v11, vcc_lo, s38, v11
	s_delay_alu instid0(VALU_DEP_3) | instskip(NEXT) | instid1(VALU_DEP_3)
	v_add_co_ci_u32_e32 v12, vcc_lo, s39, v12, vcc_lo
	v_add_co_u32 v13, vcc_lo, s36, v13
	s_delay_alu instid0(VALU_DEP_4)
	v_add_co_ci_u32_e32 v14, vcc_lo, s37, v14, vcc_lo
	global_load_b64 v[11:12], v[11:12], off
	global_load_b32 v6, v[13:14], off
	s_waitcnt vmcnt(1)
	v_mul_f64 v[11:12], v[9:10], v[11:12]
	s_waitcnt vmcnt(0)
	v_subrev_nc_u32_e32 v6, s25, v6
	s_delay_alu instid0(VALU_DEP_1) | instskip(NEXT) | instid1(VALU_DEP_1)
	v_mul_lo_u32 v8, 0x89, v6
	v_and_b32_e32 v8, 0x7ff, v8
	s_branch .LBB34_15
.LBB34_14:                              ;   in Loop: Header=BB34_15 Depth=3
	s_or_b32 exec_lo, exec_lo, s13
	s_xor_b32 s13, s14, -1
	s_delay_alu instid0(SALU_CYCLE_1) | instskip(NEXT) | instid1(SALU_CYCLE_1)
	s_and_b32 s13, exec_lo, s13
	s_or_b32 s5, s13, s5
	s_delay_alu instid0(SALU_CYCLE_1)
	s_and_not1_b32 exec_lo, exec_lo, s5
	s_cbranch_execz .LBB34_12
.LBB34_15:                              ;   Parent Loop BB34_10 Depth=1
                                        ;     Parent Loop BB34_13 Depth=2
                                        ; =>    This Loop Header: Depth=3
                                        ;         Child Loop BB34_21 Depth 4
                                        ;         Child Loop BB34_27 Depth 4
	s_delay_alu instid0(VALU_DEP_1)
	v_lshl_add_u32 v13, v8, 2, 0
	s_mov_b32 s13, exec_lo
                                        ; implicit-def: $sgpr14
	ds_load_b32 v14, v13
	s_waitcnt lgkmcnt(0)
	v_cmpx_ne_u32_e64 v14, v6
	s_xor_b32 s13, exec_lo, s13
	s_cbranch_execz .LBB34_25
; %bb.16:                               ;   in Loop: Header=BB34_15 Depth=3
	s_mov_b32 s15, exec_lo
                                        ; implicit-def: $sgpr14
	v_cmpx_ne_u32_e64 s33, v14
	s_xor_b32 s15, exec_lo, s15
; %bb.17:                               ;   in Loop: Header=BB34_15 Depth=3
	v_add_nc_u32_e32 v8, 1, v8
	s_mov_b32 s14, -1
                                        ; implicit-def: $vgpr13
	s_delay_alu instid0(VALU_DEP_1)
	v_and_b32_e32 v8, 0x7ff, v8
; %bb.18:                               ;   in Loop: Header=BB34_15 Depth=3
	s_and_not1_saveexec_b32 s15, s15
	s_cbranch_execz .LBB34_24
; %bb.19:                               ;   in Loop: Header=BB34_15 Depth=3
	v_mov_b32_e32 v14, s33
	s_mov_b32 s40, -1
	s_mov_b32 s35, exec_lo
	ds_cmpstore_rtn_b32 v14, v13, v6, v14
	s_waitcnt lgkmcnt(0)
	v_cmpx_eq_u32_e64 s33, v14
	s_cbranch_execz .LBB34_23
; %bb.20:                               ;   in Loop: Header=BB34_15 Depth=3
	v_lshlrev_b32_e32 v14, 2, v8
	s_mov_b32 s40, 0
	s_delay_alu instid0(VALU_DEP_1)
	v_add_nc_u32_e32 v20, v13, v14
	ds_load_b64 v[13:14], v20 offset:8192
.LBB34_21:                              ;   Parent Loop BB34_10 Depth=1
                                        ;     Parent Loop BB34_13 Depth=2
                                        ;       Parent Loop BB34_15 Depth=3
                                        ; =>      This Inner Loop Header: Depth=4
	s_waitcnt lgkmcnt(0)
	v_add_f64 v[21:22], v[13:14], v[11:12]
	ds_cmpstore_rtn_b64 v[21:22], v20, v[21:22], v[13:14] offset:8192
	s_waitcnt lgkmcnt(0)
	v_cmp_eq_u64_e32 vcc_lo, v[21:22], v[13:14]
	v_dual_mov_b32 v13, v21 :: v_dual_mov_b32 v14, v22
	s_or_b32 s40, vcc_lo, s40
	s_delay_alu instid0(SALU_CYCLE_1)
	s_and_not1_b32 exec_lo, exec_lo, s40
	s_cbranch_execnz .LBB34_21
; %bb.22:                               ;   in Loop: Header=BB34_15 Depth=3
	s_or_b32 exec_lo, exec_lo, s40
	s_delay_alu instid0(SALU_CYCLE_1)
	s_xor_b32 s40, exec_lo, -1
.LBB34_23:                              ;   in Loop: Header=BB34_15 Depth=3
	s_or_b32 exec_lo, exec_lo, s35
	s_delay_alu instid0(SALU_CYCLE_1) | instskip(SKIP_1) | instid1(SALU_CYCLE_1)
	s_and_not1_b32 s14, s14, exec_lo
	s_and_b32 s35, s40, exec_lo
	s_or_b32 s14, s14, s35
.LBB34_24:                              ;   in Loop: Header=BB34_15 Depth=3
	s_or_b32 exec_lo, exec_lo, s15
	s_delay_alu instid0(SALU_CYCLE_1)
	s_and_b32 s14, s14, exec_lo
                                        ; implicit-def: $vgpr13
.LBB34_25:                              ;   in Loop: Header=BB34_15 Depth=3
	s_and_not1_saveexec_b32 s13, s13
	s_cbranch_execz .LBB34_14
; %bb.26:                               ;   in Loop: Header=BB34_15 Depth=3
	v_lshlrev_b32_e32 v14, 2, v8
	s_mov_b32 s15, 0
	s_delay_alu instid0(VALU_DEP_1)
	v_add_nc_u32_e32 v20, v13, v14
	ds_load_b64 v[13:14], v20 offset:8192
.LBB34_27:                              ;   Parent Loop BB34_10 Depth=1
                                        ;     Parent Loop BB34_13 Depth=2
                                        ;       Parent Loop BB34_15 Depth=3
                                        ; =>      This Inner Loop Header: Depth=4
	s_waitcnt lgkmcnt(0)
	v_add_f64 v[21:22], v[13:14], v[11:12]
	ds_cmpstore_rtn_b64 v[21:22], v20, v[21:22], v[13:14] offset:8192
	s_waitcnt lgkmcnt(0)
	v_cmp_eq_u64_e32 vcc_lo, v[21:22], v[13:14]
	v_dual_mov_b32 v13, v21 :: v_dual_mov_b32 v14, v22
	s_or_b32 s15, vcc_lo, s15
	s_delay_alu instid0(SALU_CYCLE_1)
	s_and_not1_b32 exec_lo, exec_lo, s15
	s_cbranch_execnz .LBB34_27
; %bb.28:                               ;   in Loop: Header=BB34_15 Depth=3
	s_or_b32 exec_lo, exec_lo, s15
	s_delay_alu instid0(SALU_CYCLE_1)
	s_and_not1_b32 s14, s14, exec_lo
	s_branch .LBB34_14
.LBB34_29:
	s_or_b32 exec_lo, exec_lo, s1
.LBB34_30:
	s_delay_alu instid0(SALU_CYCLE_1)
	s_and_not1_b32 vcc_lo, exec_lo, s12
	s_cbranch_vccnz .LBB34_51
; %bb.31:
	s_waitcnt lgkmcnt(0)
	s_ashr_i32 s35, s34, 31
	v_subrev_nc_u32_e32 v3, s27, v0
	s_lshl_b64 s[0:1], s[34:35], 2
	s_delay_alu instid0(SALU_CYCLE_1)
	s_add_u32 s0, s16, s0
	s_addc_u32 s1, s17, s1
	s_load_b64 s[0:1], s[0:1], 0x0
	s_waitcnt lgkmcnt(0)
	v_add_nc_u32_e32 v3, s0, v3
	s_sub_i32 s0, s1, s27
	s_mov_b32 s1, exec_lo
	s_delay_alu instid0(VALU_DEP_1)
	v_cmpx_gt_i32_e64 s0, v3
	s_cbranch_execz .LBB34_50
; %bb.32:
	s_mov_b32 s2, 0
	s_branch .LBB34_34
.LBB34_33:                              ;   in Loop: Header=BB34_34 Depth=1
	s_or_b32 exec_lo, exec_lo, s3
	v_add_nc_u32_e32 v3, 0x400, v3
	s_delay_alu instid0(VALU_DEP_1) | instskip(SKIP_1) | instid1(SALU_CYCLE_1)
	v_cmp_le_i32_e32 vcc_lo, s0, v3
	s_or_b32 s2, vcc_lo, s2
	s_and_not1_b32 exec_lo, exec_lo, s2
	s_cbranch_execz .LBB34_50
.LBB34_34:                              ; =>This Loop Header: Depth=1
                                        ;     Child Loop BB34_36 Depth 2
                                        ;       Child Loop BB34_42 Depth 3
                                        ;       Child Loop BB34_48 Depth 3
	v_ashrrev_i32_e32 v4, 31, v3
	s_mov_b32 s3, 0
	s_delay_alu instid0(VALU_DEP_1) | instskip(SKIP_1) | instid1(VALU_DEP_2)
	v_lshlrev_b64 v[5:6], 3, v[3:4]
	v_lshlrev_b64 v[7:8], 2, v[3:4]
	v_add_co_u32 v5, vcc_lo, s20, v5
	s_delay_alu instid0(VALU_DEP_3) | instskip(NEXT) | instid1(VALU_DEP_3)
	v_add_co_ci_u32_e32 v6, vcc_lo, s21, v6, vcc_lo
	v_add_co_u32 v7, vcc_lo, s18, v7
	s_delay_alu instid0(VALU_DEP_4)
	v_add_co_ci_u32_e32 v8, vcc_lo, s19, v8, vcc_lo
	global_load_b64 v[5:6], v[5:6], off
	global_load_b32 v7, v[7:8], off
	s_waitcnt vmcnt(1)
	v_mul_f64 v[4:5], v[1:2], v[5:6]
	s_waitcnt vmcnt(0)
	v_subrev_nc_u32_e32 v8, s27, v7
	s_delay_alu instid0(VALU_DEP_1) | instskip(NEXT) | instid1(VALU_DEP_1)
	v_mul_lo_u32 v6, 0x89, v8
	v_and_b32_e32 v9, 0x7ff, v6
	s_branch .LBB34_36
.LBB34_35:                              ;   in Loop: Header=BB34_36 Depth=2
	s_or_b32 exec_lo, exec_lo, s4
	s_xor_b32 s4, s5, -1
	s_delay_alu instid0(SALU_CYCLE_1) | instskip(NEXT) | instid1(SALU_CYCLE_1)
	s_and_b32 s4, exec_lo, s4
	s_or_b32 s3, s4, s3
	s_delay_alu instid0(SALU_CYCLE_1)
	s_and_not1_b32 exec_lo, exec_lo, s3
	s_cbranch_execz .LBB34_33
.LBB34_36:                              ;   Parent Loop BB34_34 Depth=1
                                        ; =>  This Loop Header: Depth=2
                                        ;       Child Loop BB34_42 Depth 3
                                        ;       Child Loop BB34_48 Depth 3
	s_delay_alu instid0(VALU_DEP_1)
	v_lshl_add_u32 v6, v9, 2, 0
	s_mov_b32 s4, exec_lo
                                        ; implicit-def: $sgpr5
	ds_load_b32 v7, v6
	s_waitcnt lgkmcnt(0)
	v_cmpx_ne_u32_e64 v7, v8
	s_xor_b32 s4, exec_lo, s4
	s_cbranch_execz .LBB34_46
; %bb.37:                               ;   in Loop: Header=BB34_36 Depth=2
	s_mov_b32 s6, exec_lo
                                        ; implicit-def: $sgpr5
	v_cmpx_ne_u32_e64 s33, v7
	s_xor_b32 s6, exec_lo, s6
; %bb.38:                               ;   in Loop: Header=BB34_36 Depth=2
	v_add_nc_u32_e32 v6, 1, v9
	s_mov_b32 s5, -1
	s_delay_alu instid0(VALU_DEP_1)
	v_and_b32_e32 v9, 0x7ff, v6
                                        ; implicit-def: $vgpr6
; %bb.39:                               ;   in Loop: Header=BB34_36 Depth=2
	s_and_not1_saveexec_b32 s6, s6
	s_cbranch_execz .LBB34_45
; %bb.40:                               ;   in Loop: Header=BB34_36 Depth=2
	v_mov_b32_e32 v7, s33
	s_mov_b32 s8, -1
	s_mov_b32 s7, exec_lo
	ds_cmpstore_rtn_b32 v7, v6, v8, v7
	s_waitcnt lgkmcnt(0)
	v_cmpx_eq_u32_e64 s33, v7
	s_cbranch_execz .LBB34_44
; %bb.41:                               ;   in Loop: Header=BB34_36 Depth=2
	v_lshlrev_b32_e32 v7, 2, v9
	s_mov_b32 s8, 0
	s_delay_alu instid0(VALU_DEP_1)
	v_add_nc_u32_e32 v10, v6, v7
	ds_load_b64 v[6:7], v10 offset:8192
.LBB34_42:                              ;   Parent Loop BB34_34 Depth=1
                                        ;     Parent Loop BB34_36 Depth=2
                                        ; =>    This Inner Loop Header: Depth=3
	s_waitcnt lgkmcnt(0)
	v_add_f64 v[11:12], v[6:7], v[4:5]
	ds_cmpstore_rtn_b64 v[11:12], v10, v[11:12], v[6:7] offset:8192
	s_waitcnt lgkmcnt(0)
	v_cmp_eq_u64_e32 vcc_lo, v[11:12], v[6:7]
	v_dual_mov_b32 v6, v11 :: v_dual_mov_b32 v7, v12
	s_or_b32 s8, vcc_lo, s8
	s_delay_alu instid0(SALU_CYCLE_1)
	s_and_not1_b32 exec_lo, exec_lo, s8
	s_cbranch_execnz .LBB34_42
; %bb.43:                               ;   in Loop: Header=BB34_36 Depth=2
	s_or_b32 exec_lo, exec_lo, s8
	s_delay_alu instid0(SALU_CYCLE_1)
	s_xor_b32 s8, exec_lo, -1
.LBB34_44:                              ;   in Loop: Header=BB34_36 Depth=2
	s_or_b32 exec_lo, exec_lo, s7
	s_delay_alu instid0(SALU_CYCLE_1) | instskip(SKIP_1) | instid1(SALU_CYCLE_1)
	s_and_not1_b32 s5, s5, exec_lo
	s_and_b32 s7, s8, exec_lo
	s_or_b32 s5, s5, s7
.LBB34_45:                              ;   in Loop: Header=BB34_36 Depth=2
	s_or_b32 exec_lo, exec_lo, s6
	s_delay_alu instid0(SALU_CYCLE_1)
	s_and_b32 s5, s5, exec_lo
                                        ; implicit-def: $vgpr6
.LBB34_46:                              ;   in Loop: Header=BB34_36 Depth=2
	s_and_not1_saveexec_b32 s4, s4
	s_cbranch_execz .LBB34_35
; %bb.47:                               ;   in Loop: Header=BB34_36 Depth=2
	v_lshlrev_b32_e32 v7, 2, v9
	s_mov_b32 s6, 0
	s_delay_alu instid0(VALU_DEP_1)
	v_add_nc_u32_e32 v10, v6, v7
	ds_load_b64 v[6:7], v10 offset:8192
.LBB34_48:                              ;   Parent Loop BB34_34 Depth=1
                                        ;     Parent Loop BB34_36 Depth=2
                                        ; =>    This Inner Loop Header: Depth=3
	s_waitcnt lgkmcnt(0)
	v_add_f64 v[11:12], v[6:7], v[4:5]
	ds_cmpstore_rtn_b64 v[11:12], v10, v[11:12], v[6:7] offset:8192
	s_waitcnt lgkmcnt(0)
	v_cmp_eq_u64_e32 vcc_lo, v[11:12], v[6:7]
	v_dual_mov_b32 v6, v11 :: v_dual_mov_b32 v7, v12
	s_or_b32 s6, vcc_lo, s6
	s_delay_alu instid0(SALU_CYCLE_1)
	s_and_not1_b32 exec_lo, exec_lo, s6
	s_cbranch_execnz .LBB34_48
; %bb.49:                               ;   in Loop: Header=BB34_36 Depth=2
	s_or_b32 exec_lo, exec_lo, s6
	s_delay_alu instid0(SALU_CYCLE_1)
	s_and_not1_b32 s5, s5, exec_lo
	s_branch .LBB34_35
.LBB34_50:
	s_or_b32 exec_lo, exec_lo, s1
.LBB34_51:
	v_mbcnt_lo_u32_b32 v1, -1, 0
	v_lshrrev_b32_e32 v2, 4, v0
	v_cmp_eq_u32_e32 vcc_lo, 0x3ff, v0
	v_cmp_lt_u32_e64 s0, 63, v0
	v_cmp_lt_u32_e64 s1, 0x7f, v0
	v_xor_b32_e32 v1, 63, v1
	v_dual_mov_b32 v6, 0 :: v_dual_and_b32 v3, 60, v2
	v_cmp_lt_u32_e64 s2, 0xbf, v0
	v_cmp_lt_u32_e64 s3, 0xff, v0
	s_delay_alu instid0(VALU_DEP_4) | instskip(NEXT) | instid1(VALU_DEP_4)
	v_lshrrev_b64 v[1:2], v1, -1
	v_dual_mov_b32 v5, 0 :: v_dual_add_nc_u32 v4, 0, v3
	v_cmp_lt_u32_e64 s4, 0x13f, v0
	v_cmp_lt_u32_e64 s5, 0x17f, v0
	;; [unrolled: 1-line block ×11, first 2 shown]
	s_mov_b32 s16, 0
	s_waitcnt lgkmcnt(0)
	s_barrier
	buffer_gl0_inv
	s_branch .LBB34_53
.LBB34_52:                              ;   in Loop: Header=BB34_53 Depth=1
	s_or_b32 exec_lo, exec_lo, s15
	s_waitcnt lgkmcnt(0)
	s_barrier
	buffer_gl0_inv
	ds_load_b32 v2, v5 offset:24636
	v_add_co_u32 v16, s15, 0x400, v16
	s_delay_alu instid0(VALU_DEP_1) | instskip(SKIP_3) | instid1(SALU_CYCLE_1)
	s_xor_b32 s15, s15, -1
	v_add_nc_u32_e32 v17, 0x2000, v17
	v_add_nc_u32_e32 v15, 0x1000, v15
	s_and_b32 s15, exec_lo, s15
	s_or_b32 s16, s15, s16
	s_waitcnt lgkmcnt(0)
	v_add_nc_u32_e32 v6, v2, v6
	s_and_not1_b32 exec_lo, exec_lo, s16
	s_cbranch_execz .LBB34_87
.LBB34_53:                              ; =>This Inner Loop Header: Depth=1
	ds_load_b32 v7, v15
	ds_load_b64 v[2:3], v17
	s_waitcnt lgkmcnt(0)
	s_barrier
	buffer_gl0_inv
	v_cmp_gt_i32_e64 s15, s33, v7
	s_delay_alu instid0(VALU_DEP_1) | instskip(NEXT) | instid1(SALU_CYCLE_1)
	s_bcnt1_i32_b32 s17, s15
	v_dual_mov_b32 v9, s17 :: v_dual_and_b32 v8, s15, v1
	s_delay_alu instid0(VALU_DEP_1)
	v_bcnt_u32_b32 v8, v8, 0
	ds_store_b32 v4, v9 offset:24576
	s_waitcnt lgkmcnt(0)
	s_barrier
	buffer_gl0_inv
	s_and_saveexec_b32 s17, s0
	s_cbranch_execnz .LBB34_70
; %bb.54:                               ;   in Loop: Header=BB34_53 Depth=1
	s_or_b32 exec_lo, exec_lo, s17
	s_and_saveexec_b32 s17, s1
	s_cbranch_execnz .LBB34_71
.LBB34_55:                              ;   in Loop: Header=BB34_53 Depth=1
	s_or_b32 exec_lo, exec_lo, s17
	s_and_saveexec_b32 s17, s2
	s_cbranch_execnz .LBB34_72
.LBB34_56:                              ;   in Loop: Header=BB34_53 Depth=1
	s_or_b32 exec_lo, exec_lo, s17
	s_and_saveexec_b32 s17, s3
	s_cbranch_execnz .LBB34_73
.LBB34_57:                              ;   in Loop: Header=BB34_53 Depth=1
	s_or_b32 exec_lo, exec_lo, s17
	s_and_saveexec_b32 s17, s4
	s_cbranch_execnz .LBB34_74
.LBB34_58:                              ;   in Loop: Header=BB34_53 Depth=1
	s_or_b32 exec_lo, exec_lo, s17
	s_and_saveexec_b32 s17, s5
	s_cbranch_execnz .LBB34_75
.LBB34_59:                              ;   in Loop: Header=BB34_53 Depth=1
	s_or_b32 exec_lo, exec_lo, s17
	s_and_saveexec_b32 s17, s6
	s_cbranch_execnz .LBB34_76
.LBB34_60:                              ;   in Loop: Header=BB34_53 Depth=1
	s_or_b32 exec_lo, exec_lo, s17
	s_and_saveexec_b32 s17, s7
	s_cbranch_execnz .LBB34_77
.LBB34_61:                              ;   in Loop: Header=BB34_53 Depth=1
	s_or_b32 exec_lo, exec_lo, s17
	s_and_saveexec_b32 s17, s8
	s_cbranch_execnz .LBB34_78
.LBB34_62:                              ;   in Loop: Header=BB34_53 Depth=1
	s_or_b32 exec_lo, exec_lo, s17
	s_and_saveexec_b32 s17, s9
	s_cbranch_execnz .LBB34_79
.LBB34_63:                              ;   in Loop: Header=BB34_53 Depth=1
	s_or_b32 exec_lo, exec_lo, s17
	s_and_saveexec_b32 s17, s10
	s_cbranch_execnz .LBB34_80
.LBB34_64:                              ;   in Loop: Header=BB34_53 Depth=1
	s_or_b32 exec_lo, exec_lo, s17
	s_and_saveexec_b32 s17, s11
	s_cbranch_execnz .LBB34_81
.LBB34_65:                              ;   in Loop: Header=BB34_53 Depth=1
	s_or_b32 exec_lo, exec_lo, s17
	s_and_saveexec_b32 s17, s12
	s_cbranch_execnz .LBB34_82
.LBB34_66:                              ;   in Loop: Header=BB34_53 Depth=1
	s_or_b32 exec_lo, exec_lo, s17
	s_and_saveexec_b32 s17, s13
	s_cbranch_execnz .LBB34_83
.LBB34_67:                              ;   in Loop: Header=BB34_53 Depth=1
	s_or_b32 exec_lo, exec_lo, s17
	s_and_saveexec_b32 s17, s14
	s_cbranch_execnz .LBB34_84
.LBB34_68:                              ;   in Loop: Header=BB34_53 Depth=1
	s_or_b32 exec_lo, exec_lo, s17
	s_and_saveexec_b32 s17, s15
	s_cbranch_execnz .LBB34_85
.LBB34_69:                              ;   in Loop: Header=BB34_53 Depth=1
	s_or_b32 exec_lo, exec_lo, s17
	s_and_saveexec_b32 s15, vcc_lo
	s_cbranch_execz .LBB34_52
	s_branch .LBB34_86
.LBB34_70:                              ;   in Loop: Header=BB34_53 Depth=1
	ds_load_b32 v9, v5 offset:24576
	s_waitcnt lgkmcnt(0)
	v_add_nc_u32_e32 v8, v9, v8
	s_or_b32 exec_lo, exec_lo, s17
	s_and_saveexec_b32 s17, s1
	s_cbranch_execz .LBB34_55
.LBB34_71:                              ;   in Loop: Header=BB34_53 Depth=1
	ds_load_b32 v9, v5 offset:24580
	s_waitcnt lgkmcnt(0)
	v_add_nc_u32_e32 v8, v9, v8
	s_or_b32 exec_lo, exec_lo, s17
	s_and_saveexec_b32 s17, s2
	s_cbranch_execz .LBB34_56
.LBB34_72:                              ;   in Loop: Header=BB34_53 Depth=1
	ds_load_b32 v9, v5 offset:24584
	s_waitcnt lgkmcnt(0)
	v_add_nc_u32_e32 v8, v9, v8
	s_or_b32 exec_lo, exec_lo, s17
	s_and_saveexec_b32 s17, s3
	s_cbranch_execz .LBB34_57
.LBB34_73:                              ;   in Loop: Header=BB34_53 Depth=1
	ds_load_b32 v9, v5 offset:24588
	s_waitcnt lgkmcnt(0)
	v_add_nc_u32_e32 v8, v9, v8
	s_or_b32 exec_lo, exec_lo, s17
	s_and_saveexec_b32 s17, s4
	s_cbranch_execz .LBB34_58
.LBB34_74:                              ;   in Loop: Header=BB34_53 Depth=1
	ds_load_b32 v9, v5 offset:24592
	s_waitcnt lgkmcnt(0)
	v_add_nc_u32_e32 v8, v9, v8
	s_or_b32 exec_lo, exec_lo, s17
	s_and_saveexec_b32 s17, s5
	s_cbranch_execz .LBB34_59
.LBB34_75:                              ;   in Loop: Header=BB34_53 Depth=1
	ds_load_b32 v9, v5 offset:24596
	s_waitcnt lgkmcnt(0)
	v_add_nc_u32_e32 v8, v9, v8
	s_or_b32 exec_lo, exec_lo, s17
	s_and_saveexec_b32 s17, s6
	s_cbranch_execz .LBB34_60
.LBB34_76:                              ;   in Loop: Header=BB34_53 Depth=1
	ds_load_b32 v9, v5 offset:24600
	s_waitcnt lgkmcnt(0)
	v_add_nc_u32_e32 v8, v9, v8
	s_or_b32 exec_lo, exec_lo, s17
	s_and_saveexec_b32 s17, s7
	s_cbranch_execz .LBB34_61
.LBB34_77:                              ;   in Loop: Header=BB34_53 Depth=1
	ds_load_b32 v9, v5 offset:24604
	s_waitcnt lgkmcnt(0)
	v_add_nc_u32_e32 v8, v9, v8
	s_or_b32 exec_lo, exec_lo, s17
	s_and_saveexec_b32 s17, s8
	s_cbranch_execz .LBB34_62
.LBB34_78:                              ;   in Loop: Header=BB34_53 Depth=1
	ds_load_b32 v9, v5 offset:24608
	s_waitcnt lgkmcnt(0)
	v_add_nc_u32_e32 v8, v9, v8
	s_or_b32 exec_lo, exec_lo, s17
	s_and_saveexec_b32 s17, s9
	s_cbranch_execz .LBB34_63
.LBB34_79:                              ;   in Loop: Header=BB34_53 Depth=1
	ds_load_b32 v9, v5 offset:24612
	s_waitcnt lgkmcnt(0)
	v_add_nc_u32_e32 v8, v9, v8
	s_or_b32 exec_lo, exec_lo, s17
	s_and_saveexec_b32 s17, s10
	s_cbranch_execz .LBB34_64
.LBB34_80:                              ;   in Loop: Header=BB34_53 Depth=1
	ds_load_b32 v9, v5 offset:24616
	s_waitcnt lgkmcnt(0)
	v_add_nc_u32_e32 v8, v9, v8
	s_or_b32 exec_lo, exec_lo, s17
	s_and_saveexec_b32 s17, s11
	s_cbranch_execz .LBB34_65
.LBB34_81:                              ;   in Loop: Header=BB34_53 Depth=1
	ds_load_b32 v9, v5 offset:24620
	s_waitcnt lgkmcnt(0)
	v_add_nc_u32_e32 v8, v9, v8
	s_or_b32 exec_lo, exec_lo, s17
	s_and_saveexec_b32 s17, s12
	s_cbranch_execz .LBB34_66
.LBB34_82:                              ;   in Loop: Header=BB34_53 Depth=1
	ds_load_b32 v9, v5 offset:24624
	s_waitcnt lgkmcnt(0)
	v_add_nc_u32_e32 v8, v9, v8
	s_or_b32 exec_lo, exec_lo, s17
	s_and_saveexec_b32 s17, s13
	s_cbranch_execz .LBB34_67
.LBB34_83:                              ;   in Loop: Header=BB34_53 Depth=1
	ds_load_b32 v9, v5 offset:24628
	s_waitcnt lgkmcnt(0)
	v_add_nc_u32_e32 v8, v9, v8
	s_or_b32 exec_lo, exec_lo, s17
	s_and_saveexec_b32 s17, s14
	s_cbranch_execz .LBB34_68
.LBB34_84:                              ;   in Loop: Header=BB34_53 Depth=1
	ds_load_b32 v9, v5 offset:24632
	s_waitcnt lgkmcnt(0)
	v_add_nc_u32_e32 v8, v9, v8
	s_or_b32 exec_lo, exec_lo, s17
	s_and_saveexec_b32 s17, s15
	s_cbranch_execz .LBB34_69
.LBB34_85:                              ;   in Loop: Header=BB34_53 Depth=1
	s_delay_alu instid0(VALU_DEP_1) | instskip(NEXT) | instid1(VALU_DEP_1)
	v_add3_u32 v9, v6, -1, v8
	v_lshl_add_u32 v10, v9, 2, 0
	v_lshl_add_u32 v9, v9, 3, 0
	ds_store_b32 v10, v7
	ds_store_b64 v9, v[2:3] offset:8192
	s_or_b32 exec_lo, exec_lo, s17
	s_and_saveexec_b32 s15, vcc_lo
	s_cbranch_execz .LBB34_52
.LBB34_86:                              ;   in Loop: Header=BB34_53 Depth=1
	ds_store_b32 v5, v8 offset:24636
	s_branch .LBB34_52
.LBB34_87:
	s_or_b32 exec_lo, exec_lo, s16
	s_ashr_i32 s35, s34, 31
	s_mov_b32 s3, exec_lo
	s_lshl_b64 s[0:1], s[34:35], 2
	s_delay_alu instid0(SALU_CYCLE_1) | instskip(SKIP_4) | instid1(SALU_CYCLE_1)
	s_add_u32 s0, s22, s0
	s_addc_u32 s1, s23, s1
	s_load_b64 s[0:1], s[0:1], 0x0
	s_waitcnt lgkmcnt(0)
	s_sub_i32 s2, s1, s0
	v_cmpx_gt_i32_e64 s2, v0
	s_cbranch_execz .LBB34_97
; %bb.88:
	s_sub_i32 s3, s0, s26
	s_sub_i32 s0, s0, s1
	s_and_b32 s1, s2, 7
	s_cmp_lt_u32 s0, -7
	s_mov_b32 s7, 0
	s_cselect_b32 s4, -1, 0
	s_and_b32 s5, s2, -8
	s_cmp_lg_u32 s1, 0
	s_cselect_b32 s6, -1, 0
	s_branch .LBB34_90
.LBB34_89:                              ;   in Loop: Header=BB34_90 Depth=1
	s_delay_alu instid0(VALU_DEP_1) | instskip(SKIP_3) | instid1(VALU_DEP_3)
	v_ashrrev_i32_e32 v4, 31, v3
	v_add_nc_u32_e32 v0, 0x400, v0
	s_waitcnt lgkmcnt(1)
	v_add_nc_u32_e32 v8, s26, v5
	v_lshlrev_b64 v[6:7], 2, v[3:4]
	v_lshlrev_b64 v[3:4], 3, v[3:4]
	v_cmp_le_i32_e32 vcc_lo, s2, v0
	s_delay_alu instid0(VALU_DEP_3) | instskip(NEXT) | instid1(VALU_DEP_1)
	v_add_co_u32 v5, s0, s28, v6
	v_add_co_ci_u32_e64 v6, s0, s29, v7, s0
	s_delay_alu instid0(VALU_DEP_4) | instskip(NEXT) | instid1(VALU_DEP_1)
	v_add_co_u32 v3, s0, s30, v3
	v_add_co_ci_u32_e64 v4, s0, s31, v4, s0
	s_or_b32 s7, vcc_lo, s7
	global_store_b32 v[5:6], v8, off
	s_waitcnt lgkmcnt(0)
	global_store_b64 v[3:4], v[1:2], off
	s_and_not1_b32 exec_lo, exec_lo, s7
	s_cbranch_execz .LBB34_97
.LBB34_90:                              ; =>This Loop Header: Depth=1
                                        ;     Child Loop BB34_92 Depth 2
                                        ;     Child Loop BB34_96 Depth 2
	v_lshlrev_b32_e32 v1, 2, v0
	s_and_not1_b32 vcc_lo, exec_lo, s4
	s_mov_b32 s0, 0
	s_delay_alu instid0(VALU_DEP_1) | instskip(NEXT) | instid1(VALU_DEP_1)
	v_dual_mov_b32 v3, s3 :: v_dual_add_nc_u32 v2, 0, v1
	v_add_nc_u32_e32 v1, v2, v1
	ds_load_b32 v5, v2
	ds_load_b64 v[1:2], v1 offset:8192
	s_cbranch_vccnz .LBB34_94
; %bb.91:                               ;   in Loop: Header=BB34_90 Depth=1
	v_mov_b32_e32 v3, s3
	s_mov_b32 s8, 0
	s_set_inst_prefetch_distance 0x1
	.p2align	6
.LBB34_92:                              ;   Parent Loop BB34_90 Depth=1
                                        ; =>  This Inner Loop Header: Depth=2
	v_mov_b32_e32 v4, s8
	s_add_i32 s0, s0, 8
	s_add_i32 s8, s8, 32
	s_cmp_eq_u32 s5, s0
	ds_load_2addr_b32 v[6:7], v4 offset1:1
	ds_load_2addr_b32 v[8:9], v4 offset0:2 offset1:3
	ds_load_2addr_b32 v[10:11], v4 offset0:4 offset1:5
	;; [unrolled: 1-line block ×3, first 2 shown]
	s_waitcnt lgkmcnt(3)
	v_cmp_gt_i32_e32 vcc_lo, v5, v6
	v_cndmask_b32_e64 v4, 0, 1, vcc_lo
	s_waitcnt lgkmcnt(2)
	v_cmp_gt_i32_e32 vcc_lo, v5, v8
	v_cndmask_b32_e64 v6, 0, 1, vcc_lo
	v_cmp_gt_i32_e32 vcc_lo, v5, v7
	v_add_co_ci_u32_e32 v3, vcc_lo, v3, v4, vcc_lo
	s_waitcnt lgkmcnt(1)
	v_cmp_gt_i32_e32 vcc_lo, v5, v10
	v_cndmask_b32_e64 v4, 0, 1, vcc_lo
	v_cmp_gt_i32_e32 vcc_lo, v5, v9
	v_add_co_ci_u32_e32 v3, vcc_lo, v3, v6, vcc_lo
	;; [unrolled: 5-line block ×3, first 2 shown]
	v_cmp_gt_i32_e32 vcc_lo, v5, v13
	s_delay_alu instid0(VALU_DEP_2)
	v_add_co_ci_u32_e32 v3, vcc_lo, v3, v6, vcc_lo
	s_cbranch_scc0 .LBB34_92
; %bb.93:                               ;   in Loop: Header=BB34_90 Depth=1
	s_set_inst_prefetch_distance 0x2
	s_mov_b32 s0, s5
.LBB34_94:                              ;   in Loop: Header=BB34_90 Depth=1
	s_and_not1_b32 vcc_lo, exec_lo, s6
	s_cbranch_vccnz .LBB34_89
; %bb.95:                               ;   in Loop: Header=BB34_90 Depth=1
	s_lshl_b32 s0, s0, 2
	s_mov_b32 s8, s1
	s_add_i32 s0, s0, 0
.LBB34_96:                              ;   Parent Loop BB34_90 Depth=1
                                        ; =>  This Inner Loop Header: Depth=2
	s_delay_alu instid0(SALU_CYCLE_1)
	v_mov_b32_e32 v4, s0
	s_add_i32 s8, s8, -1
	s_add_i32 s0, s0, 4
	s_cmp_lg_u32 s8, 0
	ds_load_b32 v4, v4
	s_waitcnt lgkmcnt(0)
	v_cmp_gt_i32_e32 vcc_lo, v5, v4
	v_add_co_ci_u32_e32 v3, vcc_lo, 0, v3, vcc_lo
	s_cbranch_scc1 .LBB34_96
	s_branch .LBB34_89
.LBB34_97:
	s_nop 0
	s_sendmsg sendmsg(MSG_DEALLOC_VGPRS)
	s_endpgm
	.section	.rodata,"a",@progbits
	.p2align	6, 0x0
	.amdhsa_kernel _ZN9rocsparseL26csrgemm_fill_block_per_rowILj1024ELj32ELj2048ELj137ELj64EiidEEvT5_PKS1_S3_NS_24const_host_device_scalarIT6_EEPKT4_S3_PKS5_S9_S3_SB_S6_S9_S3_SB_S9_PS1_PS5_21rocsparse_index_base_SE_SE_SE_bbb
		.amdhsa_group_segment_fixed_size 0
		.amdhsa_private_segment_fixed_size 0
		.amdhsa_kernarg_size 156
		.amdhsa_user_sgpr_count 15
		.amdhsa_user_sgpr_dispatch_ptr 0
		.amdhsa_user_sgpr_queue_ptr 0
		.amdhsa_user_sgpr_kernarg_segment_ptr 1
		.amdhsa_user_sgpr_dispatch_id 0
		.amdhsa_user_sgpr_private_segment_size 0
		.amdhsa_wavefront_size32 1
		.amdhsa_uses_dynamic_stack 0
		.amdhsa_enable_private_segment 0
		.amdhsa_system_sgpr_workgroup_id_x 1
		.amdhsa_system_sgpr_workgroup_id_y 0
		.amdhsa_system_sgpr_workgroup_id_z 0
		.amdhsa_system_sgpr_workgroup_info 0
		.amdhsa_system_vgpr_workitem_id 0
		.amdhsa_next_free_vgpr 23
		.amdhsa_next_free_sgpr 44
		.amdhsa_reserve_vcc 1
		.amdhsa_float_round_mode_32 0
		.amdhsa_float_round_mode_16_64 0
		.amdhsa_float_denorm_mode_32 3
		.amdhsa_float_denorm_mode_16_64 3
		.amdhsa_dx10_clamp 1
		.amdhsa_ieee_mode 1
		.amdhsa_fp16_overflow 0
		.amdhsa_workgroup_processor_mode 1
		.amdhsa_memory_ordered 1
		.amdhsa_forward_progress 0
		.amdhsa_shared_vgpr_count 0
		.amdhsa_exception_fp_ieee_invalid_op 0
		.amdhsa_exception_fp_denorm_src 0
		.amdhsa_exception_fp_ieee_div_zero 0
		.amdhsa_exception_fp_ieee_overflow 0
		.amdhsa_exception_fp_ieee_underflow 0
		.amdhsa_exception_fp_ieee_inexact 0
		.amdhsa_exception_int_div_zero 0
	.end_amdhsa_kernel
	.section	.text._ZN9rocsparseL26csrgemm_fill_block_per_rowILj1024ELj32ELj2048ELj137ELj64EiidEEvT5_PKS1_S3_NS_24const_host_device_scalarIT6_EEPKT4_S3_PKS5_S9_S3_SB_S6_S9_S3_SB_S9_PS1_PS5_21rocsparse_index_base_SE_SE_SE_bbb,"axG",@progbits,_ZN9rocsparseL26csrgemm_fill_block_per_rowILj1024ELj32ELj2048ELj137ELj64EiidEEvT5_PKS1_S3_NS_24const_host_device_scalarIT6_EEPKT4_S3_PKS5_S9_S3_SB_S6_S9_S3_SB_S9_PS1_PS5_21rocsparse_index_base_SE_SE_SE_bbb,comdat
.Lfunc_end34:
	.size	_ZN9rocsparseL26csrgemm_fill_block_per_rowILj1024ELj32ELj2048ELj137ELj64EiidEEvT5_PKS1_S3_NS_24const_host_device_scalarIT6_EEPKT4_S3_PKS5_S9_S3_SB_S6_S9_S3_SB_S9_PS1_PS5_21rocsparse_index_base_SE_SE_SE_bbb, .Lfunc_end34-_ZN9rocsparseL26csrgemm_fill_block_per_rowILj1024ELj32ELj2048ELj137ELj64EiidEEvT5_PKS1_S3_NS_24const_host_device_scalarIT6_EEPKT4_S3_PKS5_S9_S3_SB_S6_S9_S3_SB_S9_PS1_PS5_21rocsparse_index_base_SE_SE_SE_bbb
                                        ; -- End function
	.section	.AMDGPU.csdata,"",@progbits
; Kernel info:
; codeLenInByte = 3536
; NumSgprs: 46
; NumVgprs: 23
; ScratchSize: 0
; MemoryBound: 0
; FloatMode: 240
; IeeeMode: 1
; LDSByteSize: 0 bytes/workgroup (compile time only)
; SGPRBlocks: 5
; VGPRBlocks: 2
; NumSGPRsForWavesPerEU: 46
; NumVGPRsForWavesPerEU: 23
; Occupancy: 16
; WaveLimiterHint : 1
; COMPUTE_PGM_RSRC2:SCRATCH_EN: 0
; COMPUTE_PGM_RSRC2:USER_SGPR: 15
; COMPUTE_PGM_RSRC2:TRAP_HANDLER: 0
; COMPUTE_PGM_RSRC2:TGID_X_EN: 1
; COMPUTE_PGM_RSRC2:TGID_Y_EN: 0
; COMPUTE_PGM_RSRC2:TGID_Z_EN: 0
; COMPUTE_PGM_RSRC2:TIDIG_COMP_CNT: 0
	.section	.text._ZN9rocsparseL26csrgemm_fill_block_per_rowILj1024ELj64ELj4096ELj137ELj32EiidEEvT5_PKS1_S3_NS_24const_host_device_scalarIT6_EEPKT4_S3_PKS5_S9_S3_SB_S6_S9_S3_SB_S9_PS1_PS5_21rocsparse_index_base_SE_SE_SE_bbb,"axG",@progbits,_ZN9rocsparseL26csrgemm_fill_block_per_rowILj1024ELj64ELj4096ELj137ELj32EiidEEvT5_PKS1_S3_NS_24const_host_device_scalarIT6_EEPKT4_S3_PKS5_S9_S3_SB_S6_S9_S3_SB_S9_PS1_PS5_21rocsparse_index_base_SE_SE_SE_bbb,comdat
	.globl	_ZN9rocsparseL26csrgemm_fill_block_per_rowILj1024ELj64ELj4096ELj137ELj32EiidEEvT5_PKS1_S3_NS_24const_host_device_scalarIT6_EEPKT4_S3_PKS5_S9_S3_SB_S6_S9_S3_SB_S9_PS1_PS5_21rocsparse_index_base_SE_SE_SE_bbb ; -- Begin function _ZN9rocsparseL26csrgemm_fill_block_per_rowILj1024ELj64ELj4096ELj137ELj32EiidEEvT5_PKS1_S3_NS_24const_host_device_scalarIT6_EEPKT4_S3_PKS5_S9_S3_SB_S6_S9_S3_SB_S9_PS1_PS5_21rocsparse_index_base_SE_SE_SE_bbb
	.p2align	8
	.type	_ZN9rocsparseL26csrgemm_fill_block_per_rowILj1024ELj64ELj4096ELj137ELj32EiidEEvT5_PKS1_S3_NS_24const_host_device_scalarIT6_EEPKT4_S3_PKS5_S9_S3_SB_S6_S9_S3_SB_S9_PS1_PS5_21rocsparse_index_base_SE_SE_SE_bbb,@function
_ZN9rocsparseL26csrgemm_fill_block_per_rowILj1024ELj64ELj4096ELj137ELj32EiidEEvT5_PKS1_S3_NS_24const_host_device_scalarIT6_EEPKT4_S3_PKS5_S9_S3_SB_S6_S9_S3_SB_S9_PS1_PS5_21rocsparse_index_base_SE_SE_SE_bbb: ; @_ZN9rocsparseL26csrgemm_fill_block_per_rowILj1024ELj64ELj4096ELj137ELj32EiidEEvT5_PKS1_S3_NS_24const_host_device_scalarIT6_EEPKT4_S3_PKS5_S9_S3_SB_S6_S9_S3_SB_S9_PS1_PS5_21rocsparse_index_base_SE_SE_SE_bbb
; %bb.0:
	s_clause 0x3
	s_load_b32 s12, s[0:1], 0x98
	s_load_b64 s[4:5], s[0:1], 0x18
	s_load_b128 s[44:47], s[0:1], 0x88
	s_load_b64 s[2:3], s[0:1], 0x50
	s_waitcnt lgkmcnt(0)
	s_and_b32 s6, 1, s12
	s_bitcmp1_b32 s12, 16
	s_cselect_b32 s14, -1, 0
	s_cmp_eq_u32 s6, 1
	s_cselect_b32 s13, -1, 0
	s_delay_alu instid0(SALU_CYCLE_1)
	s_and_b32 s6, s13, exec_lo
	s_cselect_b32 s7, s5, 0
	s_cselect_b32 s6, s4, 0
	s_xor_b32 s8, s13, -1
	v_dual_mov_b32 v3, s6 :: v_dual_mov_b32 v4, s7
	s_or_b32 s8, s8, s14
	s_delay_alu instid0(SALU_CYCLE_1)
	s_and_b32 vcc_lo, exec_lo, s8
	s_cbranch_vccnz .LBB35_2
; %bb.1:
	v_dual_mov_b32 v1, s4 :: v_dual_mov_b32 v2, s5
	flat_load_b64 v[3:4], v[1:2]
.LBB35_2:
	s_clause 0x4
	s_load_b128 s[48:51], s[0:1], 0x78
	s_load_b256 s[36:43], s[0:1], 0x58
	s_load_b128 s[16:19], s[0:1], 0x40
	s_load_b128 s[20:23], s[0:1], 0x8
	s_load_b256 s[4:11], s[0:1], 0x20
	s_bitcmp1_b32 s12, 8
	s_cselect_b32 s12, -1, 0
	s_delay_alu instid0(SALU_CYCLE_1)
	s_and_b32 s24, s12, exec_lo
	s_cselect_b32 s25, s3, 0
	s_cselect_b32 s24, s2, 0
	s_xor_b32 s26, s12, -1
	v_dual_mov_b32 v1, s24 :: v_dual_mov_b32 v2, s25
	s_or_b32 s14, s26, s14
	s_delay_alu instid0(SALU_CYCLE_1)
	s_and_b32 vcc_lo, exec_lo, s14
	s_cbranch_vccnz .LBB35_4
; %bb.3:
	v_dual_mov_b32 v1, s2 :: v_dual_mov_b32 v2, s3
	flat_load_b64 v[1:2], v[1:2]
.LBB35_4:
	s_load_b32 s33, s[0:1], 0x0
	v_dual_mov_b32 v5, 0 :: v_dual_lshlrev_b32 v6, 3, v0
	v_lshl_add_u32 v15, v0, 2, 0
	v_or_b32_e32 v16, 0xfffffc00, v0
	s_mov_b32 s0, 0
	s_delay_alu instid0(VALU_DEP_3) | instskip(NEXT) | instid1(VALU_DEP_3)
	v_add3_u32 v17, v6, 0, 0x4000
	v_dual_mov_b32 v6, v5 :: v_dual_mov_b32 v7, v15
	s_delay_alu instid0(VALU_DEP_3) | instskip(SKIP_1) | instid1(VALU_DEP_3)
	v_mov_b32_e32 v8, v16
	s_waitcnt lgkmcnt(0)
	v_dual_mov_b32 v10, v17 :: v_dual_mov_b32 v9, s33
.LBB35_5:                               ; =>This Inner Loop Header: Depth=1
	s_delay_alu instid0(VALU_DEP_2)
	v_add_nc_u32_e32 v8, 0x400, v8
	ds_store_b32 v7, v9
	ds_store_b64 v10, v[5:6]
	v_add_nc_u32_e32 v10, 0x2000, v10
	v_add_nc_u32_e32 v7, 0x1000, v7
	v_cmp_lt_u32_e32 vcc_lo, 0xbff, v8
	s_or_b32 s0, vcc_lo, s0
	s_delay_alu instid0(SALU_CYCLE_1)
	s_and_not1_b32 exec_lo, exec_lo, s0
	s_cbranch_execnz .LBB35_5
; %bb.6:
	s_or_b32 exec_lo, exec_lo, s0
	s_waitcnt vmcnt(0) lgkmcnt(0)
	s_barrier
	buffer_gl0_inv
	s_load_b32 s0, s[20:21], 0x0
	s_mov_b32 s1, 0
	s_waitcnt lgkmcnt(0)
	s_add_i32 s0, s0, s15
	s_delay_alu instid0(SALU_CYCLE_1) | instskip(NEXT) | instid1(SALU_CYCLE_1)
	s_lshl_b64 s[0:1], s[0:1], 2
	s_add_u32 s0, s22, s0
	s_addc_u32 s1, s23, s1
	s_and_b32 vcc_lo, exec_lo, s13
	s_load_b32 s34, s[0:1], 0x0
	s_cbranch_vccz .LBB35_30
; %bb.7:
	s_waitcnt lgkmcnt(0)
	s_ashr_i32 s35, s34, 31
	v_lshrrev_b32_e32 v5, 6, v0
	s_lshl_b64 s[0:1], s[34:35], 2
	s_delay_alu instid0(SALU_CYCLE_1) | instskip(SKIP_1) | instid1(VALU_DEP_1)
	s_add_u32 s0, s4, s0
	s_addc_u32 s1, s5, s1
	v_subrev_nc_u32_e32 v5, s44, v5
	s_load_b64 s[0:1], s[0:1], 0x0
	s_waitcnt lgkmcnt(0)
	s_delay_alu instid0(VALU_DEP_1) | instskip(SKIP_2) | instid1(VALU_DEP_1)
	v_add_nc_u32_e32 v5, s0, v5
	s_sub_i32 s0, s1, s44
	s_mov_b32 s1, exec_lo
	v_cmpx_gt_i32_e64 s0, v5
	s_cbranch_execz .LBB35_29
; %bb.8:
	v_and_b32_e32 v6, 63, v0
	s_mov_b32 s2, 0
	s_delay_alu instid0(VALU_DEP_1)
	v_subrev_nc_u32_e32 v18, s45, v6
	s_branch .LBB35_10
.LBB35_9:                               ;   in Loop: Header=BB35_10 Depth=1
	s_or_b32 exec_lo, exec_lo, s3
	v_add_nc_u32_e32 v5, 16, v5
	s_delay_alu instid0(VALU_DEP_1) | instskip(SKIP_1) | instid1(SALU_CYCLE_1)
	v_cmp_le_i32_e32 vcc_lo, s0, v5
	s_or_b32 s2, vcc_lo, s2
	s_and_not1_b32 exec_lo, exec_lo, s2
	s_cbranch_execz .LBB35_29
.LBB35_10:                              ; =>This Loop Header: Depth=1
                                        ;     Child Loop BB35_13 Depth 2
                                        ;       Child Loop BB35_15 Depth 3
                                        ;         Child Loop BB35_21 Depth 4
                                        ;         Child Loop BB35_27 Depth 4
	v_ashrrev_i32_e32 v6, 31, v5
	s_mov_b32 s3, exec_lo
	s_delay_alu instid0(VALU_DEP_1) | instskip(NEXT) | instid1(VALU_DEP_1)
	v_lshlrev_b64 v[7:8], 2, v[5:6]
	v_add_co_u32 v7, vcc_lo, s6, v7
	s_delay_alu instid0(VALU_DEP_2) | instskip(SKIP_3) | instid1(VALU_DEP_1)
	v_add_co_ci_u32_e32 v8, vcc_lo, s7, v8, vcc_lo
	global_load_b32 v7, v[7:8], off
	s_waitcnt vmcnt(0)
	v_subrev_nc_u32_e32 v7, s44, v7
	v_ashrrev_i32_e32 v8, 31, v7
	s_delay_alu instid0(VALU_DEP_1) | instskip(NEXT) | instid1(VALU_DEP_1)
	v_lshlrev_b64 v[7:8], 2, v[7:8]
	v_add_co_u32 v7, vcc_lo, s10, v7
	s_delay_alu instid0(VALU_DEP_2) | instskip(SKIP_4) | instid1(VALU_DEP_1)
	v_add_co_ci_u32_e32 v8, vcc_lo, s11, v8, vcc_lo
	global_load_b64 v[7:8], v[7:8], off
	s_waitcnt vmcnt(0)
	v_subrev_nc_u32_e32 v19, s45, v8
	v_add_nc_u32_e32 v7, v7, v18
	v_cmpx_lt_i32_e64 v7, v19
	s_cbranch_execz .LBB35_9
; %bb.11:                               ;   in Loop: Header=BB35_10 Depth=1
	v_lshlrev_b64 v[8:9], 3, v[5:6]
	s_mov_b32 s4, 0
	s_delay_alu instid0(VALU_DEP_1) | instskip(NEXT) | instid1(VALU_DEP_2)
	v_add_co_u32 v8, vcc_lo, s8, v8
	v_add_co_ci_u32_e32 v9, vcc_lo, s9, v9, vcc_lo
	global_load_b64 v[8:9], v[8:9], off
	s_waitcnt vmcnt(0)
	v_mul_f64 v[9:10], v[3:4], v[8:9]
	s_branch .LBB35_13
.LBB35_12:                              ;   in Loop: Header=BB35_13 Depth=2
	s_or_b32 exec_lo, exec_lo, s5
	v_add_nc_u32_e32 v7, 64, v7
	s_delay_alu instid0(VALU_DEP_1) | instskip(SKIP_1) | instid1(SALU_CYCLE_1)
	v_cmp_ge_i32_e32 vcc_lo, v7, v19
	s_or_b32 s4, vcc_lo, s4
	s_and_not1_b32 exec_lo, exec_lo, s4
	s_cbranch_execz .LBB35_9
.LBB35_13:                              ;   Parent Loop BB35_10 Depth=1
                                        ; =>  This Loop Header: Depth=2
                                        ;       Child Loop BB35_15 Depth 3
                                        ;         Child Loop BB35_21 Depth 4
                                        ;         Child Loop BB35_27 Depth 4
	v_ashrrev_i32_e32 v8, 31, v7
	s_mov_b32 s5, 0
	s_delay_alu instid0(VALU_DEP_1) | instskip(SKIP_1) | instid1(VALU_DEP_2)
	v_lshlrev_b64 v[11:12], 3, v[7:8]
	v_lshlrev_b64 v[13:14], 2, v[7:8]
	v_add_co_u32 v11, vcc_lo, s18, v11
	s_delay_alu instid0(VALU_DEP_3) | instskip(NEXT) | instid1(VALU_DEP_3)
	v_add_co_ci_u32_e32 v12, vcc_lo, s19, v12, vcc_lo
	v_add_co_u32 v13, vcc_lo, s16, v13
	s_delay_alu instid0(VALU_DEP_4)
	v_add_co_ci_u32_e32 v14, vcc_lo, s17, v14, vcc_lo
	global_load_b64 v[11:12], v[11:12], off
	global_load_b32 v6, v[13:14], off
	s_waitcnt vmcnt(1)
	v_mul_f64 v[11:12], v[9:10], v[11:12]
	s_waitcnt vmcnt(0)
	v_subrev_nc_u32_e32 v6, s45, v6
	s_delay_alu instid0(VALU_DEP_1) | instskip(NEXT) | instid1(VALU_DEP_1)
	v_mul_lo_u32 v8, 0x89, v6
	v_and_b32_e32 v8, 0xfff, v8
	s_branch .LBB35_15
.LBB35_14:                              ;   in Loop: Header=BB35_15 Depth=3
	s_or_b32 exec_lo, exec_lo, s13
	s_xor_b32 s13, s14, -1
	s_delay_alu instid0(SALU_CYCLE_1) | instskip(NEXT) | instid1(SALU_CYCLE_1)
	s_and_b32 s13, exec_lo, s13
	s_or_b32 s5, s13, s5
	s_delay_alu instid0(SALU_CYCLE_1)
	s_and_not1_b32 exec_lo, exec_lo, s5
	s_cbranch_execz .LBB35_12
.LBB35_15:                              ;   Parent Loop BB35_10 Depth=1
                                        ;     Parent Loop BB35_13 Depth=2
                                        ; =>    This Loop Header: Depth=3
                                        ;         Child Loop BB35_21 Depth 4
                                        ;         Child Loop BB35_27 Depth 4
	s_delay_alu instid0(VALU_DEP_1)
	v_lshl_add_u32 v13, v8, 2, 0
	s_mov_b32 s13, exec_lo
                                        ; implicit-def: $sgpr14
	ds_load_b32 v14, v13
	s_waitcnt lgkmcnt(0)
	v_cmpx_ne_u32_e64 v14, v6
	s_xor_b32 s13, exec_lo, s13
	s_cbranch_execz .LBB35_25
; %bb.16:                               ;   in Loop: Header=BB35_15 Depth=3
	s_mov_b32 s15, exec_lo
                                        ; implicit-def: $sgpr14
	v_cmpx_ne_u32_e64 s33, v14
	s_xor_b32 s15, exec_lo, s15
; %bb.17:                               ;   in Loop: Header=BB35_15 Depth=3
	v_add_nc_u32_e32 v8, 1, v8
	s_mov_b32 s14, -1
                                        ; implicit-def: $vgpr13
	s_delay_alu instid0(VALU_DEP_1)
	v_and_b32_e32 v8, 0xfff, v8
; %bb.18:                               ;   in Loop: Header=BB35_15 Depth=3
	s_and_not1_saveexec_b32 s15, s15
	s_cbranch_execz .LBB35_24
; %bb.19:                               ;   in Loop: Header=BB35_15 Depth=3
	v_mov_b32_e32 v14, s33
	s_mov_b32 s21, -1
	s_mov_b32 s20, exec_lo
	ds_cmpstore_rtn_b32 v14, v13, v6, v14
	s_waitcnt lgkmcnt(0)
	v_cmpx_eq_u32_e64 s33, v14
	s_cbranch_execz .LBB35_23
; %bb.20:                               ;   in Loop: Header=BB35_15 Depth=3
	v_lshlrev_b32_e32 v14, 2, v8
	s_mov_b32 s21, 0
	s_delay_alu instid0(VALU_DEP_1)
	v_add_nc_u32_e32 v20, v13, v14
	ds_load_b64 v[13:14], v20 offset:16384
.LBB35_21:                              ;   Parent Loop BB35_10 Depth=1
                                        ;     Parent Loop BB35_13 Depth=2
                                        ;       Parent Loop BB35_15 Depth=3
                                        ; =>      This Inner Loop Header: Depth=4
	s_waitcnt lgkmcnt(0)
	v_add_f64 v[21:22], v[13:14], v[11:12]
	ds_cmpstore_rtn_b64 v[21:22], v20, v[21:22], v[13:14] offset:16384
	s_waitcnt lgkmcnt(0)
	v_cmp_eq_u64_e32 vcc_lo, v[21:22], v[13:14]
	v_dual_mov_b32 v13, v21 :: v_dual_mov_b32 v14, v22
	s_or_b32 s21, vcc_lo, s21
	s_delay_alu instid0(SALU_CYCLE_1)
	s_and_not1_b32 exec_lo, exec_lo, s21
	s_cbranch_execnz .LBB35_21
; %bb.22:                               ;   in Loop: Header=BB35_15 Depth=3
	s_or_b32 exec_lo, exec_lo, s21
	s_delay_alu instid0(SALU_CYCLE_1)
	s_xor_b32 s21, exec_lo, -1
.LBB35_23:                              ;   in Loop: Header=BB35_15 Depth=3
	s_or_b32 exec_lo, exec_lo, s20
	s_delay_alu instid0(SALU_CYCLE_1) | instskip(SKIP_1) | instid1(SALU_CYCLE_1)
	s_and_not1_b32 s14, s14, exec_lo
	s_and_b32 s20, s21, exec_lo
	s_or_b32 s14, s14, s20
.LBB35_24:                              ;   in Loop: Header=BB35_15 Depth=3
	s_or_b32 exec_lo, exec_lo, s15
	s_delay_alu instid0(SALU_CYCLE_1)
	s_and_b32 s14, s14, exec_lo
                                        ; implicit-def: $vgpr13
.LBB35_25:                              ;   in Loop: Header=BB35_15 Depth=3
	s_and_not1_saveexec_b32 s13, s13
	s_cbranch_execz .LBB35_14
; %bb.26:                               ;   in Loop: Header=BB35_15 Depth=3
	v_lshlrev_b32_e32 v14, 2, v8
	s_mov_b32 s15, 0
	s_delay_alu instid0(VALU_DEP_1)
	v_add_nc_u32_e32 v20, v13, v14
	ds_load_b64 v[13:14], v20 offset:16384
.LBB35_27:                              ;   Parent Loop BB35_10 Depth=1
                                        ;     Parent Loop BB35_13 Depth=2
                                        ;       Parent Loop BB35_15 Depth=3
                                        ; =>      This Inner Loop Header: Depth=4
	s_waitcnt lgkmcnt(0)
	v_add_f64 v[21:22], v[13:14], v[11:12]
	ds_cmpstore_rtn_b64 v[21:22], v20, v[21:22], v[13:14] offset:16384
	s_waitcnt lgkmcnt(0)
	v_cmp_eq_u64_e32 vcc_lo, v[21:22], v[13:14]
	v_dual_mov_b32 v13, v21 :: v_dual_mov_b32 v14, v22
	s_or_b32 s15, vcc_lo, s15
	s_delay_alu instid0(SALU_CYCLE_1)
	s_and_not1_b32 exec_lo, exec_lo, s15
	s_cbranch_execnz .LBB35_27
; %bb.28:                               ;   in Loop: Header=BB35_15 Depth=3
	s_or_b32 exec_lo, exec_lo, s15
	s_delay_alu instid0(SALU_CYCLE_1)
	s_and_not1_b32 s14, s14, exec_lo
	s_branch .LBB35_14
.LBB35_29:
	s_or_b32 exec_lo, exec_lo, s1
.LBB35_30:
	s_delay_alu instid0(SALU_CYCLE_1)
	s_and_not1_b32 vcc_lo, exec_lo, s12
	s_cbranch_vccnz .LBB35_51
; %bb.31:
	s_waitcnt lgkmcnt(0)
	s_ashr_i32 s35, s34, 31
	v_subrev_nc_u32_e32 v3, s47, v0
	s_lshl_b64 s[0:1], s[34:35], 2
	s_delay_alu instid0(SALU_CYCLE_1)
	s_add_u32 s0, s36, s0
	s_addc_u32 s1, s37, s1
	s_load_b64 s[0:1], s[0:1], 0x0
	s_waitcnt lgkmcnt(0)
	v_add_nc_u32_e32 v3, s0, v3
	s_sub_i32 s0, s1, s47
	s_mov_b32 s1, exec_lo
	s_delay_alu instid0(VALU_DEP_1)
	v_cmpx_gt_i32_e64 s0, v3
	s_cbranch_execz .LBB35_50
; %bb.32:
	s_mov_b32 s2, 0
	s_branch .LBB35_34
.LBB35_33:                              ;   in Loop: Header=BB35_34 Depth=1
	s_or_b32 exec_lo, exec_lo, s3
	v_add_nc_u32_e32 v3, 0x400, v3
	s_delay_alu instid0(VALU_DEP_1) | instskip(SKIP_1) | instid1(SALU_CYCLE_1)
	v_cmp_le_i32_e32 vcc_lo, s0, v3
	s_or_b32 s2, vcc_lo, s2
	s_and_not1_b32 exec_lo, exec_lo, s2
	s_cbranch_execz .LBB35_50
.LBB35_34:                              ; =>This Loop Header: Depth=1
                                        ;     Child Loop BB35_36 Depth 2
                                        ;       Child Loop BB35_42 Depth 3
                                        ;       Child Loop BB35_48 Depth 3
	v_ashrrev_i32_e32 v4, 31, v3
	s_mov_b32 s3, 0
	s_delay_alu instid0(VALU_DEP_1) | instskip(SKIP_1) | instid1(VALU_DEP_2)
	v_lshlrev_b64 v[5:6], 3, v[3:4]
	v_lshlrev_b64 v[7:8], 2, v[3:4]
	v_add_co_u32 v5, vcc_lo, s40, v5
	s_delay_alu instid0(VALU_DEP_3) | instskip(NEXT) | instid1(VALU_DEP_3)
	v_add_co_ci_u32_e32 v6, vcc_lo, s41, v6, vcc_lo
	v_add_co_u32 v7, vcc_lo, s38, v7
	s_delay_alu instid0(VALU_DEP_4)
	v_add_co_ci_u32_e32 v8, vcc_lo, s39, v8, vcc_lo
	global_load_b64 v[5:6], v[5:6], off
	global_load_b32 v7, v[7:8], off
	s_waitcnt vmcnt(1)
	v_mul_f64 v[4:5], v[1:2], v[5:6]
	s_waitcnt vmcnt(0)
	v_subrev_nc_u32_e32 v8, s47, v7
	s_delay_alu instid0(VALU_DEP_1) | instskip(NEXT) | instid1(VALU_DEP_1)
	v_mul_lo_u32 v6, 0x89, v8
	v_and_b32_e32 v9, 0xfff, v6
	s_branch .LBB35_36
.LBB35_35:                              ;   in Loop: Header=BB35_36 Depth=2
	s_or_b32 exec_lo, exec_lo, s4
	s_xor_b32 s4, s5, -1
	s_delay_alu instid0(SALU_CYCLE_1) | instskip(NEXT) | instid1(SALU_CYCLE_1)
	s_and_b32 s4, exec_lo, s4
	s_or_b32 s3, s4, s3
	s_delay_alu instid0(SALU_CYCLE_1)
	s_and_not1_b32 exec_lo, exec_lo, s3
	s_cbranch_execz .LBB35_33
.LBB35_36:                              ;   Parent Loop BB35_34 Depth=1
                                        ; =>  This Loop Header: Depth=2
                                        ;       Child Loop BB35_42 Depth 3
                                        ;       Child Loop BB35_48 Depth 3
	s_delay_alu instid0(VALU_DEP_1)
	v_lshl_add_u32 v6, v9, 2, 0
	s_mov_b32 s4, exec_lo
                                        ; implicit-def: $sgpr5
	ds_load_b32 v7, v6
	s_waitcnt lgkmcnt(0)
	v_cmpx_ne_u32_e64 v7, v8
	s_xor_b32 s4, exec_lo, s4
	s_cbranch_execz .LBB35_46
; %bb.37:                               ;   in Loop: Header=BB35_36 Depth=2
	s_mov_b32 s6, exec_lo
                                        ; implicit-def: $sgpr5
	v_cmpx_ne_u32_e64 s33, v7
	s_xor_b32 s6, exec_lo, s6
; %bb.38:                               ;   in Loop: Header=BB35_36 Depth=2
	v_add_nc_u32_e32 v6, 1, v9
	s_mov_b32 s5, -1
	s_delay_alu instid0(VALU_DEP_1)
	v_and_b32_e32 v9, 0xfff, v6
                                        ; implicit-def: $vgpr6
; %bb.39:                               ;   in Loop: Header=BB35_36 Depth=2
	s_and_not1_saveexec_b32 s6, s6
	s_cbranch_execz .LBB35_45
; %bb.40:                               ;   in Loop: Header=BB35_36 Depth=2
	v_mov_b32_e32 v7, s33
	s_mov_b32 s8, -1
	s_mov_b32 s7, exec_lo
	ds_cmpstore_rtn_b32 v7, v6, v8, v7
	s_waitcnt lgkmcnt(0)
	v_cmpx_eq_u32_e64 s33, v7
	s_cbranch_execz .LBB35_44
; %bb.41:                               ;   in Loop: Header=BB35_36 Depth=2
	v_lshlrev_b32_e32 v7, 2, v9
	s_mov_b32 s8, 0
	s_delay_alu instid0(VALU_DEP_1)
	v_add_nc_u32_e32 v10, v6, v7
	ds_load_b64 v[6:7], v10 offset:16384
.LBB35_42:                              ;   Parent Loop BB35_34 Depth=1
                                        ;     Parent Loop BB35_36 Depth=2
                                        ; =>    This Inner Loop Header: Depth=3
	s_waitcnt lgkmcnt(0)
	v_add_f64 v[11:12], v[6:7], v[4:5]
	ds_cmpstore_rtn_b64 v[11:12], v10, v[11:12], v[6:7] offset:16384
	s_waitcnt lgkmcnt(0)
	v_cmp_eq_u64_e32 vcc_lo, v[11:12], v[6:7]
	v_dual_mov_b32 v6, v11 :: v_dual_mov_b32 v7, v12
	s_or_b32 s8, vcc_lo, s8
	s_delay_alu instid0(SALU_CYCLE_1)
	s_and_not1_b32 exec_lo, exec_lo, s8
	s_cbranch_execnz .LBB35_42
; %bb.43:                               ;   in Loop: Header=BB35_36 Depth=2
	s_or_b32 exec_lo, exec_lo, s8
	s_delay_alu instid0(SALU_CYCLE_1)
	s_xor_b32 s8, exec_lo, -1
.LBB35_44:                              ;   in Loop: Header=BB35_36 Depth=2
	s_or_b32 exec_lo, exec_lo, s7
	s_delay_alu instid0(SALU_CYCLE_1) | instskip(SKIP_1) | instid1(SALU_CYCLE_1)
	s_and_not1_b32 s5, s5, exec_lo
	s_and_b32 s7, s8, exec_lo
	s_or_b32 s5, s5, s7
.LBB35_45:                              ;   in Loop: Header=BB35_36 Depth=2
	s_or_b32 exec_lo, exec_lo, s6
	s_delay_alu instid0(SALU_CYCLE_1)
	s_and_b32 s5, s5, exec_lo
                                        ; implicit-def: $vgpr6
.LBB35_46:                              ;   in Loop: Header=BB35_36 Depth=2
	s_and_not1_saveexec_b32 s4, s4
	s_cbranch_execz .LBB35_35
; %bb.47:                               ;   in Loop: Header=BB35_36 Depth=2
	v_lshlrev_b32_e32 v7, 2, v9
	s_mov_b32 s6, 0
	s_delay_alu instid0(VALU_DEP_1)
	v_add_nc_u32_e32 v10, v6, v7
	ds_load_b64 v[6:7], v10 offset:16384
.LBB35_48:                              ;   Parent Loop BB35_34 Depth=1
                                        ;     Parent Loop BB35_36 Depth=2
                                        ; =>    This Inner Loop Header: Depth=3
	s_waitcnt lgkmcnt(0)
	v_add_f64 v[11:12], v[6:7], v[4:5]
	ds_cmpstore_rtn_b64 v[11:12], v10, v[11:12], v[6:7] offset:16384
	s_waitcnt lgkmcnt(0)
	v_cmp_eq_u64_e32 vcc_lo, v[11:12], v[6:7]
	v_dual_mov_b32 v6, v11 :: v_dual_mov_b32 v7, v12
	s_or_b32 s6, vcc_lo, s6
	s_delay_alu instid0(SALU_CYCLE_1)
	s_and_not1_b32 exec_lo, exec_lo, s6
	s_cbranch_execnz .LBB35_48
; %bb.49:                               ;   in Loop: Header=BB35_36 Depth=2
	s_or_b32 exec_lo, exec_lo, s6
	s_delay_alu instid0(SALU_CYCLE_1)
	s_and_not1_b32 s5, s5, exec_lo
	s_branch .LBB35_35
.LBB35_50:
	s_or_b32 exec_lo, exec_lo, s1
.LBB35_51:
	v_mbcnt_lo_u32_b32 v1, -1, 0
	v_lshrrev_b32_e32 v2, 3, v0
	v_cmp_eq_u32_e32 vcc_lo, 0x3ff, v0
	v_cmp_lt_u32_e64 s0, 31, v0
	v_cmp_lt_u32_e64 s1, 63, v0
	v_xor_b32_e32 v1, 63, v1
	v_dual_mov_b32 v6, 0 :: v_dual_and_b32 v3, 0x7c, v2
	v_cmp_lt_u32_e64 s2, 0x5f, v0
	v_cmp_lt_u32_e64 s3, 0x7f, v0
	s_delay_alu instid0(VALU_DEP_4) | instskip(NEXT) | instid1(VALU_DEP_4)
	v_lshrrev_b64 v[1:2], v1, -1
	v_dual_mov_b32 v5, 0 :: v_dual_add_nc_u32 v4, 0, v3
	v_cmp_lt_u32_e64 s4, 0x9f, v0
	v_cmp_lt_u32_e64 s5, 0xbf, v0
	;; [unrolled: 1-line block ×27, first 2 shown]
	s_mov_b32 s35, 0
	s_waitcnt lgkmcnt(0)
	s_barrier
	buffer_gl0_inv
	s_branch .LBB35_53
.LBB35_52:                              ;   in Loop: Header=BB35_53 Depth=1
	s_or_b32 exec_lo, exec_lo, s31
	s_waitcnt lgkmcnt(0)
	s_barrier
	buffer_gl0_inv
	ds_load_b32 v2, v5 offset:49276
	v_add_nc_u32_e32 v16, 0x400, v16
	v_add_nc_u32_e32 v17, 0x2000, v17
	;; [unrolled: 1-line block ×3, first 2 shown]
	s_delay_alu instid0(VALU_DEP_3) | instskip(NEXT) | instid1(VALU_DEP_1)
	v_cmp_lt_u32_e64 s31, 0xbff, v16
	s_or_b32 s35, s31, s35
	s_waitcnt lgkmcnt(0)
	v_add_nc_u32_e32 v6, v2, v6
	s_and_not1_b32 exec_lo, exec_lo, s35
	s_cbranch_execz .LBB35_119
.LBB35_53:                              ; =>This Inner Loop Header: Depth=1
	ds_load_b32 v7, v15
	ds_load_b64 v[2:3], v17
	s_waitcnt lgkmcnt(0)
	s_barrier
	buffer_gl0_inv
	v_cmp_gt_i32_e64 s31, s33, v7
	s_delay_alu instid0(VALU_DEP_1) | instskip(NEXT) | instid1(SALU_CYCLE_1)
	s_bcnt1_i32_b32 s36, s31
	v_dual_mov_b32 v9, s36 :: v_dual_and_b32 v8, s31, v1
	s_delay_alu instid0(VALU_DEP_1)
	v_bcnt_u32_b32 v8, v8, 0
	ds_store_b32 v4, v9 offset:49152
	s_waitcnt lgkmcnt(0)
	s_barrier
	buffer_gl0_inv
	s_and_saveexec_b32 s36, s0
	s_cbranch_execnz .LBB35_86
; %bb.54:                               ;   in Loop: Header=BB35_53 Depth=1
	s_or_b32 exec_lo, exec_lo, s36
	s_and_saveexec_b32 s36, s1
	s_cbranch_execnz .LBB35_87
.LBB35_55:                              ;   in Loop: Header=BB35_53 Depth=1
	s_or_b32 exec_lo, exec_lo, s36
	s_and_saveexec_b32 s36, s2
	s_cbranch_execnz .LBB35_88
.LBB35_56:                              ;   in Loop: Header=BB35_53 Depth=1
	s_or_b32 exec_lo, exec_lo, s36
	s_and_saveexec_b32 s36, s3
	s_cbranch_execnz .LBB35_89
.LBB35_57:                              ;   in Loop: Header=BB35_53 Depth=1
	s_or_b32 exec_lo, exec_lo, s36
	s_and_saveexec_b32 s36, s4
	s_cbranch_execnz .LBB35_90
.LBB35_58:                              ;   in Loop: Header=BB35_53 Depth=1
	s_or_b32 exec_lo, exec_lo, s36
	s_and_saveexec_b32 s36, s5
	s_cbranch_execnz .LBB35_91
.LBB35_59:                              ;   in Loop: Header=BB35_53 Depth=1
	s_or_b32 exec_lo, exec_lo, s36
	s_and_saveexec_b32 s36, s6
	s_cbranch_execnz .LBB35_92
.LBB35_60:                              ;   in Loop: Header=BB35_53 Depth=1
	s_or_b32 exec_lo, exec_lo, s36
	s_and_saveexec_b32 s36, s7
	s_cbranch_execnz .LBB35_93
.LBB35_61:                              ;   in Loop: Header=BB35_53 Depth=1
	s_or_b32 exec_lo, exec_lo, s36
	s_and_saveexec_b32 s36, s8
	s_cbranch_execnz .LBB35_94
.LBB35_62:                              ;   in Loop: Header=BB35_53 Depth=1
	s_or_b32 exec_lo, exec_lo, s36
	s_and_saveexec_b32 s36, s9
	s_cbranch_execnz .LBB35_95
.LBB35_63:                              ;   in Loop: Header=BB35_53 Depth=1
	s_or_b32 exec_lo, exec_lo, s36
	s_and_saveexec_b32 s36, s10
	s_cbranch_execnz .LBB35_96
.LBB35_64:                              ;   in Loop: Header=BB35_53 Depth=1
	s_or_b32 exec_lo, exec_lo, s36
	s_and_saveexec_b32 s36, s11
	s_cbranch_execnz .LBB35_97
.LBB35_65:                              ;   in Loop: Header=BB35_53 Depth=1
	s_or_b32 exec_lo, exec_lo, s36
	s_and_saveexec_b32 s36, s12
	s_cbranch_execnz .LBB35_98
.LBB35_66:                              ;   in Loop: Header=BB35_53 Depth=1
	s_or_b32 exec_lo, exec_lo, s36
	s_and_saveexec_b32 s36, s13
	s_cbranch_execnz .LBB35_99
.LBB35_67:                              ;   in Loop: Header=BB35_53 Depth=1
	s_or_b32 exec_lo, exec_lo, s36
	s_and_saveexec_b32 s36, s14
	s_cbranch_execnz .LBB35_100
.LBB35_68:                              ;   in Loop: Header=BB35_53 Depth=1
	s_or_b32 exec_lo, exec_lo, s36
	s_and_saveexec_b32 s36, s15
	s_cbranch_execnz .LBB35_101
.LBB35_69:                              ;   in Loop: Header=BB35_53 Depth=1
	s_or_b32 exec_lo, exec_lo, s36
	s_and_saveexec_b32 s36, s16
	s_cbranch_execnz .LBB35_102
.LBB35_70:                              ;   in Loop: Header=BB35_53 Depth=1
	s_or_b32 exec_lo, exec_lo, s36
	s_and_saveexec_b32 s36, s17
	s_cbranch_execnz .LBB35_103
.LBB35_71:                              ;   in Loop: Header=BB35_53 Depth=1
	s_or_b32 exec_lo, exec_lo, s36
	s_and_saveexec_b32 s36, s18
	s_cbranch_execnz .LBB35_104
.LBB35_72:                              ;   in Loop: Header=BB35_53 Depth=1
	s_or_b32 exec_lo, exec_lo, s36
	s_and_saveexec_b32 s36, s19
	s_cbranch_execnz .LBB35_105
.LBB35_73:                              ;   in Loop: Header=BB35_53 Depth=1
	s_or_b32 exec_lo, exec_lo, s36
	s_and_saveexec_b32 s36, s20
	s_cbranch_execnz .LBB35_106
.LBB35_74:                              ;   in Loop: Header=BB35_53 Depth=1
	s_or_b32 exec_lo, exec_lo, s36
	s_and_saveexec_b32 s36, s21
	s_cbranch_execnz .LBB35_107
.LBB35_75:                              ;   in Loop: Header=BB35_53 Depth=1
	s_or_b32 exec_lo, exec_lo, s36
	s_and_saveexec_b32 s36, s22
	s_cbranch_execnz .LBB35_108
.LBB35_76:                              ;   in Loop: Header=BB35_53 Depth=1
	s_or_b32 exec_lo, exec_lo, s36
	s_and_saveexec_b32 s36, s23
	s_cbranch_execnz .LBB35_109
.LBB35_77:                              ;   in Loop: Header=BB35_53 Depth=1
	s_or_b32 exec_lo, exec_lo, s36
	s_and_saveexec_b32 s36, s24
	s_cbranch_execnz .LBB35_110
.LBB35_78:                              ;   in Loop: Header=BB35_53 Depth=1
	s_or_b32 exec_lo, exec_lo, s36
	s_and_saveexec_b32 s36, s25
	s_cbranch_execnz .LBB35_111
.LBB35_79:                              ;   in Loop: Header=BB35_53 Depth=1
	s_or_b32 exec_lo, exec_lo, s36
	s_and_saveexec_b32 s36, s26
	s_cbranch_execnz .LBB35_112
.LBB35_80:                              ;   in Loop: Header=BB35_53 Depth=1
	s_or_b32 exec_lo, exec_lo, s36
	s_and_saveexec_b32 s36, s27
	s_cbranch_execnz .LBB35_113
.LBB35_81:                              ;   in Loop: Header=BB35_53 Depth=1
	s_or_b32 exec_lo, exec_lo, s36
	s_and_saveexec_b32 s36, s28
	s_cbranch_execnz .LBB35_114
.LBB35_82:                              ;   in Loop: Header=BB35_53 Depth=1
	s_or_b32 exec_lo, exec_lo, s36
	s_and_saveexec_b32 s36, s29
	s_cbranch_execnz .LBB35_115
.LBB35_83:                              ;   in Loop: Header=BB35_53 Depth=1
	s_or_b32 exec_lo, exec_lo, s36
	s_and_saveexec_b32 s36, s30
	s_cbranch_execnz .LBB35_116
.LBB35_84:                              ;   in Loop: Header=BB35_53 Depth=1
	s_or_b32 exec_lo, exec_lo, s36
	s_and_saveexec_b32 s36, s31
	s_cbranch_execnz .LBB35_117
.LBB35_85:                              ;   in Loop: Header=BB35_53 Depth=1
	s_or_b32 exec_lo, exec_lo, s36
	s_and_saveexec_b32 s31, vcc_lo
	s_cbranch_execz .LBB35_52
	s_branch .LBB35_118
.LBB35_86:                              ;   in Loop: Header=BB35_53 Depth=1
	ds_load_b32 v9, v5 offset:49152
	s_waitcnt lgkmcnt(0)
	v_add_nc_u32_e32 v8, v9, v8
	s_or_b32 exec_lo, exec_lo, s36
	s_and_saveexec_b32 s36, s1
	s_cbranch_execz .LBB35_55
.LBB35_87:                              ;   in Loop: Header=BB35_53 Depth=1
	ds_load_b32 v9, v5 offset:49156
	s_waitcnt lgkmcnt(0)
	v_add_nc_u32_e32 v8, v9, v8
	s_or_b32 exec_lo, exec_lo, s36
	s_and_saveexec_b32 s36, s2
	s_cbranch_execz .LBB35_56
.LBB35_88:                              ;   in Loop: Header=BB35_53 Depth=1
	ds_load_b32 v9, v5 offset:49160
	s_waitcnt lgkmcnt(0)
	v_add_nc_u32_e32 v8, v9, v8
	s_or_b32 exec_lo, exec_lo, s36
	s_and_saveexec_b32 s36, s3
	s_cbranch_execz .LBB35_57
.LBB35_89:                              ;   in Loop: Header=BB35_53 Depth=1
	ds_load_b32 v9, v5 offset:49164
	s_waitcnt lgkmcnt(0)
	v_add_nc_u32_e32 v8, v9, v8
	s_or_b32 exec_lo, exec_lo, s36
	s_and_saveexec_b32 s36, s4
	s_cbranch_execz .LBB35_58
.LBB35_90:                              ;   in Loop: Header=BB35_53 Depth=1
	ds_load_b32 v9, v5 offset:49168
	s_waitcnt lgkmcnt(0)
	v_add_nc_u32_e32 v8, v9, v8
	s_or_b32 exec_lo, exec_lo, s36
	s_and_saveexec_b32 s36, s5
	s_cbranch_execz .LBB35_59
.LBB35_91:                              ;   in Loop: Header=BB35_53 Depth=1
	ds_load_b32 v9, v5 offset:49172
	s_waitcnt lgkmcnt(0)
	v_add_nc_u32_e32 v8, v9, v8
	s_or_b32 exec_lo, exec_lo, s36
	s_and_saveexec_b32 s36, s6
	s_cbranch_execz .LBB35_60
.LBB35_92:                              ;   in Loop: Header=BB35_53 Depth=1
	ds_load_b32 v9, v5 offset:49176
	s_waitcnt lgkmcnt(0)
	v_add_nc_u32_e32 v8, v9, v8
	s_or_b32 exec_lo, exec_lo, s36
	s_and_saveexec_b32 s36, s7
	s_cbranch_execz .LBB35_61
.LBB35_93:                              ;   in Loop: Header=BB35_53 Depth=1
	ds_load_b32 v9, v5 offset:49180
	s_waitcnt lgkmcnt(0)
	v_add_nc_u32_e32 v8, v9, v8
	s_or_b32 exec_lo, exec_lo, s36
	s_and_saveexec_b32 s36, s8
	s_cbranch_execz .LBB35_62
.LBB35_94:                              ;   in Loop: Header=BB35_53 Depth=1
	ds_load_b32 v9, v5 offset:49184
	s_waitcnt lgkmcnt(0)
	v_add_nc_u32_e32 v8, v9, v8
	s_or_b32 exec_lo, exec_lo, s36
	s_and_saveexec_b32 s36, s9
	s_cbranch_execz .LBB35_63
.LBB35_95:                              ;   in Loop: Header=BB35_53 Depth=1
	ds_load_b32 v9, v5 offset:49188
	s_waitcnt lgkmcnt(0)
	v_add_nc_u32_e32 v8, v9, v8
	s_or_b32 exec_lo, exec_lo, s36
	s_and_saveexec_b32 s36, s10
	s_cbranch_execz .LBB35_64
.LBB35_96:                              ;   in Loop: Header=BB35_53 Depth=1
	ds_load_b32 v9, v5 offset:49192
	s_waitcnt lgkmcnt(0)
	v_add_nc_u32_e32 v8, v9, v8
	s_or_b32 exec_lo, exec_lo, s36
	s_and_saveexec_b32 s36, s11
	s_cbranch_execz .LBB35_65
.LBB35_97:                              ;   in Loop: Header=BB35_53 Depth=1
	ds_load_b32 v9, v5 offset:49196
	s_waitcnt lgkmcnt(0)
	v_add_nc_u32_e32 v8, v9, v8
	s_or_b32 exec_lo, exec_lo, s36
	s_and_saveexec_b32 s36, s12
	s_cbranch_execz .LBB35_66
.LBB35_98:                              ;   in Loop: Header=BB35_53 Depth=1
	ds_load_b32 v9, v5 offset:49200
	s_waitcnt lgkmcnt(0)
	v_add_nc_u32_e32 v8, v9, v8
	s_or_b32 exec_lo, exec_lo, s36
	s_and_saveexec_b32 s36, s13
	s_cbranch_execz .LBB35_67
.LBB35_99:                              ;   in Loop: Header=BB35_53 Depth=1
	ds_load_b32 v9, v5 offset:49204
	s_waitcnt lgkmcnt(0)
	v_add_nc_u32_e32 v8, v9, v8
	s_or_b32 exec_lo, exec_lo, s36
	s_and_saveexec_b32 s36, s14
	s_cbranch_execz .LBB35_68
.LBB35_100:                             ;   in Loop: Header=BB35_53 Depth=1
	ds_load_b32 v9, v5 offset:49208
	s_waitcnt lgkmcnt(0)
	v_add_nc_u32_e32 v8, v9, v8
	s_or_b32 exec_lo, exec_lo, s36
	s_and_saveexec_b32 s36, s15
	s_cbranch_execz .LBB35_69
.LBB35_101:                             ;   in Loop: Header=BB35_53 Depth=1
	ds_load_b32 v9, v5 offset:49212
	s_waitcnt lgkmcnt(0)
	v_add_nc_u32_e32 v8, v9, v8
	s_or_b32 exec_lo, exec_lo, s36
	s_and_saveexec_b32 s36, s16
	s_cbranch_execz .LBB35_70
.LBB35_102:                             ;   in Loop: Header=BB35_53 Depth=1
	ds_load_b32 v9, v5 offset:49216
	s_waitcnt lgkmcnt(0)
	v_add_nc_u32_e32 v8, v9, v8
	s_or_b32 exec_lo, exec_lo, s36
	s_and_saveexec_b32 s36, s17
	s_cbranch_execz .LBB35_71
.LBB35_103:                             ;   in Loop: Header=BB35_53 Depth=1
	ds_load_b32 v9, v5 offset:49220
	s_waitcnt lgkmcnt(0)
	v_add_nc_u32_e32 v8, v9, v8
	s_or_b32 exec_lo, exec_lo, s36
	s_and_saveexec_b32 s36, s18
	s_cbranch_execz .LBB35_72
.LBB35_104:                             ;   in Loop: Header=BB35_53 Depth=1
	ds_load_b32 v9, v5 offset:49224
	s_waitcnt lgkmcnt(0)
	v_add_nc_u32_e32 v8, v9, v8
	s_or_b32 exec_lo, exec_lo, s36
	s_and_saveexec_b32 s36, s19
	s_cbranch_execz .LBB35_73
.LBB35_105:                             ;   in Loop: Header=BB35_53 Depth=1
	ds_load_b32 v9, v5 offset:49228
	s_waitcnt lgkmcnt(0)
	v_add_nc_u32_e32 v8, v9, v8
	s_or_b32 exec_lo, exec_lo, s36
	s_and_saveexec_b32 s36, s20
	s_cbranch_execz .LBB35_74
.LBB35_106:                             ;   in Loop: Header=BB35_53 Depth=1
	ds_load_b32 v9, v5 offset:49232
	s_waitcnt lgkmcnt(0)
	v_add_nc_u32_e32 v8, v9, v8
	s_or_b32 exec_lo, exec_lo, s36
	s_and_saveexec_b32 s36, s21
	s_cbranch_execz .LBB35_75
.LBB35_107:                             ;   in Loop: Header=BB35_53 Depth=1
	ds_load_b32 v9, v5 offset:49236
	s_waitcnt lgkmcnt(0)
	v_add_nc_u32_e32 v8, v9, v8
	s_or_b32 exec_lo, exec_lo, s36
	s_and_saveexec_b32 s36, s22
	s_cbranch_execz .LBB35_76
.LBB35_108:                             ;   in Loop: Header=BB35_53 Depth=1
	ds_load_b32 v9, v5 offset:49240
	s_waitcnt lgkmcnt(0)
	v_add_nc_u32_e32 v8, v9, v8
	s_or_b32 exec_lo, exec_lo, s36
	s_and_saveexec_b32 s36, s23
	s_cbranch_execz .LBB35_77
.LBB35_109:                             ;   in Loop: Header=BB35_53 Depth=1
	ds_load_b32 v9, v5 offset:49244
	s_waitcnt lgkmcnt(0)
	v_add_nc_u32_e32 v8, v9, v8
	s_or_b32 exec_lo, exec_lo, s36
	s_and_saveexec_b32 s36, s24
	s_cbranch_execz .LBB35_78
.LBB35_110:                             ;   in Loop: Header=BB35_53 Depth=1
	ds_load_b32 v9, v5 offset:49248
	s_waitcnt lgkmcnt(0)
	v_add_nc_u32_e32 v8, v9, v8
	s_or_b32 exec_lo, exec_lo, s36
	s_and_saveexec_b32 s36, s25
	s_cbranch_execz .LBB35_79
.LBB35_111:                             ;   in Loop: Header=BB35_53 Depth=1
	ds_load_b32 v9, v5 offset:49252
	s_waitcnt lgkmcnt(0)
	v_add_nc_u32_e32 v8, v9, v8
	s_or_b32 exec_lo, exec_lo, s36
	s_and_saveexec_b32 s36, s26
	s_cbranch_execz .LBB35_80
.LBB35_112:                             ;   in Loop: Header=BB35_53 Depth=1
	ds_load_b32 v9, v5 offset:49256
	s_waitcnt lgkmcnt(0)
	v_add_nc_u32_e32 v8, v9, v8
	s_or_b32 exec_lo, exec_lo, s36
	s_and_saveexec_b32 s36, s27
	s_cbranch_execz .LBB35_81
.LBB35_113:                             ;   in Loop: Header=BB35_53 Depth=1
	ds_load_b32 v9, v5 offset:49260
	s_waitcnt lgkmcnt(0)
	v_add_nc_u32_e32 v8, v9, v8
	s_or_b32 exec_lo, exec_lo, s36
	s_and_saveexec_b32 s36, s28
	s_cbranch_execz .LBB35_82
.LBB35_114:                             ;   in Loop: Header=BB35_53 Depth=1
	ds_load_b32 v9, v5 offset:49264
	s_waitcnt lgkmcnt(0)
	v_add_nc_u32_e32 v8, v9, v8
	s_or_b32 exec_lo, exec_lo, s36
	s_and_saveexec_b32 s36, s29
	s_cbranch_execz .LBB35_83
.LBB35_115:                             ;   in Loop: Header=BB35_53 Depth=1
	ds_load_b32 v9, v5 offset:49268
	s_waitcnt lgkmcnt(0)
	v_add_nc_u32_e32 v8, v9, v8
	s_or_b32 exec_lo, exec_lo, s36
	s_and_saveexec_b32 s36, s30
	s_cbranch_execz .LBB35_84
.LBB35_116:                             ;   in Loop: Header=BB35_53 Depth=1
	ds_load_b32 v9, v5 offset:49272
	s_waitcnt lgkmcnt(0)
	v_add_nc_u32_e32 v8, v9, v8
	s_or_b32 exec_lo, exec_lo, s36
	s_and_saveexec_b32 s36, s31
	s_cbranch_execz .LBB35_85
.LBB35_117:                             ;   in Loop: Header=BB35_53 Depth=1
	s_delay_alu instid0(VALU_DEP_1) | instskip(NEXT) | instid1(VALU_DEP_1)
	v_add3_u32 v9, v6, -1, v8
	v_lshl_add_u32 v10, v9, 2, 0
	v_lshl_add_u32 v9, v9, 3, 0
	ds_store_b32 v10, v7
	ds_store_b64 v9, v[2:3] offset:16384
	s_or_b32 exec_lo, exec_lo, s36
	s_and_saveexec_b32 s31, vcc_lo
	s_cbranch_execz .LBB35_52
.LBB35_118:                             ;   in Loop: Header=BB35_53 Depth=1
	ds_store_b32 v5, v8 offset:49276
	s_branch .LBB35_52
.LBB35_119:
	s_or_b32 exec_lo, exec_lo, s35
	s_ashr_i32 s35, s34, 31
	s_mov_b32 s3, exec_lo
	s_lshl_b64 s[0:1], s[34:35], 2
	s_delay_alu instid0(SALU_CYCLE_1) | instskip(SKIP_4) | instid1(SALU_CYCLE_1)
	s_add_u32 s0, s42, s0
	s_addc_u32 s1, s43, s1
	s_load_b64 s[0:1], s[0:1], 0x0
	s_waitcnt lgkmcnt(0)
	s_sub_i32 s2, s1, s0
	v_cmpx_gt_i32_e64 s2, v0
	s_cbranch_execz .LBB35_129
; %bb.120:
	s_sub_i32 s3, s0, s46
	s_sub_i32 s0, s0, s1
	s_and_b32 s1, s2, 7
	s_cmp_lt_u32 s0, -7
	s_mov_b32 s7, 0
	s_cselect_b32 s4, -1, 0
	s_and_b32 s5, s2, -8
	s_cmp_lg_u32 s1, 0
	s_cselect_b32 s6, -1, 0
	s_branch .LBB35_122
.LBB35_121:                             ;   in Loop: Header=BB35_122 Depth=1
	s_delay_alu instid0(VALU_DEP_1) | instskip(SKIP_3) | instid1(VALU_DEP_3)
	v_ashrrev_i32_e32 v4, 31, v3
	v_add_nc_u32_e32 v0, 0x400, v0
	s_waitcnt lgkmcnt(1)
	v_add_nc_u32_e32 v8, s46, v5
	v_lshlrev_b64 v[6:7], 2, v[3:4]
	v_lshlrev_b64 v[3:4], 3, v[3:4]
	v_cmp_le_i32_e32 vcc_lo, s2, v0
	s_delay_alu instid0(VALU_DEP_3) | instskip(NEXT) | instid1(VALU_DEP_1)
	v_add_co_u32 v5, s0, s48, v6
	v_add_co_ci_u32_e64 v6, s0, s49, v7, s0
	s_delay_alu instid0(VALU_DEP_4) | instskip(NEXT) | instid1(VALU_DEP_1)
	v_add_co_u32 v3, s0, s50, v3
	v_add_co_ci_u32_e64 v4, s0, s51, v4, s0
	s_or_b32 s7, vcc_lo, s7
	global_store_b32 v[5:6], v8, off
	s_waitcnt lgkmcnt(0)
	global_store_b64 v[3:4], v[1:2], off
	s_and_not1_b32 exec_lo, exec_lo, s7
	s_cbranch_execz .LBB35_129
.LBB35_122:                             ; =>This Loop Header: Depth=1
                                        ;     Child Loop BB35_124 Depth 2
                                        ;     Child Loop BB35_128 Depth 2
	v_lshlrev_b32_e32 v1, 2, v0
	s_and_not1_b32 vcc_lo, exec_lo, s4
	s_mov_b32 s0, 0
	s_delay_alu instid0(VALU_DEP_1) | instskip(NEXT) | instid1(VALU_DEP_1)
	v_dual_mov_b32 v3, s3 :: v_dual_add_nc_u32 v2, 0, v1
	v_add_nc_u32_e32 v1, v2, v1
	ds_load_b32 v5, v2
	ds_load_b64 v[1:2], v1 offset:16384
	s_cbranch_vccnz .LBB35_126
; %bb.123:                              ;   in Loop: Header=BB35_122 Depth=1
	v_mov_b32_e32 v3, s3
	s_mov_b32 s8, 0
	s_set_inst_prefetch_distance 0x1
	.p2align	6
.LBB35_124:                             ;   Parent Loop BB35_122 Depth=1
                                        ; =>  This Inner Loop Header: Depth=2
	v_mov_b32_e32 v4, s8
	s_add_i32 s0, s0, 8
	s_add_i32 s8, s8, 32
	s_cmp_eq_u32 s5, s0
	ds_load_2addr_b32 v[6:7], v4 offset1:1
	ds_load_2addr_b32 v[8:9], v4 offset0:2 offset1:3
	ds_load_2addr_b32 v[10:11], v4 offset0:4 offset1:5
	ds_load_2addr_b32 v[12:13], v4 offset0:6 offset1:7
	s_waitcnt lgkmcnt(3)
	v_cmp_gt_i32_e32 vcc_lo, v5, v6
	v_cndmask_b32_e64 v4, 0, 1, vcc_lo
	s_waitcnt lgkmcnt(2)
	v_cmp_gt_i32_e32 vcc_lo, v5, v8
	v_cndmask_b32_e64 v6, 0, 1, vcc_lo
	v_cmp_gt_i32_e32 vcc_lo, v5, v7
	v_add_co_ci_u32_e32 v3, vcc_lo, v3, v4, vcc_lo
	s_waitcnt lgkmcnt(1)
	v_cmp_gt_i32_e32 vcc_lo, v5, v10
	v_cndmask_b32_e64 v4, 0, 1, vcc_lo
	v_cmp_gt_i32_e32 vcc_lo, v5, v9
	v_add_co_ci_u32_e32 v3, vcc_lo, v3, v6, vcc_lo
	s_waitcnt lgkmcnt(0)
	v_cmp_gt_i32_e32 vcc_lo, v5, v12
	v_cndmask_b32_e64 v6, 0, 1, vcc_lo
	v_cmp_gt_i32_e32 vcc_lo, v5, v11
	v_add_co_ci_u32_e32 v3, vcc_lo, v3, v4, vcc_lo
	v_cmp_gt_i32_e32 vcc_lo, v5, v13
	s_delay_alu instid0(VALU_DEP_2)
	v_add_co_ci_u32_e32 v3, vcc_lo, v3, v6, vcc_lo
	s_cbranch_scc0 .LBB35_124
; %bb.125:                              ;   in Loop: Header=BB35_122 Depth=1
	s_set_inst_prefetch_distance 0x2
	s_mov_b32 s0, s5
.LBB35_126:                             ;   in Loop: Header=BB35_122 Depth=1
	s_and_not1_b32 vcc_lo, exec_lo, s6
	s_cbranch_vccnz .LBB35_121
; %bb.127:                              ;   in Loop: Header=BB35_122 Depth=1
	s_lshl_b32 s0, s0, 2
	s_mov_b32 s8, s1
	s_add_i32 s0, s0, 0
.LBB35_128:                             ;   Parent Loop BB35_122 Depth=1
                                        ; =>  This Inner Loop Header: Depth=2
	s_delay_alu instid0(SALU_CYCLE_1)
	v_mov_b32_e32 v4, s0
	s_add_i32 s8, s8, -1
	s_add_i32 s0, s0, 4
	s_cmp_lg_u32 s8, 0
	ds_load_b32 v4, v4
	s_waitcnt lgkmcnt(0)
	v_cmp_gt_i32_e32 vcc_lo, v5, v4
	v_add_co_ci_u32_e32 v3, vcc_lo, 0, v3, vcc_lo
	s_cbranch_scc1 .LBB35_128
	s_branch .LBB35_121
.LBB35_129:
	s_nop 0
	s_sendmsg sendmsg(MSG_DEALLOC_VGPRS)
	s_endpgm
	.section	.rodata,"a",@progbits
	.p2align	6, 0x0
	.amdhsa_kernel _ZN9rocsparseL26csrgemm_fill_block_per_rowILj1024ELj64ELj4096ELj137ELj32EiidEEvT5_PKS1_S3_NS_24const_host_device_scalarIT6_EEPKT4_S3_PKS5_S9_S3_SB_S6_S9_S3_SB_S9_PS1_PS5_21rocsparse_index_base_SE_SE_SE_bbb
		.amdhsa_group_segment_fixed_size 0
		.amdhsa_private_segment_fixed_size 0
		.amdhsa_kernarg_size 156
		.amdhsa_user_sgpr_count 15
		.amdhsa_user_sgpr_dispatch_ptr 0
		.amdhsa_user_sgpr_queue_ptr 0
		.amdhsa_user_sgpr_kernarg_segment_ptr 1
		.amdhsa_user_sgpr_dispatch_id 0
		.amdhsa_user_sgpr_private_segment_size 0
		.amdhsa_wavefront_size32 1
		.amdhsa_uses_dynamic_stack 0
		.amdhsa_enable_private_segment 0
		.amdhsa_system_sgpr_workgroup_id_x 1
		.amdhsa_system_sgpr_workgroup_id_y 0
		.amdhsa_system_sgpr_workgroup_id_z 0
		.amdhsa_system_sgpr_workgroup_info 0
		.amdhsa_system_vgpr_workitem_id 0
		.amdhsa_next_free_vgpr 23
		.amdhsa_next_free_sgpr 52
		.amdhsa_reserve_vcc 1
		.amdhsa_float_round_mode_32 0
		.amdhsa_float_round_mode_16_64 0
		.amdhsa_float_denorm_mode_32 3
		.amdhsa_float_denorm_mode_16_64 3
		.amdhsa_dx10_clamp 1
		.amdhsa_ieee_mode 1
		.amdhsa_fp16_overflow 0
		.amdhsa_workgroup_processor_mode 1
		.amdhsa_memory_ordered 1
		.amdhsa_forward_progress 0
		.amdhsa_shared_vgpr_count 0
		.amdhsa_exception_fp_ieee_invalid_op 0
		.amdhsa_exception_fp_denorm_src 0
		.amdhsa_exception_fp_ieee_div_zero 0
		.amdhsa_exception_fp_ieee_overflow 0
		.amdhsa_exception_fp_ieee_underflow 0
		.amdhsa_exception_fp_ieee_inexact 0
		.amdhsa_exception_int_div_zero 0
	.end_amdhsa_kernel
	.section	.text._ZN9rocsparseL26csrgemm_fill_block_per_rowILj1024ELj64ELj4096ELj137ELj32EiidEEvT5_PKS1_S3_NS_24const_host_device_scalarIT6_EEPKT4_S3_PKS5_S9_S3_SB_S6_S9_S3_SB_S9_PS1_PS5_21rocsparse_index_base_SE_SE_SE_bbb,"axG",@progbits,_ZN9rocsparseL26csrgemm_fill_block_per_rowILj1024ELj64ELj4096ELj137ELj32EiidEEvT5_PKS1_S3_NS_24const_host_device_scalarIT6_EEPKT4_S3_PKS5_S9_S3_SB_S6_S9_S3_SB_S9_PS1_PS5_21rocsparse_index_base_SE_SE_SE_bbb,comdat
.Lfunc_end35:
	.size	_ZN9rocsparseL26csrgemm_fill_block_per_rowILj1024ELj64ELj4096ELj137ELj32EiidEEvT5_PKS1_S3_NS_24const_host_device_scalarIT6_EEPKT4_S3_PKS5_S9_S3_SB_S6_S9_S3_SB_S9_PS1_PS5_21rocsparse_index_base_SE_SE_SE_bbb, .Lfunc_end35-_ZN9rocsparseL26csrgemm_fill_block_per_rowILj1024ELj64ELj4096ELj137ELj32EiidEEvT5_PKS1_S3_NS_24const_host_device_scalarIT6_EEPKT4_S3_PKS5_S9_S3_SB_S6_S9_S3_SB_S9_PS1_PS5_21rocsparse_index_base_SE_SE_SE_bbb
                                        ; -- End function
	.section	.AMDGPU.csdata,"",@progbits
; Kernel info:
; codeLenInByte = 4364
; NumSgprs: 54
; NumVgprs: 23
; ScratchSize: 0
; MemoryBound: 0
; FloatMode: 240
; IeeeMode: 1
; LDSByteSize: 0 bytes/workgroup (compile time only)
; SGPRBlocks: 6
; VGPRBlocks: 2
; NumSGPRsForWavesPerEU: 54
; NumVGPRsForWavesPerEU: 23
; Occupancy: 16
; WaveLimiterHint : 1
; COMPUTE_PGM_RSRC2:SCRATCH_EN: 0
; COMPUTE_PGM_RSRC2:USER_SGPR: 15
; COMPUTE_PGM_RSRC2:TRAP_HANDLER: 0
; COMPUTE_PGM_RSRC2:TGID_X_EN: 1
; COMPUTE_PGM_RSRC2:TGID_Y_EN: 0
; COMPUTE_PGM_RSRC2:TGID_Z_EN: 0
; COMPUTE_PGM_RSRC2:TIDIG_COMP_CNT: 0
	.section	.text._ZN9rocsparseL26csrgemm_fill_block_per_rowILj1024ELj64ELj4096ELj137ELj64EiidEEvT5_PKS1_S3_NS_24const_host_device_scalarIT6_EEPKT4_S3_PKS5_S9_S3_SB_S6_S9_S3_SB_S9_PS1_PS5_21rocsparse_index_base_SE_SE_SE_bbb,"axG",@progbits,_ZN9rocsparseL26csrgemm_fill_block_per_rowILj1024ELj64ELj4096ELj137ELj64EiidEEvT5_PKS1_S3_NS_24const_host_device_scalarIT6_EEPKT4_S3_PKS5_S9_S3_SB_S6_S9_S3_SB_S9_PS1_PS5_21rocsparse_index_base_SE_SE_SE_bbb,comdat
	.globl	_ZN9rocsparseL26csrgemm_fill_block_per_rowILj1024ELj64ELj4096ELj137ELj64EiidEEvT5_PKS1_S3_NS_24const_host_device_scalarIT6_EEPKT4_S3_PKS5_S9_S3_SB_S6_S9_S3_SB_S9_PS1_PS5_21rocsparse_index_base_SE_SE_SE_bbb ; -- Begin function _ZN9rocsparseL26csrgemm_fill_block_per_rowILj1024ELj64ELj4096ELj137ELj64EiidEEvT5_PKS1_S3_NS_24const_host_device_scalarIT6_EEPKT4_S3_PKS5_S9_S3_SB_S6_S9_S3_SB_S9_PS1_PS5_21rocsparse_index_base_SE_SE_SE_bbb
	.p2align	8
	.type	_ZN9rocsparseL26csrgemm_fill_block_per_rowILj1024ELj64ELj4096ELj137ELj64EiidEEvT5_PKS1_S3_NS_24const_host_device_scalarIT6_EEPKT4_S3_PKS5_S9_S3_SB_S6_S9_S3_SB_S9_PS1_PS5_21rocsparse_index_base_SE_SE_SE_bbb,@function
_ZN9rocsparseL26csrgemm_fill_block_per_rowILj1024ELj64ELj4096ELj137ELj64EiidEEvT5_PKS1_S3_NS_24const_host_device_scalarIT6_EEPKT4_S3_PKS5_S9_S3_SB_S6_S9_S3_SB_S9_PS1_PS5_21rocsparse_index_base_SE_SE_SE_bbb: ; @_ZN9rocsparseL26csrgemm_fill_block_per_rowILj1024ELj64ELj4096ELj137ELj64EiidEEvT5_PKS1_S3_NS_24const_host_device_scalarIT6_EEPKT4_S3_PKS5_S9_S3_SB_S6_S9_S3_SB_S9_PS1_PS5_21rocsparse_index_base_SE_SE_SE_bbb
; %bb.0:
	s_clause 0x3
	s_load_b32 s12, s[0:1], 0x98
	s_load_b64 s[4:5], s[0:1], 0x18
	s_load_b128 s[24:27], s[0:1], 0x88
	s_load_b64 s[2:3], s[0:1], 0x50
	s_waitcnt lgkmcnt(0)
	s_and_b32 s6, 1, s12
	s_bitcmp1_b32 s12, 16
	s_cselect_b32 s14, -1, 0
	s_cmp_eq_u32 s6, 1
	s_cselect_b32 s13, -1, 0
	s_delay_alu instid0(SALU_CYCLE_1)
	s_and_b32 s6, s13, exec_lo
	s_cselect_b32 s7, s5, 0
	s_cselect_b32 s6, s4, 0
	s_xor_b32 s8, s13, -1
	v_dual_mov_b32 v3, s6 :: v_dual_mov_b32 v4, s7
	s_or_b32 s8, s8, s14
	s_delay_alu instid0(SALU_CYCLE_1)
	s_and_b32 vcc_lo, exec_lo, s8
	s_cbranch_vccnz .LBB36_2
; %bb.1:
	v_dual_mov_b32 v1, s4 :: v_dual_mov_b32 v2, s5
	flat_load_b64 v[3:4], v[1:2]
.LBB36_2:
	s_clause 0x4
	s_load_b128 s[28:31], s[0:1], 0x78
	s_load_b256 s[16:23], s[0:1], 0x58
	s_load_b128 s[36:39], s[0:1], 0x40
	s_load_b128 s[40:43], s[0:1], 0x8
	s_load_b256 s[4:11], s[0:1], 0x20
	s_bitcmp1_b32 s12, 8
	s_cselect_b32 s12, -1, 0
	s_delay_alu instid0(SALU_CYCLE_1)
	s_and_b32 s33, s12, exec_lo
	s_cselect_b32 s35, s3, 0
	s_cselect_b32 s34, s2, 0
	s_xor_b32 s33, s12, -1
	v_dual_mov_b32 v1, s34 :: v_dual_mov_b32 v2, s35
	s_or_b32 s14, s33, s14
	s_delay_alu instid0(SALU_CYCLE_1)
	s_and_b32 vcc_lo, exec_lo, s14
	s_cbranch_vccnz .LBB36_4
; %bb.3:
	v_dual_mov_b32 v1, s2 :: v_dual_mov_b32 v2, s3
	flat_load_b64 v[1:2], v[1:2]
.LBB36_4:
	s_load_b32 s33, s[0:1], 0x0
	v_dual_mov_b32 v5, 0 :: v_dual_lshlrev_b32 v6, 3, v0
	v_lshl_add_u32 v15, v0, 2, 0
	v_or_b32_e32 v16, 0xfffffc00, v0
	s_mov_b32 s0, 0
	s_delay_alu instid0(VALU_DEP_3) | instskip(NEXT) | instid1(VALU_DEP_3)
	v_add3_u32 v17, v6, 0, 0x4000
	v_dual_mov_b32 v6, v5 :: v_dual_mov_b32 v7, v15
	s_delay_alu instid0(VALU_DEP_3) | instskip(SKIP_1) | instid1(VALU_DEP_3)
	v_mov_b32_e32 v8, v16
	s_waitcnt lgkmcnt(0)
	v_dual_mov_b32 v10, v17 :: v_dual_mov_b32 v9, s33
.LBB36_5:                               ; =>This Inner Loop Header: Depth=1
	s_delay_alu instid0(VALU_DEP_2)
	v_add_nc_u32_e32 v8, 0x400, v8
	ds_store_b32 v7, v9
	ds_store_b64 v10, v[5:6]
	v_add_nc_u32_e32 v10, 0x2000, v10
	v_add_nc_u32_e32 v7, 0x1000, v7
	v_cmp_lt_u32_e32 vcc_lo, 0xbff, v8
	s_or_b32 s0, vcc_lo, s0
	s_delay_alu instid0(SALU_CYCLE_1)
	s_and_not1_b32 exec_lo, exec_lo, s0
	s_cbranch_execnz .LBB36_5
; %bb.6:
	s_or_b32 exec_lo, exec_lo, s0
	s_waitcnt vmcnt(0) lgkmcnt(0)
	s_barrier
	buffer_gl0_inv
	s_load_b32 s0, s[40:41], 0x0
	s_mov_b32 s1, 0
	v_lshrrev_b32_e32 v18, 6, v0
	s_waitcnt lgkmcnt(0)
	s_add_i32 s0, s0, s15
	s_delay_alu instid0(SALU_CYCLE_1) | instskip(NEXT) | instid1(SALU_CYCLE_1)
	s_lshl_b64 s[0:1], s[0:1], 2
	s_add_u32 s0, s42, s0
	s_addc_u32 s1, s43, s1
	s_and_b32 vcc_lo, exec_lo, s13
	s_load_b32 s34, s[0:1], 0x0
	s_cbranch_vccz .LBB36_30
; %bb.7:
	s_waitcnt lgkmcnt(0)
	s_ashr_i32 s35, s34, 31
	v_subrev_nc_u32_e32 v5, s24, v18
	s_lshl_b64 s[0:1], s[34:35], 2
	s_delay_alu instid0(SALU_CYCLE_1)
	s_add_u32 s0, s4, s0
	s_addc_u32 s1, s5, s1
	s_load_b64 s[0:1], s[0:1], 0x0
	s_waitcnt lgkmcnt(0)
	v_add_nc_u32_e32 v5, s0, v5
	s_sub_i32 s0, s1, s24
	s_mov_b32 s1, exec_lo
	s_delay_alu instid0(VALU_DEP_1)
	v_cmpx_gt_i32_e64 s0, v5
	s_cbranch_execz .LBB36_29
; %bb.8:
	v_and_b32_e32 v6, 63, v0
	s_mov_b32 s2, 0
	s_delay_alu instid0(VALU_DEP_1)
	v_subrev_nc_u32_e32 v19, s25, v6
	s_branch .LBB36_10
.LBB36_9:                               ;   in Loop: Header=BB36_10 Depth=1
	s_or_b32 exec_lo, exec_lo, s3
	v_add_nc_u32_e32 v5, 16, v5
	s_delay_alu instid0(VALU_DEP_1) | instskip(SKIP_1) | instid1(SALU_CYCLE_1)
	v_cmp_le_i32_e32 vcc_lo, s0, v5
	s_or_b32 s2, vcc_lo, s2
	s_and_not1_b32 exec_lo, exec_lo, s2
	s_cbranch_execz .LBB36_29
.LBB36_10:                              ; =>This Loop Header: Depth=1
                                        ;     Child Loop BB36_13 Depth 2
                                        ;       Child Loop BB36_15 Depth 3
                                        ;         Child Loop BB36_21 Depth 4
                                        ;         Child Loop BB36_27 Depth 4
	v_ashrrev_i32_e32 v6, 31, v5
	s_mov_b32 s3, exec_lo
	s_delay_alu instid0(VALU_DEP_1) | instskip(NEXT) | instid1(VALU_DEP_1)
	v_lshlrev_b64 v[7:8], 2, v[5:6]
	v_add_co_u32 v7, vcc_lo, s6, v7
	s_delay_alu instid0(VALU_DEP_2) | instskip(SKIP_3) | instid1(VALU_DEP_1)
	v_add_co_ci_u32_e32 v8, vcc_lo, s7, v8, vcc_lo
	global_load_b32 v7, v[7:8], off
	s_waitcnt vmcnt(0)
	v_subrev_nc_u32_e32 v7, s24, v7
	v_ashrrev_i32_e32 v8, 31, v7
	s_delay_alu instid0(VALU_DEP_1) | instskip(NEXT) | instid1(VALU_DEP_1)
	v_lshlrev_b64 v[7:8], 2, v[7:8]
	v_add_co_u32 v7, vcc_lo, s10, v7
	s_delay_alu instid0(VALU_DEP_2) | instskip(SKIP_4) | instid1(VALU_DEP_1)
	v_add_co_ci_u32_e32 v8, vcc_lo, s11, v8, vcc_lo
	global_load_b64 v[7:8], v[7:8], off
	s_waitcnt vmcnt(0)
	v_subrev_nc_u32_e32 v20, s25, v8
	v_add_nc_u32_e32 v7, v7, v19
	v_cmpx_lt_i32_e64 v7, v20
	s_cbranch_execz .LBB36_9
; %bb.11:                               ;   in Loop: Header=BB36_10 Depth=1
	v_lshlrev_b64 v[8:9], 3, v[5:6]
	s_mov_b32 s4, 0
	s_delay_alu instid0(VALU_DEP_1) | instskip(NEXT) | instid1(VALU_DEP_2)
	v_add_co_u32 v8, vcc_lo, s8, v8
	v_add_co_ci_u32_e32 v9, vcc_lo, s9, v9, vcc_lo
	global_load_b64 v[8:9], v[8:9], off
	s_waitcnt vmcnt(0)
	v_mul_f64 v[9:10], v[3:4], v[8:9]
	s_branch .LBB36_13
.LBB36_12:                              ;   in Loop: Header=BB36_13 Depth=2
	s_or_b32 exec_lo, exec_lo, s5
	v_add_nc_u32_e32 v7, 64, v7
	s_delay_alu instid0(VALU_DEP_1) | instskip(SKIP_1) | instid1(SALU_CYCLE_1)
	v_cmp_ge_i32_e32 vcc_lo, v7, v20
	s_or_b32 s4, vcc_lo, s4
	s_and_not1_b32 exec_lo, exec_lo, s4
	s_cbranch_execz .LBB36_9
.LBB36_13:                              ;   Parent Loop BB36_10 Depth=1
                                        ; =>  This Loop Header: Depth=2
                                        ;       Child Loop BB36_15 Depth 3
                                        ;         Child Loop BB36_21 Depth 4
                                        ;         Child Loop BB36_27 Depth 4
	v_ashrrev_i32_e32 v8, 31, v7
	s_mov_b32 s5, 0
	s_delay_alu instid0(VALU_DEP_1) | instskip(SKIP_1) | instid1(VALU_DEP_2)
	v_lshlrev_b64 v[11:12], 3, v[7:8]
	v_lshlrev_b64 v[13:14], 2, v[7:8]
	v_add_co_u32 v11, vcc_lo, s38, v11
	s_delay_alu instid0(VALU_DEP_3) | instskip(NEXT) | instid1(VALU_DEP_3)
	v_add_co_ci_u32_e32 v12, vcc_lo, s39, v12, vcc_lo
	v_add_co_u32 v13, vcc_lo, s36, v13
	s_delay_alu instid0(VALU_DEP_4)
	v_add_co_ci_u32_e32 v14, vcc_lo, s37, v14, vcc_lo
	global_load_b64 v[11:12], v[11:12], off
	global_load_b32 v6, v[13:14], off
	s_waitcnt vmcnt(1)
	v_mul_f64 v[11:12], v[9:10], v[11:12]
	s_waitcnt vmcnt(0)
	v_subrev_nc_u32_e32 v6, s25, v6
	s_delay_alu instid0(VALU_DEP_1) | instskip(NEXT) | instid1(VALU_DEP_1)
	v_mul_lo_u32 v8, 0x89, v6
	v_and_b32_e32 v8, 0xfff, v8
	s_branch .LBB36_15
.LBB36_14:                              ;   in Loop: Header=BB36_15 Depth=3
	s_or_b32 exec_lo, exec_lo, s13
	s_xor_b32 s13, s14, -1
	s_delay_alu instid0(SALU_CYCLE_1) | instskip(NEXT) | instid1(SALU_CYCLE_1)
	s_and_b32 s13, exec_lo, s13
	s_or_b32 s5, s13, s5
	s_delay_alu instid0(SALU_CYCLE_1)
	s_and_not1_b32 exec_lo, exec_lo, s5
	s_cbranch_execz .LBB36_12
.LBB36_15:                              ;   Parent Loop BB36_10 Depth=1
                                        ;     Parent Loop BB36_13 Depth=2
                                        ; =>    This Loop Header: Depth=3
                                        ;         Child Loop BB36_21 Depth 4
                                        ;         Child Loop BB36_27 Depth 4
	s_delay_alu instid0(VALU_DEP_1)
	v_lshl_add_u32 v13, v8, 2, 0
	s_mov_b32 s13, exec_lo
                                        ; implicit-def: $sgpr14
	ds_load_b32 v14, v13
	s_waitcnt lgkmcnt(0)
	v_cmpx_ne_u32_e64 v14, v6
	s_xor_b32 s13, exec_lo, s13
	s_cbranch_execz .LBB36_25
; %bb.16:                               ;   in Loop: Header=BB36_15 Depth=3
	s_mov_b32 s15, exec_lo
                                        ; implicit-def: $sgpr14
	v_cmpx_ne_u32_e64 s33, v14
	s_xor_b32 s15, exec_lo, s15
; %bb.17:                               ;   in Loop: Header=BB36_15 Depth=3
	v_add_nc_u32_e32 v8, 1, v8
	s_mov_b32 s14, -1
                                        ; implicit-def: $vgpr13
	s_delay_alu instid0(VALU_DEP_1)
	v_and_b32_e32 v8, 0xfff, v8
; %bb.18:                               ;   in Loop: Header=BB36_15 Depth=3
	s_and_not1_saveexec_b32 s15, s15
	s_cbranch_execz .LBB36_24
; %bb.19:                               ;   in Loop: Header=BB36_15 Depth=3
	v_mov_b32_e32 v14, s33
	s_mov_b32 s40, -1
	s_mov_b32 s35, exec_lo
	ds_cmpstore_rtn_b32 v14, v13, v6, v14
	s_waitcnt lgkmcnt(0)
	v_cmpx_eq_u32_e64 s33, v14
	s_cbranch_execz .LBB36_23
; %bb.20:                               ;   in Loop: Header=BB36_15 Depth=3
	v_lshlrev_b32_e32 v14, 2, v8
	s_mov_b32 s40, 0
	s_delay_alu instid0(VALU_DEP_1)
	v_add_nc_u32_e32 v21, v13, v14
	ds_load_b64 v[13:14], v21 offset:16384
.LBB36_21:                              ;   Parent Loop BB36_10 Depth=1
                                        ;     Parent Loop BB36_13 Depth=2
                                        ;       Parent Loop BB36_15 Depth=3
                                        ; =>      This Inner Loop Header: Depth=4
	s_waitcnt lgkmcnt(0)
	v_add_f64 v[22:23], v[13:14], v[11:12]
	ds_cmpstore_rtn_b64 v[22:23], v21, v[22:23], v[13:14] offset:16384
	s_waitcnt lgkmcnt(0)
	v_cmp_eq_u64_e32 vcc_lo, v[22:23], v[13:14]
	v_dual_mov_b32 v13, v22 :: v_dual_mov_b32 v14, v23
	s_or_b32 s40, vcc_lo, s40
	s_delay_alu instid0(SALU_CYCLE_1)
	s_and_not1_b32 exec_lo, exec_lo, s40
	s_cbranch_execnz .LBB36_21
; %bb.22:                               ;   in Loop: Header=BB36_15 Depth=3
	s_or_b32 exec_lo, exec_lo, s40
	s_delay_alu instid0(SALU_CYCLE_1)
	s_xor_b32 s40, exec_lo, -1
.LBB36_23:                              ;   in Loop: Header=BB36_15 Depth=3
	s_or_b32 exec_lo, exec_lo, s35
	s_delay_alu instid0(SALU_CYCLE_1) | instskip(SKIP_1) | instid1(SALU_CYCLE_1)
	s_and_not1_b32 s14, s14, exec_lo
	s_and_b32 s35, s40, exec_lo
	s_or_b32 s14, s14, s35
.LBB36_24:                              ;   in Loop: Header=BB36_15 Depth=3
	s_or_b32 exec_lo, exec_lo, s15
	s_delay_alu instid0(SALU_CYCLE_1)
	s_and_b32 s14, s14, exec_lo
                                        ; implicit-def: $vgpr13
.LBB36_25:                              ;   in Loop: Header=BB36_15 Depth=3
	s_and_not1_saveexec_b32 s13, s13
	s_cbranch_execz .LBB36_14
; %bb.26:                               ;   in Loop: Header=BB36_15 Depth=3
	v_lshlrev_b32_e32 v14, 2, v8
	s_mov_b32 s15, 0
	s_delay_alu instid0(VALU_DEP_1)
	v_add_nc_u32_e32 v21, v13, v14
	ds_load_b64 v[13:14], v21 offset:16384
.LBB36_27:                              ;   Parent Loop BB36_10 Depth=1
                                        ;     Parent Loop BB36_13 Depth=2
                                        ;       Parent Loop BB36_15 Depth=3
                                        ; =>      This Inner Loop Header: Depth=4
	s_waitcnt lgkmcnt(0)
	v_add_f64 v[22:23], v[13:14], v[11:12]
	ds_cmpstore_rtn_b64 v[22:23], v21, v[22:23], v[13:14] offset:16384
	s_waitcnt lgkmcnt(0)
	v_cmp_eq_u64_e32 vcc_lo, v[22:23], v[13:14]
	v_dual_mov_b32 v13, v22 :: v_dual_mov_b32 v14, v23
	s_or_b32 s15, vcc_lo, s15
	s_delay_alu instid0(SALU_CYCLE_1)
	s_and_not1_b32 exec_lo, exec_lo, s15
	s_cbranch_execnz .LBB36_27
; %bb.28:                               ;   in Loop: Header=BB36_15 Depth=3
	s_or_b32 exec_lo, exec_lo, s15
	s_delay_alu instid0(SALU_CYCLE_1)
	s_and_not1_b32 s14, s14, exec_lo
	s_branch .LBB36_14
.LBB36_29:
	s_or_b32 exec_lo, exec_lo, s1
.LBB36_30:
	s_delay_alu instid0(SALU_CYCLE_1)
	s_and_not1_b32 vcc_lo, exec_lo, s12
	s_cbranch_vccnz .LBB36_51
; %bb.31:
	s_waitcnt lgkmcnt(0)
	s_ashr_i32 s35, s34, 31
	v_subrev_nc_u32_e32 v3, s27, v0
	s_lshl_b64 s[0:1], s[34:35], 2
	s_delay_alu instid0(SALU_CYCLE_1)
	s_add_u32 s0, s16, s0
	s_addc_u32 s1, s17, s1
	s_load_b64 s[0:1], s[0:1], 0x0
	s_waitcnt lgkmcnt(0)
	v_add_nc_u32_e32 v3, s0, v3
	s_sub_i32 s0, s1, s27
	s_mov_b32 s1, exec_lo
	s_delay_alu instid0(VALU_DEP_1)
	v_cmpx_gt_i32_e64 s0, v3
	s_cbranch_execz .LBB36_50
; %bb.32:
	s_mov_b32 s2, 0
	s_branch .LBB36_34
.LBB36_33:                              ;   in Loop: Header=BB36_34 Depth=1
	s_or_b32 exec_lo, exec_lo, s3
	v_add_nc_u32_e32 v3, 0x400, v3
	s_delay_alu instid0(VALU_DEP_1) | instskip(SKIP_1) | instid1(SALU_CYCLE_1)
	v_cmp_le_i32_e32 vcc_lo, s0, v3
	s_or_b32 s2, vcc_lo, s2
	s_and_not1_b32 exec_lo, exec_lo, s2
	s_cbranch_execz .LBB36_50
.LBB36_34:                              ; =>This Loop Header: Depth=1
                                        ;     Child Loop BB36_36 Depth 2
                                        ;       Child Loop BB36_42 Depth 3
                                        ;       Child Loop BB36_48 Depth 3
	v_ashrrev_i32_e32 v4, 31, v3
	s_mov_b32 s3, 0
	s_delay_alu instid0(VALU_DEP_1) | instskip(SKIP_1) | instid1(VALU_DEP_2)
	v_lshlrev_b64 v[5:6], 3, v[3:4]
	v_lshlrev_b64 v[7:8], 2, v[3:4]
	v_add_co_u32 v5, vcc_lo, s20, v5
	s_delay_alu instid0(VALU_DEP_3) | instskip(NEXT) | instid1(VALU_DEP_3)
	v_add_co_ci_u32_e32 v6, vcc_lo, s21, v6, vcc_lo
	v_add_co_u32 v7, vcc_lo, s18, v7
	s_delay_alu instid0(VALU_DEP_4)
	v_add_co_ci_u32_e32 v8, vcc_lo, s19, v8, vcc_lo
	global_load_b64 v[5:6], v[5:6], off
	global_load_b32 v7, v[7:8], off
	s_waitcnt vmcnt(1)
	v_mul_f64 v[4:5], v[1:2], v[5:6]
	s_waitcnt vmcnt(0)
	v_subrev_nc_u32_e32 v8, s27, v7
	s_delay_alu instid0(VALU_DEP_1) | instskip(NEXT) | instid1(VALU_DEP_1)
	v_mul_lo_u32 v6, 0x89, v8
	v_and_b32_e32 v9, 0xfff, v6
	s_branch .LBB36_36
.LBB36_35:                              ;   in Loop: Header=BB36_36 Depth=2
	s_or_b32 exec_lo, exec_lo, s4
	s_xor_b32 s4, s5, -1
	s_delay_alu instid0(SALU_CYCLE_1) | instskip(NEXT) | instid1(SALU_CYCLE_1)
	s_and_b32 s4, exec_lo, s4
	s_or_b32 s3, s4, s3
	s_delay_alu instid0(SALU_CYCLE_1)
	s_and_not1_b32 exec_lo, exec_lo, s3
	s_cbranch_execz .LBB36_33
.LBB36_36:                              ;   Parent Loop BB36_34 Depth=1
                                        ; =>  This Loop Header: Depth=2
                                        ;       Child Loop BB36_42 Depth 3
                                        ;       Child Loop BB36_48 Depth 3
	s_delay_alu instid0(VALU_DEP_1)
	v_lshl_add_u32 v6, v9, 2, 0
	s_mov_b32 s4, exec_lo
                                        ; implicit-def: $sgpr5
	ds_load_b32 v7, v6
	s_waitcnt lgkmcnt(0)
	v_cmpx_ne_u32_e64 v7, v8
	s_xor_b32 s4, exec_lo, s4
	s_cbranch_execz .LBB36_46
; %bb.37:                               ;   in Loop: Header=BB36_36 Depth=2
	s_mov_b32 s6, exec_lo
                                        ; implicit-def: $sgpr5
	v_cmpx_ne_u32_e64 s33, v7
	s_xor_b32 s6, exec_lo, s6
; %bb.38:                               ;   in Loop: Header=BB36_36 Depth=2
	v_add_nc_u32_e32 v6, 1, v9
	s_mov_b32 s5, -1
	s_delay_alu instid0(VALU_DEP_1)
	v_and_b32_e32 v9, 0xfff, v6
                                        ; implicit-def: $vgpr6
; %bb.39:                               ;   in Loop: Header=BB36_36 Depth=2
	s_and_not1_saveexec_b32 s6, s6
	s_cbranch_execz .LBB36_45
; %bb.40:                               ;   in Loop: Header=BB36_36 Depth=2
	v_mov_b32_e32 v7, s33
	s_mov_b32 s8, -1
	s_mov_b32 s7, exec_lo
	ds_cmpstore_rtn_b32 v7, v6, v8, v7
	s_waitcnt lgkmcnt(0)
	v_cmpx_eq_u32_e64 s33, v7
	s_cbranch_execz .LBB36_44
; %bb.41:                               ;   in Loop: Header=BB36_36 Depth=2
	v_lshlrev_b32_e32 v7, 2, v9
	s_mov_b32 s8, 0
	s_delay_alu instid0(VALU_DEP_1)
	v_add_nc_u32_e32 v10, v6, v7
	ds_load_b64 v[6:7], v10 offset:16384
.LBB36_42:                              ;   Parent Loop BB36_34 Depth=1
                                        ;     Parent Loop BB36_36 Depth=2
                                        ; =>    This Inner Loop Header: Depth=3
	s_waitcnt lgkmcnt(0)
	v_add_f64 v[11:12], v[6:7], v[4:5]
	ds_cmpstore_rtn_b64 v[11:12], v10, v[11:12], v[6:7] offset:16384
	s_waitcnt lgkmcnt(0)
	v_cmp_eq_u64_e32 vcc_lo, v[11:12], v[6:7]
	v_dual_mov_b32 v6, v11 :: v_dual_mov_b32 v7, v12
	s_or_b32 s8, vcc_lo, s8
	s_delay_alu instid0(SALU_CYCLE_1)
	s_and_not1_b32 exec_lo, exec_lo, s8
	s_cbranch_execnz .LBB36_42
; %bb.43:                               ;   in Loop: Header=BB36_36 Depth=2
	s_or_b32 exec_lo, exec_lo, s8
	s_delay_alu instid0(SALU_CYCLE_1)
	s_xor_b32 s8, exec_lo, -1
.LBB36_44:                              ;   in Loop: Header=BB36_36 Depth=2
	s_or_b32 exec_lo, exec_lo, s7
	s_delay_alu instid0(SALU_CYCLE_1) | instskip(SKIP_1) | instid1(SALU_CYCLE_1)
	s_and_not1_b32 s5, s5, exec_lo
	s_and_b32 s7, s8, exec_lo
	s_or_b32 s5, s5, s7
.LBB36_45:                              ;   in Loop: Header=BB36_36 Depth=2
	s_or_b32 exec_lo, exec_lo, s6
	s_delay_alu instid0(SALU_CYCLE_1)
	s_and_b32 s5, s5, exec_lo
                                        ; implicit-def: $vgpr6
.LBB36_46:                              ;   in Loop: Header=BB36_36 Depth=2
	s_and_not1_saveexec_b32 s4, s4
	s_cbranch_execz .LBB36_35
; %bb.47:                               ;   in Loop: Header=BB36_36 Depth=2
	v_lshlrev_b32_e32 v7, 2, v9
	s_mov_b32 s6, 0
	s_delay_alu instid0(VALU_DEP_1)
	v_add_nc_u32_e32 v10, v6, v7
	ds_load_b64 v[6:7], v10 offset:16384
.LBB36_48:                              ;   Parent Loop BB36_34 Depth=1
                                        ;     Parent Loop BB36_36 Depth=2
                                        ; =>    This Inner Loop Header: Depth=3
	s_waitcnt lgkmcnt(0)
	v_add_f64 v[11:12], v[6:7], v[4:5]
	ds_cmpstore_rtn_b64 v[11:12], v10, v[11:12], v[6:7] offset:16384
	s_waitcnt lgkmcnt(0)
	v_cmp_eq_u64_e32 vcc_lo, v[11:12], v[6:7]
	v_dual_mov_b32 v6, v11 :: v_dual_mov_b32 v7, v12
	s_or_b32 s6, vcc_lo, s6
	s_delay_alu instid0(SALU_CYCLE_1)
	s_and_not1_b32 exec_lo, exec_lo, s6
	s_cbranch_execnz .LBB36_48
; %bb.49:                               ;   in Loop: Header=BB36_36 Depth=2
	s_or_b32 exec_lo, exec_lo, s6
	s_delay_alu instid0(SALU_CYCLE_1)
	s_and_not1_b32 s5, s5, exec_lo
	s_branch .LBB36_35
.LBB36_50:
	s_or_b32 exec_lo, exec_lo, s1
.LBB36_51:
	v_mbcnt_lo_u32_b32 v1, -1, 0
	v_lshl_add_u32 v4, v18, 2, 0
	v_cmp_eq_u32_e32 vcc_lo, 0x3ff, v0
	v_cmp_lt_u32_e64 s0, 63, v0
	v_cmp_lt_u32_e64 s1, 0x7f, v0
	v_xor_b32_e32 v1, 63, v1
	v_cmp_lt_u32_e64 s2, 0xbf, v0
	v_cmp_lt_u32_e64 s3, 0xff, v0
	;; [unrolled: 1-line block ×4, first 2 shown]
	v_lshrrev_b64 v[1:2], v1, -1
	v_cmp_lt_u32_e64 s6, 0x1bf, v0
	v_cmp_lt_u32_e64 s7, 0x1ff, v0
	;; [unrolled: 1-line block ×9, first 2 shown]
	v_dual_mov_b32 v5, 0 :: v_dual_mov_b32 v6, 0
	s_mov_b32 s16, 0
	s_waitcnt lgkmcnt(0)
	s_barrier
	buffer_gl0_inv
	s_branch .LBB36_53
.LBB36_52:                              ;   in Loop: Header=BB36_53 Depth=1
	s_or_b32 exec_lo, exec_lo, s15
	s_waitcnt lgkmcnt(0)
	s_barrier
	buffer_gl0_inv
	ds_load_b32 v2, v5 offset:49212
	v_add_nc_u32_e32 v16, 0x400, v16
	v_add_nc_u32_e32 v17, 0x2000, v17
	;; [unrolled: 1-line block ×3, first 2 shown]
	s_delay_alu instid0(VALU_DEP_3) | instskip(NEXT) | instid1(VALU_DEP_1)
	v_cmp_lt_u32_e64 s15, 0xbff, v16
	s_or_b32 s16, s15, s16
	s_waitcnt lgkmcnt(0)
	v_add_nc_u32_e32 v6, v2, v6
	s_and_not1_b32 exec_lo, exec_lo, s16
	s_cbranch_execz .LBB36_87
.LBB36_53:                              ; =>This Inner Loop Header: Depth=1
	ds_load_b32 v7, v15
	ds_load_b64 v[2:3], v17
	s_waitcnt lgkmcnt(0)
	s_barrier
	buffer_gl0_inv
	v_cmp_gt_i32_e64 s15, s33, v7
	s_delay_alu instid0(VALU_DEP_1) | instskip(NEXT) | instid1(SALU_CYCLE_1)
	s_bcnt1_i32_b32 s17, s15
	v_dual_mov_b32 v9, s17 :: v_dual_and_b32 v8, s15, v1
	s_delay_alu instid0(VALU_DEP_1)
	v_bcnt_u32_b32 v8, v8, 0
	ds_store_b32 v4, v9 offset:49152
	s_waitcnt lgkmcnt(0)
	s_barrier
	buffer_gl0_inv
	s_and_saveexec_b32 s17, s0
	s_cbranch_execnz .LBB36_70
; %bb.54:                               ;   in Loop: Header=BB36_53 Depth=1
	s_or_b32 exec_lo, exec_lo, s17
	s_and_saveexec_b32 s17, s1
	s_cbranch_execnz .LBB36_71
.LBB36_55:                              ;   in Loop: Header=BB36_53 Depth=1
	s_or_b32 exec_lo, exec_lo, s17
	s_and_saveexec_b32 s17, s2
	s_cbranch_execnz .LBB36_72
.LBB36_56:                              ;   in Loop: Header=BB36_53 Depth=1
	s_or_b32 exec_lo, exec_lo, s17
	s_and_saveexec_b32 s17, s3
	s_cbranch_execnz .LBB36_73
.LBB36_57:                              ;   in Loop: Header=BB36_53 Depth=1
	s_or_b32 exec_lo, exec_lo, s17
	s_and_saveexec_b32 s17, s4
	s_cbranch_execnz .LBB36_74
.LBB36_58:                              ;   in Loop: Header=BB36_53 Depth=1
	s_or_b32 exec_lo, exec_lo, s17
	s_and_saveexec_b32 s17, s5
	s_cbranch_execnz .LBB36_75
.LBB36_59:                              ;   in Loop: Header=BB36_53 Depth=1
	s_or_b32 exec_lo, exec_lo, s17
	s_and_saveexec_b32 s17, s6
	s_cbranch_execnz .LBB36_76
.LBB36_60:                              ;   in Loop: Header=BB36_53 Depth=1
	s_or_b32 exec_lo, exec_lo, s17
	s_and_saveexec_b32 s17, s7
	s_cbranch_execnz .LBB36_77
.LBB36_61:                              ;   in Loop: Header=BB36_53 Depth=1
	s_or_b32 exec_lo, exec_lo, s17
	s_and_saveexec_b32 s17, s8
	s_cbranch_execnz .LBB36_78
.LBB36_62:                              ;   in Loop: Header=BB36_53 Depth=1
	s_or_b32 exec_lo, exec_lo, s17
	s_and_saveexec_b32 s17, s9
	s_cbranch_execnz .LBB36_79
.LBB36_63:                              ;   in Loop: Header=BB36_53 Depth=1
	s_or_b32 exec_lo, exec_lo, s17
	s_and_saveexec_b32 s17, s10
	s_cbranch_execnz .LBB36_80
.LBB36_64:                              ;   in Loop: Header=BB36_53 Depth=1
	s_or_b32 exec_lo, exec_lo, s17
	s_and_saveexec_b32 s17, s11
	s_cbranch_execnz .LBB36_81
.LBB36_65:                              ;   in Loop: Header=BB36_53 Depth=1
	s_or_b32 exec_lo, exec_lo, s17
	s_and_saveexec_b32 s17, s12
	s_cbranch_execnz .LBB36_82
.LBB36_66:                              ;   in Loop: Header=BB36_53 Depth=1
	s_or_b32 exec_lo, exec_lo, s17
	s_and_saveexec_b32 s17, s13
	s_cbranch_execnz .LBB36_83
.LBB36_67:                              ;   in Loop: Header=BB36_53 Depth=1
	s_or_b32 exec_lo, exec_lo, s17
	s_and_saveexec_b32 s17, s14
	s_cbranch_execnz .LBB36_84
.LBB36_68:                              ;   in Loop: Header=BB36_53 Depth=1
	s_or_b32 exec_lo, exec_lo, s17
	s_and_saveexec_b32 s17, s15
	s_cbranch_execnz .LBB36_85
.LBB36_69:                              ;   in Loop: Header=BB36_53 Depth=1
	s_or_b32 exec_lo, exec_lo, s17
	s_and_saveexec_b32 s15, vcc_lo
	s_cbranch_execz .LBB36_52
	s_branch .LBB36_86
.LBB36_70:                              ;   in Loop: Header=BB36_53 Depth=1
	ds_load_b32 v9, v5 offset:49152
	s_waitcnt lgkmcnt(0)
	v_add_nc_u32_e32 v8, v9, v8
	s_or_b32 exec_lo, exec_lo, s17
	s_and_saveexec_b32 s17, s1
	s_cbranch_execz .LBB36_55
.LBB36_71:                              ;   in Loop: Header=BB36_53 Depth=1
	ds_load_b32 v9, v5 offset:49156
	s_waitcnt lgkmcnt(0)
	v_add_nc_u32_e32 v8, v9, v8
	s_or_b32 exec_lo, exec_lo, s17
	s_and_saveexec_b32 s17, s2
	s_cbranch_execz .LBB36_56
.LBB36_72:                              ;   in Loop: Header=BB36_53 Depth=1
	ds_load_b32 v9, v5 offset:49160
	s_waitcnt lgkmcnt(0)
	v_add_nc_u32_e32 v8, v9, v8
	s_or_b32 exec_lo, exec_lo, s17
	s_and_saveexec_b32 s17, s3
	s_cbranch_execz .LBB36_57
.LBB36_73:                              ;   in Loop: Header=BB36_53 Depth=1
	ds_load_b32 v9, v5 offset:49164
	s_waitcnt lgkmcnt(0)
	v_add_nc_u32_e32 v8, v9, v8
	s_or_b32 exec_lo, exec_lo, s17
	s_and_saveexec_b32 s17, s4
	s_cbranch_execz .LBB36_58
.LBB36_74:                              ;   in Loop: Header=BB36_53 Depth=1
	ds_load_b32 v9, v5 offset:49168
	s_waitcnt lgkmcnt(0)
	v_add_nc_u32_e32 v8, v9, v8
	s_or_b32 exec_lo, exec_lo, s17
	s_and_saveexec_b32 s17, s5
	s_cbranch_execz .LBB36_59
.LBB36_75:                              ;   in Loop: Header=BB36_53 Depth=1
	ds_load_b32 v9, v5 offset:49172
	s_waitcnt lgkmcnt(0)
	v_add_nc_u32_e32 v8, v9, v8
	s_or_b32 exec_lo, exec_lo, s17
	s_and_saveexec_b32 s17, s6
	s_cbranch_execz .LBB36_60
.LBB36_76:                              ;   in Loop: Header=BB36_53 Depth=1
	ds_load_b32 v9, v5 offset:49176
	s_waitcnt lgkmcnt(0)
	v_add_nc_u32_e32 v8, v9, v8
	s_or_b32 exec_lo, exec_lo, s17
	s_and_saveexec_b32 s17, s7
	s_cbranch_execz .LBB36_61
.LBB36_77:                              ;   in Loop: Header=BB36_53 Depth=1
	ds_load_b32 v9, v5 offset:49180
	s_waitcnt lgkmcnt(0)
	v_add_nc_u32_e32 v8, v9, v8
	s_or_b32 exec_lo, exec_lo, s17
	s_and_saveexec_b32 s17, s8
	s_cbranch_execz .LBB36_62
.LBB36_78:                              ;   in Loop: Header=BB36_53 Depth=1
	ds_load_b32 v9, v5 offset:49184
	s_waitcnt lgkmcnt(0)
	v_add_nc_u32_e32 v8, v9, v8
	s_or_b32 exec_lo, exec_lo, s17
	s_and_saveexec_b32 s17, s9
	s_cbranch_execz .LBB36_63
.LBB36_79:                              ;   in Loop: Header=BB36_53 Depth=1
	ds_load_b32 v9, v5 offset:49188
	s_waitcnt lgkmcnt(0)
	v_add_nc_u32_e32 v8, v9, v8
	s_or_b32 exec_lo, exec_lo, s17
	s_and_saveexec_b32 s17, s10
	s_cbranch_execz .LBB36_64
.LBB36_80:                              ;   in Loop: Header=BB36_53 Depth=1
	ds_load_b32 v9, v5 offset:49192
	s_waitcnt lgkmcnt(0)
	v_add_nc_u32_e32 v8, v9, v8
	s_or_b32 exec_lo, exec_lo, s17
	s_and_saveexec_b32 s17, s11
	s_cbranch_execz .LBB36_65
.LBB36_81:                              ;   in Loop: Header=BB36_53 Depth=1
	ds_load_b32 v9, v5 offset:49196
	s_waitcnt lgkmcnt(0)
	v_add_nc_u32_e32 v8, v9, v8
	s_or_b32 exec_lo, exec_lo, s17
	s_and_saveexec_b32 s17, s12
	s_cbranch_execz .LBB36_66
.LBB36_82:                              ;   in Loop: Header=BB36_53 Depth=1
	ds_load_b32 v9, v5 offset:49200
	s_waitcnt lgkmcnt(0)
	v_add_nc_u32_e32 v8, v9, v8
	s_or_b32 exec_lo, exec_lo, s17
	s_and_saveexec_b32 s17, s13
	s_cbranch_execz .LBB36_67
.LBB36_83:                              ;   in Loop: Header=BB36_53 Depth=1
	ds_load_b32 v9, v5 offset:49204
	s_waitcnt lgkmcnt(0)
	v_add_nc_u32_e32 v8, v9, v8
	s_or_b32 exec_lo, exec_lo, s17
	s_and_saveexec_b32 s17, s14
	s_cbranch_execz .LBB36_68
.LBB36_84:                              ;   in Loop: Header=BB36_53 Depth=1
	ds_load_b32 v9, v5 offset:49208
	s_waitcnt lgkmcnt(0)
	v_add_nc_u32_e32 v8, v9, v8
	s_or_b32 exec_lo, exec_lo, s17
	s_and_saveexec_b32 s17, s15
	s_cbranch_execz .LBB36_69
.LBB36_85:                              ;   in Loop: Header=BB36_53 Depth=1
	s_delay_alu instid0(VALU_DEP_1) | instskip(NEXT) | instid1(VALU_DEP_1)
	v_add3_u32 v9, v6, -1, v8
	v_lshl_add_u32 v10, v9, 2, 0
	v_lshl_add_u32 v9, v9, 3, 0
	ds_store_b32 v10, v7
	ds_store_b64 v9, v[2:3] offset:16384
	s_or_b32 exec_lo, exec_lo, s17
	s_and_saveexec_b32 s15, vcc_lo
	s_cbranch_execz .LBB36_52
.LBB36_86:                              ;   in Loop: Header=BB36_53 Depth=1
	ds_store_b32 v5, v8 offset:49212
	s_branch .LBB36_52
.LBB36_87:
	s_or_b32 exec_lo, exec_lo, s16
	s_ashr_i32 s35, s34, 31
	s_mov_b32 s3, exec_lo
	s_lshl_b64 s[0:1], s[34:35], 2
	s_delay_alu instid0(SALU_CYCLE_1) | instskip(SKIP_4) | instid1(SALU_CYCLE_1)
	s_add_u32 s0, s22, s0
	s_addc_u32 s1, s23, s1
	s_load_b64 s[0:1], s[0:1], 0x0
	s_waitcnt lgkmcnt(0)
	s_sub_i32 s2, s1, s0
	v_cmpx_gt_i32_e64 s2, v0
	s_cbranch_execz .LBB36_97
; %bb.88:
	s_sub_i32 s3, s0, s26
	s_sub_i32 s0, s0, s1
	s_and_b32 s1, s2, 7
	s_cmp_lt_u32 s0, -7
	s_mov_b32 s7, 0
	s_cselect_b32 s4, -1, 0
	s_and_b32 s5, s2, -8
	s_cmp_lg_u32 s1, 0
	s_cselect_b32 s6, -1, 0
	s_branch .LBB36_90
.LBB36_89:                              ;   in Loop: Header=BB36_90 Depth=1
	s_delay_alu instid0(VALU_DEP_1) | instskip(SKIP_3) | instid1(VALU_DEP_3)
	v_ashrrev_i32_e32 v4, 31, v3
	v_add_nc_u32_e32 v0, 0x400, v0
	s_waitcnt lgkmcnt(1)
	v_add_nc_u32_e32 v8, s26, v5
	v_lshlrev_b64 v[6:7], 2, v[3:4]
	v_lshlrev_b64 v[3:4], 3, v[3:4]
	v_cmp_le_i32_e32 vcc_lo, s2, v0
	s_delay_alu instid0(VALU_DEP_3) | instskip(NEXT) | instid1(VALU_DEP_1)
	v_add_co_u32 v5, s0, s28, v6
	v_add_co_ci_u32_e64 v6, s0, s29, v7, s0
	s_delay_alu instid0(VALU_DEP_4) | instskip(NEXT) | instid1(VALU_DEP_1)
	v_add_co_u32 v3, s0, s30, v3
	v_add_co_ci_u32_e64 v4, s0, s31, v4, s0
	s_or_b32 s7, vcc_lo, s7
	global_store_b32 v[5:6], v8, off
	s_waitcnt lgkmcnt(0)
	global_store_b64 v[3:4], v[1:2], off
	s_and_not1_b32 exec_lo, exec_lo, s7
	s_cbranch_execz .LBB36_97
.LBB36_90:                              ; =>This Loop Header: Depth=1
                                        ;     Child Loop BB36_92 Depth 2
                                        ;     Child Loop BB36_96 Depth 2
	v_lshlrev_b32_e32 v1, 2, v0
	s_and_not1_b32 vcc_lo, exec_lo, s4
	s_mov_b32 s0, 0
	s_delay_alu instid0(VALU_DEP_1) | instskip(NEXT) | instid1(VALU_DEP_1)
	v_dual_mov_b32 v3, s3 :: v_dual_add_nc_u32 v2, 0, v1
	v_add_nc_u32_e32 v1, v2, v1
	ds_load_b32 v5, v2
	ds_load_b64 v[1:2], v1 offset:16384
	s_cbranch_vccnz .LBB36_94
; %bb.91:                               ;   in Loop: Header=BB36_90 Depth=1
	v_mov_b32_e32 v3, s3
	s_mov_b32 s8, 0
	s_set_inst_prefetch_distance 0x1
	.p2align	6
.LBB36_92:                              ;   Parent Loop BB36_90 Depth=1
                                        ; =>  This Inner Loop Header: Depth=2
	v_mov_b32_e32 v4, s8
	s_add_i32 s0, s0, 8
	s_add_i32 s8, s8, 32
	s_cmp_eq_u32 s5, s0
	ds_load_2addr_b32 v[6:7], v4 offset1:1
	ds_load_2addr_b32 v[8:9], v4 offset0:2 offset1:3
	ds_load_2addr_b32 v[10:11], v4 offset0:4 offset1:5
	;; [unrolled: 1-line block ×3, first 2 shown]
	s_waitcnt lgkmcnt(3)
	v_cmp_gt_i32_e32 vcc_lo, v5, v6
	v_cndmask_b32_e64 v4, 0, 1, vcc_lo
	s_waitcnt lgkmcnt(2)
	v_cmp_gt_i32_e32 vcc_lo, v5, v8
	v_cndmask_b32_e64 v6, 0, 1, vcc_lo
	v_cmp_gt_i32_e32 vcc_lo, v5, v7
	v_add_co_ci_u32_e32 v3, vcc_lo, v3, v4, vcc_lo
	s_waitcnt lgkmcnt(1)
	v_cmp_gt_i32_e32 vcc_lo, v5, v10
	v_cndmask_b32_e64 v4, 0, 1, vcc_lo
	v_cmp_gt_i32_e32 vcc_lo, v5, v9
	v_add_co_ci_u32_e32 v3, vcc_lo, v3, v6, vcc_lo
	;; [unrolled: 5-line block ×3, first 2 shown]
	v_cmp_gt_i32_e32 vcc_lo, v5, v13
	s_delay_alu instid0(VALU_DEP_2)
	v_add_co_ci_u32_e32 v3, vcc_lo, v3, v6, vcc_lo
	s_cbranch_scc0 .LBB36_92
; %bb.93:                               ;   in Loop: Header=BB36_90 Depth=1
	s_set_inst_prefetch_distance 0x2
	s_mov_b32 s0, s5
.LBB36_94:                              ;   in Loop: Header=BB36_90 Depth=1
	s_and_not1_b32 vcc_lo, exec_lo, s6
	s_cbranch_vccnz .LBB36_89
; %bb.95:                               ;   in Loop: Header=BB36_90 Depth=1
	s_lshl_b32 s0, s0, 2
	s_mov_b32 s8, s1
	s_add_i32 s0, s0, 0
.LBB36_96:                              ;   Parent Loop BB36_90 Depth=1
                                        ; =>  This Inner Loop Header: Depth=2
	s_delay_alu instid0(SALU_CYCLE_1)
	v_mov_b32_e32 v4, s0
	s_add_i32 s8, s8, -1
	s_add_i32 s0, s0, 4
	s_cmp_lg_u32 s8, 0
	ds_load_b32 v4, v4
	s_waitcnt lgkmcnt(0)
	v_cmp_gt_i32_e32 vcc_lo, v5, v4
	v_add_co_ci_u32_e32 v3, vcc_lo, 0, v3, vcc_lo
	s_cbranch_scc1 .LBB36_96
	s_branch .LBB36_89
.LBB36_97:
	s_nop 0
	s_sendmsg sendmsg(MSG_DEALLOC_VGPRS)
	s_endpgm
	.section	.rodata,"a",@progbits
	.p2align	6, 0x0
	.amdhsa_kernel _ZN9rocsparseL26csrgemm_fill_block_per_rowILj1024ELj64ELj4096ELj137ELj64EiidEEvT5_PKS1_S3_NS_24const_host_device_scalarIT6_EEPKT4_S3_PKS5_S9_S3_SB_S6_S9_S3_SB_S9_PS1_PS5_21rocsparse_index_base_SE_SE_SE_bbb
		.amdhsa_group_segment_fixed_size 0
		.amdhsa_private_segment_fixed_size 0
		.amdhsa_kernarg_size 156
		.amdhsa_user_sgpr_count 15
		.amdhsa_user_sgpr_dispatch_ptr 0
		.amdhsa_user_sgpr_queue_ptr 0
		.amdhsa_user_sgpr_kernarg_segment_ptr 1
		.amdhsa_user_sgpr_dispatch_id 0
		.amdhsa_user_sgpr_private_segment_size 0
		.amdhsa_wavefront_size32 1
		.amdhsa_uses_dynamic_stack 0
		.amdhsa_enable_private_segment 0
		.amdhsa_system_sgpr_workgroup_id_x 1
		.amdhsa_system_sgpr_workgroup_id_y 0
		.amdhsa_system_sgpr_workgroup_id_z 0
		.amdhsa_system_sgpr_workgroup_info 0
		.amdhsa_system_vgpr_workitem_id 0
		.amdhsa_next_free_vgpr 24
		.amdhsa_next_free_sgpr 44
		.amdhsa_reserve_vcc 1
		.amdhsa_float_round_mode_32 0
		.amdhsa_float_round_mode_16_64 0
		.amdhsa_float_denorm_mode_32 3
		.amdhsa_float_denorm_mode_16_64 3
		.amdhsa_dx10_clamp 1
		.amdhsa_ieee_mode 1
		.amdhsa_fp16_overflow 0
		.amdhsa_workgroup_processor_mode 1
		.amdhsa_memory_ordered 1
		.amdhsa_forward_progress 0
		.amdhsa_shared_vgpr_count 0
		.amdhsa_exception_fp_ieee_invalid_op 0
		.amdhsa_exception_fp_denorm_src 0
		.amdhsa_exception_fp_ieee_div_zero 0
		.amdhsa_exception_fp_ieee_overflow 0
		.amdhsa_exception_fp_ieee_underflow 0
		.amdhsa_exception_fp_ieee_inexact 0
		.amdhsa_exception_int_div_zero 0
	.end_amdhsa_kernel
	.section	.text._ZN9rocsparseL26csrgemm_fill_block_per_rowILj1024ELj64ELj4096ELj137ELj64EiidEEvT5_PKS1_S3_NS_24const_host_device_scalarIT6_EEPKT4_S3_PKS5_S9_S3_SB_S6_S9_S3_SB_S9_PS1_PS5_21rocsparse_index_base_SE_SE_SE_bbb,"axG",@progbits,_ZN9rocsparseL26csrgemm_fill_block_per_rowILj1024ELj64ELj4096ELj137ELj64EiidEEvT5_PKS1_S3_NS_24const_host_device_scalarIT6_EEPKT4_S3_PKS5_S9_S3_SB_S6_S9_S3_SB_S9_PS1_PS5_21rocsparse_index_base_SE_SE_SE_bbb,comdat
.Lfunc_end36:
	.size	_ZN9rocsparseL26csrgemm_fill_block_per_rowILj1024ELj64ELj4096ELj137ELj64EiidEEvT5_PKS1_S3_NS_24const_host_device_scalarIT6_EEPKT4_S3_PKS5_S9_S3_SB_S6_S9_S3_SB_S9_PS1_PS5_21rocsparse_index_base_SE_SE_SE_bbb, .Lfunc_end36-_ZN9rocsparseL26csrgemm_fill_block_per_rowILj1024ELj64ELj4096ELj137ELj64EiidEEvT5_PKS1_S3_NS_24const_host_device_scalarIT6_EEPKT4_S3_PKS5_S9_S3_SB_S6_S9_S3_SB_S9_PS1_PS5_21rocsparse_index_base_SE_SE_SE_bbb
                                        ; -- End function
	.section	.AMDGPU.csdata,"",@progbits
; Kernel info:
; codeLenInByte = 3524
; NumSgprs: 46
; NumVgprs: 24
; ScratchSize: 0
; MemoryBound: 0
; FloatMode: 240
; IeeeMode: 1
; LDSByteSize: 0 bytes/workgroup (compile time only)
; SGPRBlocks: 5
; VGPRBlocks: 2
; NumSGPRsForWavesPerEU: 46
; NumVGPRsForWavesPerEU: 24
; Occupancy: 16
; WaveLimiterHint : 1
; COMPUTE_PGM_RSRC2:SCRATCH_EN: 0
; COMPUTE_PGM_RSRC2:USER_SGPR: 15
; COMPUTE_PGM_RSRC2:TRAP_HANDLER: 0
; COMPUTE_PGM_RSRC2:TGID_X_EN: 1
; COMPUTE_PGM_RSRC2:TGID_Y_EN: 0
; COMPUTE_PGM_RSRC2:TGID_Z_EN: 0
; COMPUTE_PGM_RSRC2:TIDIG_COMP_CNT: 0
	.section	.text._ZN9rocsparseL26csrgemm_fill_block_per_rowILj1024ELj64ELj8192ELj137ELj32EiidEEvT5_PKS1_S3_NS_24const_host_device_scalarIT6_EEPKT4_S3_PKS5_S9_S3_SB_S6_S9_S3_SB_S9_PS1_PS5_21rocsparse_index_base_SE_SE_SE_bbb,"axG",@progbits,_ZN9rocsparseL26csrgemm_fill_block_per_rowILj1024ELj64ELj8192ELj137ELj32EiidEEvT5_PKS1_S3_NS_24const_host_device_scalarIT6_EEPKT4_S3_PKS5_S9_S3_SB_S6_S9_S3_SB_S9_PS1_PS5_21rocsparse_index_base_SE_SE_SE_bbb,comdat
	.globl	_ZN9rocsparseL26csrgemm_fill_block_per_rowILj1024ELj64ELj8192ELj137ELj32EiidEEvT5_PKS1_S3_NS_24const_host_device_scalarIT6_EEPKT4_S3_PKS5_S9_S3_SB_S6_S9_S3_SB_S9_PS1_PS5_21rocsparse_index_base_SE_SE_SE_bbb ; -- Begin function _ZN9rocsparseL26csrgemm_fill_block_per_rowILj1024ELj64ELj8192ELj137ELj32EiidEEvT5_PKS1_S3_NS_24const_host_device_scalarIT6_EEPKT4_S3_PKS5_S9_S3_SB_S6_S9_S3_SB_S9_PS1_PS5_21rocsparse_index_base_SE_SE_SE_bbb
	.p2align	8
	.type	_ZN9rocsparseL26csrgemm_fill_block_per_rowILj1024ELj64ELj8192ELj137ELj32EiidEEvT5_PKS1_S3_NS_24const_host_device_scalarIT6_EEPKT4_S3_PKS5_S9_S3_SB_S6_S9_S3_SB_S9_PS1_PS5_21rocsparse_index_base_SE_SE_SE_bbb,@function
_ZN9rocsparseL26csrgemm_fill_block_per_rowILj1024ELj64ELj8192ELj137ELj32EiidEEvT5_PKS1_S3_NS_24const_host_device_scalarIT6_EEPKT4_S3_PKS5_S9_S3_SB_S6_S9_S3_SB_S9_PS1_PS5_21rocsparse_index_base_SE_SE_SE_bbb: ; @_ZN9rocsparseL26csrgemm_fill_block_per_rowILj1024ELj64ELj8192ELj137ELj32EiidEEvT5_PKS1_S3_NS_24const_host_device_scalarIT6_EEPKT4_S3_PKS5_S9_S3_SB_S6_S9_S3_SB_S9_PS1_PS5_21rocsparse_index_base_SE_SE_SE_bbb
; %bb.0:
	s_clause 0x4
	s_load_b32 s11, s[0:1], 0x98
	s_load_b64 s[8:9], s[0:1], 0x18
	s_load_b128 s[4:7], s[0:1], 0x8
	s_load_b128 s[36:39], s[0:1], 0x88
	s_load_b64 s[2:3], s[0:1], 0x50
	s_waitcnt lgkmcnt(0)
	s_and_b32 s10, 1, s11
	s_bitcmp1_b32 s11, 16
	s_cselect_b32 s13, -1, 0
	s_cmp_eq_u32 s10, 1
	s_cselect_b32 s10, -1, 0
	s_delay_alu instid0(SALU_CYCLE_1)
	s_and_b32 s12, s10, exec_lo
	s_cselect_b32 s17, s9, 0
	s_cselect_b32 s16, s8, 0
	s_xor_b32 s12, s10, -1
	v_dual_mov_b32 v3, s16 :: v_dual_mov_b32 v4, s17
	s_or_b32 s12, s12, s13
	s_delay_alu instid0(SALU_CYCLE_1)
	s_and_b32 vcc_lo, exec_lo, s12
	s_cbranch_vccnz .LBB37_2
; %bb.1:
	v_dual_mov_b32 v1, s8 :: v_dual_mov_b32 v2, s9
	flat_load_b64 v[3:4], v[1:2]
.LBB37_2:
	s_bitcmp1_b32 s11, 8
	s_cselect_b32 s12, -1, 0
	s_delay_alu instid0(SALU_CYCLE_1)
	s_and_b32 s8, s12, exec_lo
	s_cselect_b32 s9, s3, 0
	s_cselect_b32 s8, s2, 0
	s_xor_b32 s11, s12, -1
	v_dual_mov_b32 v1, s8 :: v_dual_mov_b32 v2, s9
	s_or_b32 s11, s11, s13
	s_delay_alu instid0(SALU_CYCLE_1)
	s_and_b32 vcc_lo, exec_lo, s11
	s_cbranch_vccnz .LBB37_4
; %bb.3:
	v_dual_mov_b32 v1, s2 :: v_dual_mov_b32 v2, s3
	flat_load_b64 v[1:2], v[1:2]
.LBB37_4:
	s_load_b32 s33, s[0:1], 0x0
	s_mov_b32 s2, 0
	s_delay_alu instid0(SALU_CYCLE_1) | instskip(NEXT) | instid1(SALU_CYCLE_1)
	s_mov_b32 s3, s2
	v_dual_mov_b32 v6, s3 :: v_dual_lshlrev_b32 v7, 2, v0
	v_dual_mov_b32 v5, s2 :: v_dual_lshlrev_b32 v16, 3, v0
	s_delay_alu instid0(VALU_DEP_2) | instskip(NEXT) | instid1(VALU_DEP_2)
	v_add_nc_u32_e32 v15, 0, v7
	v_add3_u32 v8, 0, 0x8000, v16
	ds_store_2addr_stride64_b64 v8, v[5:6], v[5:6] offset0:16 offset1:32
	ds_store_2addr_stride64_b64 v8, v[5:6], v[5:6] offset0:48 offset1:64
	;; [unrolled: 1-line block ×3, first 2 shown]
	s_waitcnt lgkmcnt(0)
	v_dual_mov_b32 v10, s33 :: v_dual_add_nc_u32 v7, v15, v7
	v_dual_mov_b32 v12, s33 :: v_dual_mov_b32 v9, s33
	v_dual_mov_b32 v14, s33 :: v_dual_mov_b32 v11, s33
	;; [unrolled: 1-line block ×3, first 2 shown]
	v_mov_b32_e32 v17, s33
	ds_store_b64 v7, v[5:6] offset:32768
	ds_store_b64 v8, v[5:6] offset:57344
	ds_store_2addr_stride64_b32 v15, v9, v10 offset1:16
	ds_store_2addr_stride64_b32 v15, v11, v12 offset0:32 offset1:48
	ds_store_2addr_stride64_b32 v15, v13, v14 offset0:64 offset1:80
	;; [unrolled: 1-line block ×3, first 2 shown]
	s_waitcnt vmcnt(0) lgkmcnt(0)
	s_barrier
	buffer_gl0_inv
	s_load_b32 s3, s[4:5], 0x0
	s_mov_b32 s5, s2
	s_waitcnt lgkmcnt(0)
	s_add_i32 s4, s3, s15
	s_delay_alu instid0(SALU_CYCLE_1) | instskip(NEXT) | instid1(SALU_CYCLE_1)
	s_lshl_b64 s[2:3], s[4:5], 2
	s_add_u32 s2, s6, s2
	s_addc_u32 s3, s7, s3
	s_and_not1_b32 vcc_lo, exec_lo, s10
	s_load_b32 s34, s[2:3], 0x0
	s_cbranch_vccnz .LBB37_28
; %bb.5:
	s_load_b64 s[2:3], s[0:1], 0x20
	s_waitcnt lgkmcnt(0)
	s_ashr_i32 s35, s34, 31
	v_lshrrev_b32_e32 v5, 6, v0
	s_lshl_b64 s[4:5], s[34:35], 2
	s_mov_b32 s14, exec_lo
	s_delay_alu instid0(VALU_DEP_1)
	v_subrev_nc_u32_e32 v5, s36, v5
	s_add_u32 s2, s2, s4
	s_addc_u32 s3, s3, s5
	s_load_b64 s[2:3], s[2:3], 0x0
	s_waitcnt lgkmcnt(0)
	v_add_nc_u32_e32 v5, s2, v5
	s_sub_i32 s13, s3, s36
	s_delay_alu instid0(VALU_DEP_1) | instid1(SALU_CYCLE_1)
	v_cmpx_gt_i32_e64 s13, v5
	s_cbranch_execz .LBB37_27
; %bb.6:
	s_clause 0x1
	s_load_b64 s[2:3], s[0:1], 0x48
	s_load_b256 s[4:11], s[0:1], 0x28
	v_and_b32_e32 v6, 63, v0
	s_mov_b32 s15, 0
	s_delay_alu instid0(VALU_DEP_1)
	v_subrev_nc_u32_e32 v17, s37, v6
	s_branch .LBB37_8
.LBB37_7:                               ;   in Loop: Header=BB37_8 Depth=1
	s_or_b32 exec_lo, exec_lo, s16
	v_add_nc_u32_e32 v5, 16, v5
	s_delay_alu instid0(VALU_DEP_1) | instskip(SKIP_1) | instid1(SALU_CYCLE_1)
	v_cmp_le_i32_e32 vcc_lo, s13, v5
	s_or_b32 s15, vcc_lo, s15
	s_and_not1_b32 exec_lo, exec_lo, s15
	s_cbranch_execz .LBB37_27
.LBB37_8:                               ; =>This Loop Header: Depth=1
                                        ;     Child Loop BB37_11 Depth 2
                                        ;       Child Loop BB37_13 Depth 3
                                        ;         Child Loop BB37_19 Depth 4
                                        ;         Child Loop BB37_25 Depth 4
	v_ashrrev_i32_e32 v6, 31, v5
	s_mov_b32 s16, exec_lo
	s_delay_alu instid0(VALU_DEP_1) | instskip(SKIP_1) | instid1(VALU_DEP_1)
	v_lshlrev_b64 v[7:8], 2, v[5:6]
	s_waitcnt lgkmcnt(0)
	v_add_co_u32 v7, vcc_lo, s4, v7
	s_delay_alu instid0(VALU_DEP_2) | instskip(SKIP_3) | instid1(VALU_DEP_1)
	v_add_co_ci_u32_e32 v8, vcc_lo, s5, v8, vcc_lo
	global_load_b32 v7, v[7:8], off
	s_waitcnt vmcnt(0)
	v_subrev_nc_u32_e32 v7, s36, v7
	v_ashrrev_i32_e32 v8, 31, v7
	s_delay_alu instid0(VALU_DEP_1) | instskip(NEXT) | instid1(VALU_DEP_1)
	v_lshlrev_b64 v[7:8], 2, v[7:8]
	v_add_co_u32 v7, vcc_lo, s8, v7
	s_delay_alu instid0(VALU_DEP_2) | instskip(SKIP_4) | instid1(VALU_DEP_1)
	v_add_co_ci_u32_e32 v8, vcc_lo, s9, v8, vcc_lo
	global_load_b64 v[7:8], v[7:8], off
	s_waitcnt vmcnt(0)
	v_subrev_nc_u32_e32 v18, s37, v8
	v_add_nc_u32_e32 v7, v7, v17
	v_cmpx_lt_i32_e64 v7, v18
	s_cbranch_execz .LBB37_7
; %bb.9:                                ;   in Loop: Header=BB37_8 Depth=1
	v_lshlrev_b64 v[8:9], 3, v[5:6]
	s_mov_b32 s17, 0
	s_delay_alu instid0(VALU_DEP_1) | instskip(NEXT) | instid1(VALU_DEP_2)
	v_add_co_u32 v8, vcc_lo, s6, v8
	v_add_co_ci_u32_e32 v9, vcc_lo, s7, v9, vcc_lo
	global_load_b64 v[8:9], v[8:9], off
	s_waitcnt vmcnt(0)
	v_mul_f64 v[9:10], v[3:4], v[8:9]
	s_branch .LBB37_11
.LBB37_10:                              ;   in Loop: Header=BB37_11 Depth=2
	s_or_b32 exec_lo, exec_lo, s18
	v_add_nc_u32_e32 v7, 64, v7
	s_delay_alu instid0(VALU_DEP_1) | instskip(SKIP_1) | instid1(SALU_CYCLE_1)
	v_cmp_ge_i32_e32 vcc_lo, v7, v18
	s_or_b32 s17, vcc_lo, s17
	s_and_not1_b32 exec_lo, exec_lo, s17
	s_cbranch_execz .LBB37_7
.LBB37_11:                              ;   Parent Loop BB37_8 Depth=1
                                        ; =>  This Loop Header: Depth=2
                                        ;       Child Loop BB37_13 Depth 3
                                        ;         Child Loop BB37_19 Depth 4
                                        ;         Child Loop BB37_25 Depth 4
	v_ashrrev_i32_e32 v8, 31, v7
	s_mov_b32 s18, 0
	s_delay_alu instid0(VALU_DEP_1) | instskip(SKIP_1) | instid1(VALU_DEP_2)
	v_lshlrev_b64 v[11:12], 3, v[7:8]
	v_lshlrev_b64 v[13:14], 2, v[7:8]
	v_add_co_u32 v11, vcc_lo, s2, v11
	s_delay_alu instid0(VALU_DEP_3) | instskip(NEXT) | instid1(VALU_DEP_3)
	v_add_co_ci_u32_e32 v12, vcc_lo, s3, v12, vcc_lo
	v_add_co_u32 v13, vcc_lo, s10, v13
	s_delay_alu instid0(VALU_DEP_4)
	v_add_co_ci_u32_e32 v14, vcc_lo, s11, v14, vcc_lo
	global_load_b64 v[11:12], v[11:12], off
	global_load_b32 v6, v[13:14], off
	s_waitcnt vmcnt(1)
	v_mul_f64 v[11:12], v[9:10], v[11:12]
	s_waitcnt vmcnt(0)
	v_subrev_nc_u32_e32 v6, s37, v6
	s_delay_alu instid0(VALU_DEP_1) | instskip(NEXT) | instid1(VALU_DEP_1)
	v_mul_lo_u32 v8, 0x89, v6
	v_and_b32_e32 v8, 0x1fff, v8
	s_branch .LBB37_13
.LBB37_12:                              ;   in Loop: Header=BB37_13 Depth=3
	s_or_b32 exec_lo, exec_lo, s19
	s_xor_b32 s19, s20, -1
	s_delay_alu instid0(SALU_CYCLE_1) | instskip(NEXT) | instid1(SALU_CYCLE_1)
	s_and_b32 s19, exec_lo, s19
	s_or_b32 s18, s19, s18
	s_delay_alu instid0(SALU_CYCLE_1)
	s_and_not1_b32 exec_lo, exec_lo, s18
	s_cbranch_execz .LBB37_10
.LBB37_13:                              ;   Parent Loop BB37_8 Depth=1
                                        ;     Parent Loop BB37_11 Depth=2
                                        ; =>    This Loop Header: Depth=3
                                        ;         Child Loop BB37_19 Depth 4
                                        ;         Child Loop BB37_25 Depth 4
	s_delay_alu instid0(VALU_DEP_1)
	v_lshl_add_u32 v13, v8, 2, 0
	s_mov_b32 s19, exec_lo
                                        ; implicit-def: $sgpr20
	ds_load_b32 v14, v13
	s_waitcnt lgkmcnt(0)
	v_cmpx_ne_u32_e64 v14, v6
	s_xor_b32 s19, exec_lo, s19
	s_cbranch_execz .LBB37_23
; %bb.14:                               ;   in Loop: Header=BB37_13 Depth=3
	s_mov_b32 s21, exec_lo
                                        ; implicit-def: $sgpr20
	v_cmpx_ne_u32_e64 s33, v14
	s_xor_b32 s21, exec_lo, s21
; %bb.15:                               ;   in Loop: Header=BB37_13 Depth=3
	v_add_nc_u32_e32 v8, 1, v8
	s_mov_b32 s20, -1
                                        ; implicit-def: $vgpr13
	s_delay_alu instid0(VALU_DEP_1)
	v_and_b32_e32 v8, 0x1fff, v8
; %bb.16:                               ;   in Loop: Header=BB37_13 Depth=3
	s_and_not1_saveexec_b32 s21, s21
	s_cbranch_execz .LBB37_22
; %bb.17:                               ;   in Loop: Header=BB37_13 Depth=3
	v_mov_b32_e32 v14, s33
	s_mov_b32 s23, -1
	s_mov_b32 s22, exec_lo
	ds_cmpstore_rtn_b32 v14, v13, v6, v14
	s_waitcnt lgkmcnt(0)
	v_cmpx_eq_u32_e64 s33, v14
	s_cbranch_execz .LBB37_21
; %bb.18:                               ;   in Loop: Header=BB37_13 Depth=3
	v_lshlrev_b32_e32 v14, 2, v8
	s_mov_b32 s23, 0
	s_delay_alu instid0(VALU_DEP_1)
	v_add_nc_u32_e32 v19, v13, v14
	ds_load_b64 v[13:14], v19 offset:32768
.LBB37_19:                              ;   Parent Loop BB37_8 Depth=1
                                        ;     Parent Loop BB37_11 Depth=2
                                        ;       Parent Loop BB37_13 Depth=3
                                        ; =>      This Inner Loop Header: Depth=4
	s_waitcnt lgkmcnt(0)
	v_add_f64 v[20:21], v[13:14], v[11:12]
	ds_cmpstore_rtn_b64 v[20:21], v19, v[20:21], v[13:14] offset:32768
	s_waitcnt lgkmcnt(0)
	v_cmp_eq_u64_e32 vcc_lo, v[20:21], v[13:14]
	v_dual_mov_b32 v13, v20 :: v_dual_mov_b32 v14, v21
	s_or_b32 s23, vcc_lo, s23
	s_delay_alu instid0(SALU_CYCLE_1)
	s_and_not1_b32 exec_lo, exec_lo, s23
	s_cbranch_execnz .LBB37_19
; %bb.20:                               ;   in Loop: Header=BB37_13 Depth=3
	s_or_b32 exec_lo, exec_lo, s23
	s_delay_alu instid0(SALU_CYCLE_1)
	s_xor_b32 s23, exec_lo, -1
.LBB37_21:                              ;   in Loop: Header=BB37_13 Depth=3
	s_or_b32 exec_lo, exec_lo, s22
	s_delay_alu instid0(SALU_CYCLE_1) | instskip(SKIP_1) | instid1(SALU_CYCLE_1)
	s_and_not1_b32 s20, s20, exec_lo
	s_and_b32 s22, s23, exec_lo
	s_or_b32 s20, s20, s22
.LBB37_22:                              ;   in Loop: Header=BB37_13 Depth=3
	s_or_b32 exec_lo, exec_lo, s21
	s_delay_alu instid0(SALU_CYCLE_1)
	s_and_b32 s20, s20, exec_lo
                                        ; implicit-def: $vgpr13
.LBB37_23:                              ;   in Loop: Header=BB37_13 Depth=3
	s_and_not1_saveexec_b32 s19, s19
	s_cbranch_execz .LBB37_12
; %bb.24:                               ;   in Loop: Header=BB37_13 Depth=3
	v_lshlrev_b32_e32 v14, 2, v8
	s_mov_b32 s21, 0
	s_delay_alu instid0(VALU_DEP_1)
	v_add_nc_u32_e32 v19, v13, v14
	ds_load_b64 v[13:14], v19 offset:32768
.LBB37_25:                              ;   Parent Loop BB37_8 Depth=1
                                        ;     Parent Loop BB37_11 Depth=2
                                        ;       Parent Loop BB37_13 Depth=3
                                        ; =>      This Inner Loop Header: Depth=4
	s_waitcnt lgkmcnt(0)
	v_add_f64 v[20:21], v[13:14], v[11:12]
	ds_cmpstore_rtn_b64 v[20:21], v19, v[20:21], v[13:14] offset:32768
	s_waitcnt lgkmcnt(0)
	v_cmp_eq_u64_e32 vcc_lo, v[20:21], v[13:14]
	v_dual_mov_b32 v13, v20 :: v_dual_mov_b32 v14, v21
	s_or_b32 s21, vcc_lo, s21
	s_delay_alu instid0(SALU_CYCLE_1)
	s_and_not1_b32 exec_lo, exec_lo, s21
	s_cbranch_execnz .LBB37_25
; %bb.26:                               ;   in Loop: Header=BB37_13 Depth=3
	s_or_b32 exec_lo, exec_lo, s21
	s_delay_alu instid0(SALU_CYCLE_1)
	s_and_not1_b32 s20, s20, exec_lo
	s_branch .LBB37_12
.LBB37_27:
	s_or_b32 exec_lo, exec_lo, s14
.LBB37_28:
	s_clause 0x1
	s_load_b64 s[36:37], s[0:1], 0x80
	s_load_b128 s[40:43], s[0:1], 0x70
	s_and_not1_b32 vcc_lo, exec_lo, s12
	s_cbranch_vccnz .LBB37_49
; %bb.29:
	s_load_b64 s[2:3], s[0:1], 0x58
	s_waitcnt lgkmcnt(0)
	s_ashr_i32 s35, s34, 31
	v_subrev_nc_u32_e32 v3, s39, v0
	s_lshl_b64 s[4:5], s[34:35], 2
	s_delay_alu instid0(SALU_CYCLE_1)
	s_add_u32 s2, s2, s4
	s_addc_u32 s3, s3, s5
	s_mov_b32 s5, exec_lo
	s_load_b64 s[2:3], s[2:3], 0x0
	s_waitcnt lgkmcnt(0)
	v_add_nc_u32_e32 v3, s2, v3
	s_sub_i32 s4, s3, s39
	s_delay_alu instid0(VALU_DEP_1) | instid1(SALU_CYCLE_1)
	v_cmpx_gt_i32_e64 s4, v3
	s_cbranch_execz .LBB37_48
; %bb.30:
	s_load_b128 s[0:3], s[0:1], 0x60
	s_mov_b32 s6, 0
	s_branch .LBB37_32
.LBB37_31:                              ;   in Loop: Header=BB37_32 Depth=1
	s_or_b32 exec_lo, exec_lo, s7
	v_add_nc_u32_e32 v3, 0x400, v3
	s_delay_alu instid0(VALU_DEP_1) | instskip(SKIP_1) | instid1(SALU_CYCLE_1)
	v_cmp_le_i32_e32 vcc_lo, s4, v3
	s_or_b32 s6, vcc_lo, s6
	s_and_not1_b32 exec_lo, exec_lo, s6
	s_cbranch_execz .LBB37_48
.LBB37_32:                              ; =>This Loop Header: Depth=1
                                        ;     Child Loop BB37_34 Depth 2
                                        ;       Child Loop BB37_40 Depth 3
                                        ;       Child Loop BB37_46 Depth 3
	v_ashrrev_i32_e32 v4, 31, v3
	s_mov_b32 s7, 0
	s_delay_alu instid0(VALU_DEP_1) | instskip(SKIP_2) | instid1(VALU_DEP_2)
	v_lshlrev_b64 v[5:6], 3, v[3:4]
	v_lshlrev_b64 v[7:8], 2, v[3:4]
	s_waitcnt lgkmcnt(0)
	v_add_co_u32 v5, vcc_lo, s2, v5
	s_delay_alu instid0(VALU_DEP_3) | instskip(NEXT) | instid1(VALU_DEP_3)
	v_add_co_ci_u32_e32 v6, vcc_lo, s3, v6, vcc_lo
	v_add_co_u32 v7, vcc_lo, s0, v7
	s_delay_alu instid0(VALU_DEP_4)
	v_add_co_ci_u32_e32 v8, vcc_lo, s1, v8, vcc_lo
	global_load_b64 v[5:6], v[5:6], off
	global_load_b32 v7, v[7:8], off
	s_waitcnt vmcnt(1)
	v_mul_f64 v[4:5], v[1:2], v[5:6]
	s_waitcnt vmcnt(0)
	v_subrev_nc_u32_e32 v8, s39, v7
	s_delay_alu instid0(VALU_DEP_1) | instskip(NEXT) | instid1(VALU_DEP_1)
	v_mul_lo_u32 v6, 0x89, v8
	v_and_b32_e32 v9, 0x1fff, v6
	s_branch .LBB37_34
.LBB37_33:                              ;   in Loop: Header=BB37_34 Depth=2
	s_or_b32 exec_lo, exec_lo, s8
	s_xor_b32 s8, s9, -1
	s_delay_alu instid0(SALU_CYCLE_1) | instskip(NEXT) | instid1(SALU_CYCLE_1)
	s_and_b32 s8, exec_lo, s8
	s_or_b32 s7, s8, s7
	s_delay_alu instid0(SALU_CYCLE_1)
	s_and_not1_b32 exec_lo, exec_lo, s7
	s_cbranch_execz .LBB37_31
.LBB37_34:                              ;   Parent Loop BB37_32 Depth=1
                                        ; =>  This Loop Header: Depth=2
                                        ;       Child Loop BB37_40 Depth 3
                                        ;       Child Loop BB37_46 Depth 3
	s_delay_alu instid0(VALU_DEP_1)
	v_lshl_add_u32 v6, v9, 2, 0
	s_mov_b32 s8, exec_lo
                                        ; implicit-def: $sgpr9
	ds_load_b32 v7, v6
	s_waitcnt lgkmcnt(0)
	v_cmpx_ne_u32_e64 v7, v8
	s_xor_b32 s8, exec_lo, s8
	s_cbranch_execz .LBB37_44
; %bb.35:                               ;   in Loop: Header=BB37_34 Depth=2
	s_mov_b32 s10, exec_lo
                                        ; implicit-def: $sgpr9
	v_cmpx_ne_u32_e64 s33, v7
	s_xor_b32 s10, exec_lo, s10
; %bb.36:                               ;   in Loop: Header=BB37_34 Depth=2
	v_add_nc_u32_e32 v6, 1, v9
	s_mov_b32 s9, -1
	s_delay_alu instid0(VALU_DEP_1)
	v_and_b32_e32 v9, 0x1fff, v6
                                        ; implicit-def: $vgpr6
; %bb.37:                               ;   in Loop: Header=BB37_34 Depth=2
	s_and_not1_saveexec_b32 s10, s10
	s_cbranch_execz .LBB37_43
; %bb.38:                               ;   in Loop: Header=BB37_34 Depth=2
	v_mov_b32_e32 v7, s33
	s_mov_b32 s12, -1
	s_mov_b32 s11, exec_lo
	ds_cmpstore_rtn_b32 v7, v6, v8, v7
	s_waitcnt lgkmcnt(0)
	v_cmpx_eq_u32_e64 s33, v7
	s_cbranch_execz .LBB37_42
; %bb.39:                               ;   in Loop: Header=BB37_34 Depth=2
	v_lshlrev_b32_e32 v7, 2, v9
	s_mov_b32 s12, 0
	s_delay_alu instid0(VALU_DEP_1)
	v_add_nc_u32_e32 v10, v6, v7
	ds_load_b64 v[6:7], v10 offset:32768
.LBB37_40:                              ;   Parent Loop BB37_32 Depth=1
                                        ;     Parent Loop BB37_34 Depth=2
                                        ; =>    This Inner Loop Header: Depth=3
	s_waitcnt lgkmcnt(0)
	v_add_f64 v[11:12], v[6:7], v[4:5]
	ds_cmpstore_rtn_b64 v[11:12], v10, v[11:12], v[6:7] offset:32768
	s_waitcnt lgkmcnt(0)
	v_cmp_eq_u64_e32 vcc_lo, v[11:12], v[6:7]
	v_dual_mov_b32 v6, v11 :: v_dual_mov_b32 v7, v12
	s_or_b32 s12, vcc_lo, s12
	s_delay_alu instid0(SALU_CYCLE_1)
	s_and_not1_b32 exec_lo, exec_lo, s12
	s_cbranch_execnz .LBB37_40
; %bb.41:                               ;   in Loop: Header=BB37_34 Depth=2
	s_or_b32 exec_lo, exec_lo, s12
	s_delay_alu instid0(SALU_CYCLE_1)
	s_xor_b32 s12, exec_lo, -1
.LBB37_42:                              ;   in Loop: Header=BB37_34 Depth=2
	s_or_b32 exec_lo, exec_lo, s11
	s_delay_alu instid0(SALU_CYCLE_1) | instskip(SKIP_1) | instid1(SALU_CYCLE_1)
	s_and_not1_b32 s9, s9, exec_lo
	s_and_b32 s11, s12, exec_lo
	s_or_b32 s9, s9, s11
.LBB37_43:                              ;   in Loop: Header=BB37_34 Depth=2
	s_or_b32 exec_lo, exec_lo, s10
	s_delay_alu instid0(SALU_CYCLE_1)
	s_and_b32 s9, s9, exec_lo
                                        ; implicit-def: $vgpr6
.LBB37_44:                              ;   in Loop: Header=BB37_34 Depth=2
	s_and_not1_saveexec_b32 s8, s8
	s_cbranch_execz .LBB37_33
; %bb.45:                               ;   in Loop: Header=BB37_34 Depth=2
	v_lshlrev_b32_e32 v7, 2, v9
	s_mov_b32 s10, 0
	s_delay_alu instid0(VALU_DEP_1)
	v_add_nc_u32_e32 v10, v6, v7
	ds_load_b64 v[6:7], v10 offset:32768
.LBB37_46:                              ;   Parent Loop BB37_32 Depth=1
                                        ;     Parent Loop BB37_34 Depth=2
                                        ; =>    This Inner Loop Header: Depth=3
	s_waitcnt lgkmcnt(0)
	v_add_f64 v[11:12], v[6:7], v[4:5]
	ds_cmpstore_rtn_b64 v[11:12], v10, v[11:12], v[6:7] offset:32768
	s_waitcnt lgkmcnt(0)
	v_cmp_eq_u64_e32 vcc_lo, v[11:12], v[6:7]
	v_dual_mov_b32 v6, v11 :: v_dual_mov_b32 v7, v12
	s_or_b32 s10, vcc_lo, s10
	s_delay_alu instid0(SALU_CYCLE_1)
	s_and_not1_b32 exec_lo, exec_lo, s10
	s_cbranch_execnz .LBB37_46
; %bb.47:                               ;   in Loop: Header=BB37_34 Depth=2
	s_or_b32 exec_lo, exec_lo, s10
	s_delay_alu instid0(SALU_CYCLE_1)
	s_and_not1_b32 s9, s9, exec_lo
	s_branch .LBB37_33
.LBB37_48:
	s_or_b32 exec_lo, exec_lo, s5
.LBB37_49:
	v_mbcnt_lo_u32_b32 v1, -1, 0
	v_lshrrev_b32_e32 v2, 3, v0
	s_add_i32 s70, 0, 0x1807c
	v_cmp_eq_u32_e32 vcc_lo, 0x3ff, v0
	v_cmp_lt_u32_e64 s0, 31, v0
	v_xor_b32_e32 v1, 63, v1
	v_dual_mov_b32 v8, s70 :: v_dual_and_b32 v3, 0x7c, v2
	v_cmp_lt_u32_e64 s1, 63, v0
	v_cmp_lt_u32_e64 s2, 0x5f, v0
	s_delay_alu instid0(VALU_DEP_4) | instskip(NEXT) | instid1(VALU_DEP_4)
	v_lshrrev_b64 v[1:2], v1, -1
	v_add3_u32 v4, 0, 0x18000, v3
	v_cmp_lt_u32_e64 s3, 0x7f, v0
	v_cmp_lt_u32_e64 s4, 0x9f, v0
	;; [unrolled: 1-line block ×28, first 2 shown]
	v_add3_u32 v5, v16, 0, 0x8000
	v_or_b32_e32 v6, 0xfffffc00, v0
	v_mov_b32_e32 v7, 0
	s_mov_b32 s35, 0
	s_add_i32 s39, 0, 0x18000
	s_add_i32 s44, 0, 0x18004
	;; [unrolled: 1-line block ×31, first 2 shown]
	s_waitcnt lgkmcnt(0)
	s_barrier
	buffer_gl0_inv
	s_branch .LBB37_51
.LBB37_50:                              ;   in Loop: Header=BB37_51 Depth=1
	s_or_b32 exec_lo, exec_lo, s31
	s_waitcnt lgkmcnt(0)
	s_barrier
	buffer_gl0_inv
	ds_load_b32 v2, v8
	v_add_nc_u32_e32 v6, 0x400, v6
	v_add_nc_u32_e32 v5, 0x2000, v5
	;; [unrolled: 1-line block ×3, first 2 shown]
	s_delay_alu instid0(VALU_DEP_3) | instskip(NEXT) | instid1(VALU_DEP_1)
	v_cmp_lt_u32_e64 s31, 0x1bff, v6
	s_or_b32 s35, s31, s35
	s_waitcnt lgkmcnt(0)
	v_add_nc_u32_e32 v7, v2, v7
	s_and_not1_b32 exec_lo, exec_lo, s35
	s_cbranch_execz .LBB37_117
.LBB37_51:                              ; =>This Inner Loop Header: Depth=1
	ds_load_b32 v9, v15
	ds_load_b64 v[2:3], v5
	s_waitcnt lgkmcnt(0)
	s_barrier
	buffer_gl0_inv
	v_cmp_gt_i32_e64 s31, s33, v9
	s_delay_alu instid0(VALU_DEP_1) | instskip(NEXT) | instid1(SALU_CYCLE_1)
	s_bcnt1_i32_b32 s75, s31
	v_dual_mov_b32 v11, s75 :: v_dual_and_b32 v10, s31, v1
	s_delay_alu instid0(VALU_DEP_1)
	v_bcnt_u32_b32 v10, v10, 0
	ds_store_b32 v4, v11
	s_waitcnt lgkmcnt(0)
	s_barrier
	buffer_gl0_inv
	s_and_saveexec_b32 s75, s0
	s_cbranch_execnz .LBB37_84
; %bb.52:                               ;   in Loop: Header=BB37_51 Depth=1
	s_or_b32 exec_lo, exec_lo, s75
	s_and_saveexec_b32 s75, s1
	s_cbranch_execnz .LBB37_85
.LBB37_53:                              ;   in Loop: Header=BB37_51 Depth=1
	s_or_b32 exec_lo, exec_lo, s75
	s_and_saveexec_b32 s75, s2
	s_cbranch_execnz .LBB37_86
.LBB37_54:                              ;   in Loop: Header=BB37_51 Depth=1
	s_or_b32 exec_lo, exec_lo, s75
	s_and_saveexec_b32 s75, s3
	s_cbranch_execnz .LBB37_87
.LBB37_55:                              ;   in Loop: Header=BB37_51 Depth=1
	s_or_b32 exec_lo, exec_lo, s75
	s_and_saveexec_b32 s75, s4
	s_cbranch_execnz .LBB37_88
.LBB37_56:                              ;   in Loop: Header=BB37_51 Depth=1
	s_or_b32 exec_lo, exec_lo, s75
	s_and_saveexec_b32 s75, s5
	s_cbranch_execnz .LBB37_89
.LBB37_57:                              ;   in Loop: Header=BB37_51 Depth=1
	s_or_b32 exec_lo, exec_lo, s75
	s_and_saveexec_b32 s75, s6
	s_cbranch_execnz .LBB37_90
.LBB37_58:                              ;   in Loop: Header=BB37_51 Depth=1
	s_or_b32 exec_lo, exec_lo, s75
	s_and_saveexec_b32 s75, s7
	s_cbranch_execnz .LBB37_91
.LBB37_59:                              ;   in Loop: Header=BB37_51 Depth=1
	s_or_b32 exec_lo, exec_lo, s75
	s_and_saveexec_b32 s75, s8
	s_cbranch_execnz .LBB37_92
.LBB37_60:                              ;   in Loop: Header=BB37_51 Depth=1
	s_or_b32 exec_lo, exec_lo, s75
	s_and_saveexec_b32 s75, s9
	s_cbranch_execnz .LBB37_93
.LBB37_61:                              ;   in Loop: Header=BB37_51 Depth=1
	s_or_b32 exec_lo, exec_lo, s75
	s_and_saveexec_b32 s75, s10
	s_cbranch_execnz .LBB37_94
.LBB37_62:                              ;   in Loop: Header=BB37_51 Depth=1
	s_or_b32 exec_lo, exec_lo, s75
	s_and_saveexec_b32 s75, s11
	s_cbranch_execnz .LBB37_95
.LBB37_63:                              ;   in Loop: Header=BB37_51 Depth=1
	s_or_b32 exec_lo, exec_lo, s75
	s_and_saveexec_b32 s75, s12
	s_cbranch_execnz .LBB37_96
.LBB37_64:                              ;   in Loop: Header=BB37_51 Depth=1
	s_or_b32 exec_lo, exec_lo, s75
	s_and_saveexec_b32 s75, s13
	s_cbranch_execnz .LBB37_97
.LBB37_65:                              ;   in Loop: Header=BB37_51 Depth=1
	s_or_b32 exec_lo, exec_lo, s75
	s_and_saveexec_b32 s75, s14
	s_cbranch_execnz .LBB37_98
.LBB37_66:                              ;   in Loop: Header=BB37_51 Depth=1
	s_or_b32 exec_lo, exec_lo, s75
	s_and_saveexec_b32 s75, s15
	s_cbranch_execnz .LBB37_99
.LBB37_67:                              ;   in Loop: Header=BB37_51 Depth=1
	s_or_b32 exec_lo, exec_lo, s75
	s_and_saveexec_b32 s75, s16
	s_cbranch_execnz .LBB37_100
.LBB37_68:                              ;   in Loop: Header=BB37_51 Depth=1
	s_or_b32 exec_lo, exec_lo, s75
	s_and_saveexec_b32 s75, s17
	s_cbranch_execnz .LBB37_101
.LBB37_69:                              ;   in Loop: Header=BB37_51 Depth=1
	s_or_b32 exec_lo, exec_lo, s75
	s_and_saveexec_b32 s75, s18
	s_cbranch_execnz .LBB37_102
.LBB37_70:                              ;   in Loop: Header=BB37_51 Depth=1
	s_or_b32 exec_lo, exec_lo, s75
	s_and_saveexec_b32 s75, s19
	s_cbranch_execnz .LBB37_103
.LBB37_71:                              ;   in Loop: Header=BB37_51 Depth=1
	s_or_b32 exec_lo, exec_lo, s75
	s_and_saveexec_b32 s75, s20
	s_cbranch_execnz .LBB37_104
.LBB37_72:                              ;   in Loop: Header=BB37_51 Depth=1
	s_or_b32 exec_lo, exec_lo, s75
	s_and_saveexec_b32 s75, s21
	s_cbranch_execnz .LBB37_105
.LBB37_73:                              ;   in Loop: Header=BB37_51 Depth=1
	s_or_b32 exec_lo, exec_lo, s75
	s_and_saveexec_b32 s75, s22
	s_cbranch_execnz .LBB37_106
.LBB37_74:                              ;   in Loop: Header=BB37_51 Depth=1
	s_or_b32 exec_lo, exec_lo, s75
	s_and_saveexec_b32 s75, s23
	s_cbranch_execnz .LBB37_107
.LBB37_75:                              ;   in Loop: Header=BB37_51 Depth=1
	s_or_b32 exec_lo, exec_lo, s75
	s_and_saveexec_b32 s75, s24
	s_cbranch_execnz .LBB37_108
.LBB37_76:                              ;   in Loop: Header=BB37_51 Depth=1
	s_or_b32 exec_lo, exec_lo, s75
	s_and_saveexec_b32 s75, s25
	s_cbranch_execnz .LBB37_109
.LBB37_77:                              ;   in Loop: Header=BB37_51 Depth=1
	s_or_b32 exec_lo, exec_lo, s75
	s_and_saveexec_b32 s75, s26
	s_cbranch_execnz .LBB37_110
.LBB37_78:                              ;   in Loop: Header=BB37_51 Depth=1
	s_or_b32 exec_lo, exec_lo, s75
	s_and_saveexec_b32 s75, s27
	s_cbranch_execnz .LBB37_111
.LBB37_79:                              ;   in Loop: Header=BB37_51 Depth=1
	s_or_b32 exec_lo, exec_lo, s75
	s_and_saveexec_b32 s75, s28
	s_cbranch_execnz .LBB37_112
.LBB37_80:                              ;   in Loop: Header=BB37_51 Depth=1
	s_or_b32 exec_lo, exec_lo, s75
	s_and_saveexec_b32 s75, s29
	s_cbranch_execnz .LBB37_113
.LBB37_81:                              ;   in Loop: Header=BB37_51 Depth=1
	s_or_b32 exec_lo, exec_lo, s75
	s_and_saveexec_b32 s75, s30
	s_cbranch_execnz .LBB37_114
.LBB37_82:                              ;   in Loop: Header=BB37_51 Depth=1
	s_or_b32 exec_lo, exec_lo, s75
	s_and_saveexec_b32 s75, s31
	s_cbranch_execnz .LBB37_115
.LBB37_83:                              ;   in Loop: Header=BB37_51 Depth=1
	s_or_b32 exec_lo, exec_lo, s75
	s_and_saveexec_b32 s31, vcc_lo
	s_cbranch_execz .LBB37_50
	s_branch .LBB37_116
.LBB37_84:                              ;   in Loop: Header=BB37_51 Depth=1
	v_mov_b32_e32 v11, s39
	ds_load_b32 v11, v11
	s_waitcnt lgkmcnt(0)
	v_add_nc_u32_e32 v10, v11, v10
	s_or_b32 exec_lo, exec_lo, s75
	s_and_saveexec_b32 s75, s1
	s_cbranch_execz .LBB37_53
.LBB37_85:                              ;   in Loop: Header=BB37_51 Depth=1
	v_mov_b32_e32 v11, s44
	ds_load_b32 v11, v11
	s_waitcnt lgkmcnt(0)
	v_add_nc_u32_e32 v10, v11, v10
	s_or_b32 exec_lo, exec_lo, s75
	s_and_saveexec_b32 s75, s2
	s_cbranch_execz .LBB37_54
.LBB37_86:                              ;   in Loop: Header=BB37_51 Depth=1
	v_mov_b32_e32 v11, s45
	ds_load_b32 v11, v11
	s_waitcnt lgkmcnt(0)
	v_add_nc_u32_e32 v10, v11, v10
	s_or_b32 exec_lo, exec_lo, s75
	s_and_saveexec_b32 s75, s3
	s_cbranch_execz .LBB37_55
.LBB37_87:                              ;   in Loop: Header=BB37_51 Depth=1
	v_mov_b32_e32 v11, s46
	ds_load_b32 v11, v11
	s_waitcnt lgkmcnt(0)
	v_add_nc_u32_e32 v10, v11, v10
	s_or_b32 exec_lo, exec_lo, s75
	s_and_saveexec_b32 s75, s4
	s_cbranch_execz .LBB37_56
.LBB37_88:                              ;   in Loop: Header=BB37_51 Depth=1
	v_mov_b32_e32 v11, s47
	ds_load_b32 v11, v11
	s_waitcnt lgkmcnt(0)
	v_add_nc_u32_e32 v10, v11, v10
	s_or_b32 exec_lo, exec_lo, s75
	s_and_saveexec_b32 s75, s5
	s_cbranch_execz .LBB37_57
.LBB37_89:                              ;   in Loop: Header=BB37_51 Depth=1
	v_mov_b32_e32 v11, s48
	ds_load_b32 v11, v11
	s_waitcnt lgkmcnt(0)
	v_add_nc_u32_e32 v10, v11, v10
	s_or_b32 exec_lo, exec_lo, s75
	s_and_saveexec_b32 s75, s6
	s_cbranch_execz .LBB37_58
.LBB37_90:                              ;   in Loop: Header=BB37_51 Depth=1
	v_mov_b32_e32 v11, s49
	ds_load_b32 v11, v11
	s_waitcnt lgkmcnt(0)
	v_add_nc_u32_e32 v10, v11, v10
	s_or_b32 exec_lo, exec_lo, s75
	s_and_saveexec_b32 s75, s7
	s_cbranch_execz .LBB37_59
.LBB37_91:                              ;   in Loop: Header=BB37_51 Depth=1
	v_mov_b32_e32 v11, s50
	ds_load_b32 v11, v11
	s_waitcnt lgkmcnt(0)
	v_add_nc_u32_e32 v10, v11, v10
	s_or_b32 exec_lo, exec_lo, s75
	s_and_saveexec_b32 s75, s8
	s_cbranch_execz .LBB37_60
.LBB37_92:                              ;   in Loop: Header=BB37_51 Depth=1
	v_mov_b32_e32 v11, s51
	ds_load_b32 v11, v11
	s_waitcnt lgkmcnt(0)
	v_add_nc_u32_e32 v10, v11, v10
	s_or_b32 exec_lo, exec_lo, s75
	s_and_saveexec_b32 s75, s9
	s_cbranch_execz .LBB37_61
.LBB37_93:                              ;   in Loop: Header=BB37_51 Depth=1
	v_mov_b32_e32 v11, s52
	ds_load_b32 v11, v11
	s_waitcnt lgkmcnt(0)
	v_add_nc_u32_e32 v10, v11, v10
	s_or_b32 exec_lo, exec_lo, s75
	s_and_saveexec_b32 s75, s10
	s_cbranch_execz .LBB37_62
.LBB37_94:                              ;   in Loop: Header=BB37_51 Depth=1
	v_mov_b32_e32 v11, s53
	ds_load_b32 v11, v11
	s_waitcnt lgkmcnt(0)
	v_add_nc_u32_e32 v10, v11, v10
	s_or_b32 exec_lo, exec_lo, s75
	s_and_saveexec_b32 s75, s11
	s_cbranch_execz .LBB37_63
.LBB37_95:                              ;   in Loop: Header=BB37_51 Depth=1
	v_mov_b32_e32 v11, s54
	ds_load_b32 v11, v11
	s_waitcnt lgkmcnt(0)
	v_add_nc_u32_e32 v10, v11, v10
	s_or_b32 exec_lo, exec_lo, s75
	s_and_saveexec_b32 s75, s12
	s_cbranch_execz .LBB37_64
.LBB37_96:                              ;   in Loop: Header=BB37_51 Depth=1
	v_mov_b32_e32 v11, s55
	ds_load_b32 v11, v11
	s_waitcnt lgkmcnt(0)
	v_add_nc_u32_e32 v10, v11, v10
	s_or_b32 exec_lo, exec_lo, s75
	s_and_saveexec_b32 s75, s13
	s_cbranch_execz .LBB37_65
.LBB37_97:                              ;   in Loop: Header=BB37_51 Depth=1
	v_mov_b32_e32 v11, s56
	ds_load_b32 v11, v11
	s_waitcnt lgkmcnt(0)
	v_add_nc_u32_e32 v10, v11, v10
	s_or_b32 exec_lo, exec_lo, s75
	s_and_saveexec_b32 s75, s14
	s_cbranch_execz .LBB37_66
.LBB37_98:                              ;   in Loop: Header=BB37_51 Depth=1
	v_mov_b32_e32 v11, s57
	ds_load_b32 v11, v11
	s_waitcnt lgkmcnt(0)
	v_add_nc_u32_e32 v10, v11, v10
	s_or_b32 exec_lo, exec_lo, s75
	s_and_saveexec_b32 s75, s15
	s_cbranch_execz .LBB37_67
.LBB37_99:                              ;   in Loop: Header=BB37_51 Depth=1
	v_mov_b32_e32 v11, s58
	ds_load_b32 v11, v11
	s_waitcnt lgkmcnt(0)
	v_add_nc_u32_e32 v10, v11, v10
	s_or_b32 exec_lo, exec_lo, s75
	s_and_saveexec_b32 s75, s16
	s_cbranch_execz .LBB37_68
.LBB37_100:                             ;   in Loop: Header=BB37_51 Depth=1
	v_mov_b32_e32 v11, s59
	ds_load_b32 v11, v11
	s_waitcnt lgkmcnt(0)
	v_add_nc_u32_e32 v10, v11, v10
	s_or_b32 exec_lo, exec_lo, s75
	s_and_saveexec_b32 s75, s17
	s_cbranch_execz .LBB37_69
.LBB37_101:                             ;   in Loop: Header=BB37_51 Depth=1
	v_mov_b32_e32 v11, s60
	ds_load_b32 v11, v11
	s_waitcnt lgkmcnt(0)
	v_add_nc_u32_e32 v10, v11, v10
	s_or_b32 exec_lo, exec_lo, s75
	s_and_saveexec_b32 s75, s18
	s_cbranch_execz .LBB37_70
.LBB37_102:                             ;   in Loop: Header=BB37_51 Depth=1
	v_mov_b32_e32 v11, s61
	ds_load_b32 v11, v11
	s_waitcnt lgkmcnt(0)
	v_add_nc_u32_e32 v10, v11, v10
	s_or_b32 exec_lo, exec_lo, s75
	s_and_saveexec_b32 s75, s19
	s_cbranch_execz .LBB37_71
.LBB37_103:                             ;   in Loop: Header=BB37_51 Depth=1
	v_mov_b32_e32 v11, s62
	ds_load_b32 v11, v11
	s_waitcnt lgkmcnt(0)
	v_add_nc_u32_e32 v10, v11, v10
	s_or_b32 exec_lo, exec_lo, s75
	s_and_saveexec_b32 s75, s20
	s_cbranch_execz .LBB37_72
.LBB37_104:                             ;   in Loop: Header=BB37_51 Depth=1
	v_mov_b32_e32 v11, s63
	ds_load_b32 v11, v11
	s_waitcnt lgkmcnt(0)
	v_add_nc_u32_e32 v10, v11, v10
	s_or_b32 exec_lo, exec_lo, s75
	s_and_saveexec_b32 s75, s21
	s_cbranch_execz .LBB37_73
.LBB37_105:                             ;   in Loop: Header=BB37_51 Depth=1
	v_mov_b32_e32 v11, s64
	ds_load_b32 v11, v11
	s_waitcnt lgkmcnt(0)
	v_add_nc_u32_e32 v10, v11, v10
	s_or_b32 exec_lo, exec_lo, s75
	s_and_saveexec_b32 s75, s22
	s_cbranch_execz .LBB37_74
.LBB37_106:                             ;   in Loop: Header=BB37_51 Depth=1
	v_mov_b32_e32 v11, s65
	ds_load_b32 v11, v11
	s_waitcnt lgkmcnt(0)
	v_add_nc_u32_e32 v10, v11, v10
	s_or_b32 exec_lo, exec_lo, s75
	s_and_saveexec_b32 s75, s23
	s_cbranch_execz .LBB37_75
.LBB37_107:                             ;   in Loop: Header=BB37_51 Depth=1
	v_mov_b32_e32 v11, s66
	ds_load_b32 v11, v11
	s_waitcnt lgkmcnt(0)
	v_add_nc_u32_e32 v10, v11, v10
	s_or_b32 exec_lo, exec_lo, s75
	s_and_saveexec_b32 s75, s24
	s_cbranch_execz .LBB37_76
.LBB37_108:                             ;   in Loop: Header=BB37_51 Depth=1
	v_mov_b32_e32 v11, s67
	ds_load_b32 v11, v11
	s_waitcnt lgkmcnt(0)
	v_add_nc_u32_e32 v10, v11, v10
	s_or_b32 exec_lo, exec_lo, s75
	s_and_saveexec_b32 s75, s25
	s_cbranch_execz .LBB37_77
.LBB37_109:                             ;   in Loop: Header=BB37_51 Depth=1
	v_mov_b32_e32 v11, s68
	ds_load_b32 v11, v11
	s_waitcnt lgkmcnt(0)
	v_add_nc_u32_e32 v10, v11, v10
	s_or_b32 exec_lo, exec_lo, s75
	s_and_saveexec_b32 s75, s26
	s_cbranch_execz .LBB37_78
.LBB37_110:                             ;   in Loop: Header=BB37_51 Depth=1
	v_mov_b32_e32 v11, s69
	ds_load_b32 v11, v11
	s_waitcnt lgkmcnt(0)
	v_add_nc_u32_e32 v10, v11, v10
	s_or_b32 exec_lo, exec_lo, s75
	s_and_saveexec_b32 s75, s27
	s_cbranch_execz .LBB37_79
.LBB37_111:                             ;   in Loop: Header=BB37_51 Depth=1
	v_mov_b32_e32 v11, s71
	ds_load_b32 v11, v11
	s_waitcnt lgkmcnt(0)
	v_add_nc_u32_e32 v10, v11, v10
	s_or_b32 exec_lo, exec_lo, s75
	s_and_saveexec_b32 s75, s28
	s_cbranch_execz .LBB37_80
.LBB37_112:                             ;   in Loop: Header=BB37_51 Depth=1
	v_mov_b32_e32 v11, s72
	ds_load_b32 v11, v11
	s_waitcnt lgkmcnt(0)
	v_add_nc_u32_e32 v10, v11, v10
	s_or_b32 exec_lo, exec_lo, s75
	s_and_saveexec_b32 s75, s29
	s_cbranch_execz .LBB37_81
.LBB37_113:                             ;   in Loop: Header=BB37_51 Depth=1
	v_mov_b32_e32 v11, s73
	ds_load_b32 v11, v11
	s_waitcnt lgkmcnt(0)
	v_add_nc_u32_e32 v10, v11, v10
	s_or_b32 exec_lo, exec_lo, s75
	s_and_saveexec_b32 s75, s30
	s_cbranch_execz .LBB37_82
.LBB37_114:                             ;   in Loop: Header=BB37_51 Depth=1
	v_mov_b32_e32 v11, s74
	ds_load_b32 v11, v11
	s_waitcnt lgkmcnt(0)
	v_add_nc_u32_e32 v10, v11, v10
	s_or_b32 exec_lo, exec_lo, s75
	s_and_saveexec_b32 s75, s31
	s_cbranch_execz .LBB37_83
.LBB37_115:                             ;   in Loop: Header=BB37_51 Depth=1
	s_delay_alu instid0(VALU_DEP_1) | instskip(NEXT) | instid1(VALU_DEP_1)
	v_add3_u32 v11, v7, -1, v10
	v_lshl_add_u32 v12, v11, 2, 0
	v_lshl_add_u32 v11, v11, 3, 0
	ds_store_b32 v12, v9
	ds_store_b64 v11, v[2:3] offset:32768
	s_or_b32 exec_lo, exec_lo, s75
	s_and_saveexec_b32 s31, vcc_lo
	s_cbranch_execz .LBB37_50
.LBB37_116:                             ;   in Loop: Header=BB37_51 Depth=1
	v_mov_b32_e32 v2, s70
	ds_store_b32 v2, v10
	s_branch .LBB37_50
.LBB37_117:
	s_or_b32 exec_lo, exec_lo, s35
	s_ashr_i32 s35, s34, 31
	s_mov_b32 s3, exec_lo
	s_lshl_b64 s[0:1], s[34:35], 2
	s_delay_alu instid0(SALU_CYCLE_1) | instskip(SKIP_4) | instid1(SALU_CYCLE_1)
	s_add_u32 s0, s40, s0
	s_addc_u32 s1, s41, s1
	s_load_b64 s[0:1], s[0:1], 0x0
	s_waitcnt lgkmcnt(0)
	s_sub_i32 s2, s1, s0
	v_cmpx_gt_i32_e64 s2, v0
	s_cbranch_execz .LBB37_127
; %bb.118:
	s_sub_i32 s3, s0, s38
	s_sub_i32 s0, s0, s1
	s_and_b32 s1, s2, 7
	s_cmp_lt_u32 s0, -7
	s_mov_b32 s7, 0
	s_cselect_b32 s4, -1, 0
	s_and_b32 s5, s2, -8
	s_cmp_lg_u32 s1, 0
	s_cselect_b32 s6, -1, 0
	s_branch .LBB37_120
.LBB37_119:                             ;   in Loop: Header=BB37_120 Depth=1
	s_delay_alu instid0(VALU_DEP_1) | instskip(SKIP_3) | instid1(VALU_DEP_3)
	v_ashrrev_i32_e32 v4, 31, v3
	v_add_nc_u32_e32 v0, 0x400, v0
	s_waitcnt lgkmcnt(1)
	v_add_nc_u32_e32 v8, s38, v5
	v_lshlrev_b64 v[6:7], 2, v[3:4]
	v_lshlrev_b64 v[3:4], 3, v[3:4]
	v_cmp_le_i32_e32 vcc_lo, s2, v0
	s_delay_alu instid0(VALU_DEP_3) | instskip(NEXT) | instid1(VALU_DEP_1)
	v_add_co_u32 v5, s0, s42, v6
	v_add_co_ci_u32_e64 v6, s0, s43, v7, s0
	s_delay_alu instid0(VALU_DEP_4) | instskip(NEXT) | instid1(VALU_DEP_1)
	v_add_co_u32 v3, s0, s36, v3
	v_add_co_ci_u32_e64 v4, s0, s37, v4, s0
	s_or_b32 s7, vcc_lo, s7
	global_store_b32 v[5:6], v8, off
	s_waitcnt lgkmcnt(0)
	global_store_b64 v[3:4], v[1:2], off
	s_and_not1_b32 exec_lo, exec_lo, s7
	s_cbranch_execz .LBB37_127
.LBB37_120:                             ; =>This Loop Header: Depth=1
                                        ;     Child Loop BB37_122 Depth 2
                                        ;     Child Loop BB37_126 Depth 2
	v_lshlrev_b32_e32 v1, 2, v0
	s_and_not1_b32 vcc_lo, exec_lo, s4
	s_mov_b32 s0, 0
	s_delay_alu instid0(VALU_DEP_1) | instskip(NEXT) | instid1(VALU_DEP_1)
	v_dual_mov_b32 v3, s3 :: v_dual_add_nc_u32 v2, 0, v1
	v_add_nc_u32_e32 v1, v2, v1
	ds_load_b32 v5, v2
	ds_load_b64 v[1:2], v1 offset:32768
	s_cbranch_vccnz .LBB37_124
; %bb.121:                              ;   in Loop: Header=BB37_120 Depth=1
	v_mov_b32_e32 v3, s3
	s_mov_b32 s8, 0
	s_set_inst_prefetch_distance 0x1
	.p2align	6
.LBB37_122:                             ;   Parent Loop BB37_120 Depth=1
                                        ; =>  This Inner Loop Header: Depth=2
	v_mov_b32_e32 v4, s8
	s_add_i32 s0, s0, 8
	s_add_i32 s8, s8, 32
	s_cmp_eq_u32 s5, s0
	ds_load_2addr_b32 v[6:7], v4 offset1:1
	ds_load_2addr_b32 v[8:9], v4 offset0:2 offset1:3
	ds_load_2addr_b32 v[10:11], v4 offset0:4 offset1:5
	;; [unrolled: 1-line block ×3, first 2 shown]
	s_waitcnt lgkmcnt(3)
	v_cmp_gt_i32_e32 vcc_lo, v5, v6
	v_cndmask_b32_e64 v4, 0, 1, vcc_lo
	s_waitcnt lgkmcnt(2)
	v_cmp_gt_i32_e32 vcc_lo, v5, v8
	v_cndmask_b32_e64 v6, 0, 1, vcc_lo
	v_cmp_gt_i32_e32 vcc_lo, v5, v7
	v_add_co_ci_u32_e32 v3, vcc_lo, v3, v4, vcc_lo
	s_waitcnt lgkmcnt(1)
	v_cmp_gt_i32_e32 vcc_lo, v5, v10
	v_cndmask_b32_e64 v4, 0, 1, vcc_lo
	v_cmp_gt_i32_e32 vcc_lo, v5, v9
	v_add_co_ci_u32_e32 v3, vcc_lo, v3, v6, vcc_lo
	;; [unrolled: 5-line block ×3, first 2 shown]
	v_cmp_gt_i32_e32 vcc_lo, v5, v13
	s_delay_alu instid0(VALU_DEP_2)
	v_add_co_ci_u32_e32 v3, vcc_lo, v3, v6, vcc_lo
	s_cbranch_scc0 .LBB37_122
; %bb.123:                              ;   in Loop: Header=BB37_120 Depth=1
	s_set_inst_prefetch_distance 0x2
	s_mov_b32 s0, s5
.LBB37_124:                             ;   in Loop: Header=BB37_120 Depth=1
	s_and_not1_b32 vcc_lo, exec_lo, s6
	s_cbranch_vccnz .LBB37_119
; %bb.125:                              ;   in Loop: Header=BB37_120 Depth=1
	s_lshl_b32 s0, s0, 2
	s_mov_b32 s8, s1
	s_add_i32 s0, s0, 0
.LBB37_126:                             ;   Parent Loop BB37_120 Depth=1
                                        ; =>  This Inner Loop Header: Depth=2
	s_delay_alu instid0(SALU_CYCLE_1)
	v_mov_b32_e32 v4, s0
	s_add_i32 s8, s8, -1
	s_add_i32 s0, s0, 4
	s_cmp_lg_u32 s8, 0
	ds_load_b32 v4, v4
	s_waitcnt lgkmcnt(0)
	v_cmp_gt_i32_e32 vcc_lo, v5, v4
	v_add_co_ci_u32_e32 v3, vcc_lo, 0, v3, vcc_lo
	s_cbranch_scc1 .LBB37_126
	s_branch .LBB37_119
.LBB37_127:
	s_nop 0
	s_sendmsg sendmsg(MSG_DEALLOC_VGPRS)
	s_endpgm
	.section	.rodata,"a",@progbits
	.p2align	6, 0x0
	.amdhsa_kernel _ZN9rocsparseL26csrgemm_fill_block_per_rowILj1024ELj64ELj8192ELj137ELj32EiidEEvT5_PKS1_S3_NS_24const_host_device_scalarIT6_EEPKT4_S3_PKS5_S9_S3_SB_S6_S9_S3_SB_S9_PS1_PS5_21rocsparse_index_base_SE_SE_SE_bbb
		.amdhsa_group_segment_fixed_size 0
		.amdhsa_private_segment_fixed_size 0
		.amdhsa_kernarg_size 156
		.amdhsa_user_sgpr_count 15
		.amdhsa_user_sgpr_dispatch_ptr 0
		.amdhsa_user_sgpr_queue_ptr 0
		.amdhsa_user_sgpr_kernarg_segment_ptr 1
		.amdhsa_user_sgpr_dispatch_id 0
		.amdhsa_user_sgpr_private_segment_size 0
		.amdhsa_wavefront_size32 1
		.amdhsa_uses_dynamic_stack 0
		.amdhsa_enable_private_segment 0
		.amdhsa_system_sgpr_workgroup_id_x 1
		.amdhsa_system_sgpr_workgroup_id_y 0
		.amdhsa_system_sgpr_workgroup_id_z 0
		.amdhsa_system_sgpr_workgroup_info 0
		.amdhsa_system_vgpr_workitem_id 0
		.amdhsa_next_free_vgpr 22
		.amdhsa_next_free_sgpr 76
		.amdhsa_reserve_vcc 1
		.amdhsa_float_round_mode_32 0
		.amdhsa_float_round_mode_16_64 0
		.amdhsa_float_denorm_mode_32 3
		.amdhsa_float_denorm_mode_16_64 3
		.amdhsa_dx10_clamp 1
		.amdhsa_ieee_mode 1
		.amdhsa_fp16_overflow 0
		.amdhsa_workgroup_processor_mode 1
		.amdhsa_memory_ordered 1
		.amdhsa_forward_progress 0
		.amdhsa_shared_vgpr_count 0
		.amdhsa_exception_fp_ieee_invalid_op 0
		.amdhsa_exception_fp_denorm_src 0
		.amdhsa_exception_fp_ieee_div_zero 0
		.amdhsa_exception_fp_ieee_overflow 0
		.amdhsa_exception_fp_ieee_underflow 0
		.amdhsa_exception_fp_ieee_inexact 0
		.amdhsa_exception_int_div_zero 0
	.end_amdhsa_kernel
	.section	.text._ZN9rocsparseL26csrgemm_fill_block_per_rowILj1024ELj64ELj8192ELj137ELj32EiidEEvT5_PKS1_S3_NS_24const_host_device_scalarIT6_EEPKT4_S3_PKS5_S9_S3_SB_S6_S9_S3_SB_S9_PS1_PS5_21rocsparse_index_base_SE_SE_SE_bbb,"axG",@progbits,_ZN9rocsparseL26csrgemm_fill_block_per_rowILj1024ELj64ELj8192ELj137ELj32EiidEEvT5_PKS1_S3_NS_24const_host_device_scalarIT6_EEPKT4_S3_PKS5_S9_S3_SB_S6_S9_S3_SB_S9_PS1_PS5_21rocsparse_index_base_SE_SE_SE_bbb,comdat
.Lfunc_end37:
	.size	_ZN9rocsparseL26csrgemm_fill_block_per_rowILj1024ELj64ELj8192ELj137ELj32EiidEEvT5_PKS1_S3_NS_24const_host_device_scalarIT6_EEPKT4_S3_PKS5_S9_S3_SB_S6_S9_S3_SB_S9_PS1_PS5_21rocsparse_index_base_SE_SE_SE_bbb, .Lfunc_end37-_ZN9rocsparseL26csrgemm_fill_block_per_rowILj1024ELj64ELj8192ELj137ELj32EiidEEvT5_PKS1_S3_NS_24const_host_device_scalarIT6_EEPKT4_S3_PKS5_S9_S3_SB_S6_S9_S3_SB_S9_PS1_PS5_21rocsparse_index_base_SE_SE_SE_bbb
                                        ; -- End function
	.section	.AMDGPU.csdata,"",@progbits
; Kernel info:
; codeLenInByte = 4824
; NumSgprs: 78
; NumVgprs: 22
; ScratchSize: 0
; MemoryBound: 0
; FloatMode: 240
; IeeeMode: 1
; LDSByteSize: 0 bytes/workgroup (compile time only)
; SGPRBlocks: 9
; VGPRBlocks: 2
; NumSGPRsForWavesPerEU: 78
; NumVGPRsForWavesPerEU: 22
; Occupancy: 16
; WaveLimiterHint : 1
; COMPUTE_PGM_RSRC2:SCRATCH_EN: 0
; COMPUTE_PGM_RSRC2:USER_SGPR: 15
; COMPUTE_PGM_RSRC2:TRAP_HANDLER: 0
; COMPUTE_PGM_RSRC2:TGID_X_EN: 1
; COMPUTE_PGM_RSRC2:TGID_Y_EN: 0
; COMPUTE_PGM_RSRC2:TGID_Z_EN: 0
; COMPUTE_PGM_RSRC2:TIDIG_COMP_CNT: 0
	.section	.text._ZN9rocsparseL26csrgemm_fill_block_per_rowILj1024ELj64ELj8192ELj137ELj64EiidEEvT5_PKS1_S3_NS_24const_host_device_scalarIT6_EEPKT4_S3_PKS5_S9_S3_SB_S6_S9_S3_SB_S9_PS1_PS5_21rocsparse_index_base_SE_SE_SE_bbb,"axG",@progbits,_ZN9rocsparseL26csrgemm_fill_block_per_rowILj1024ELj64ELj8192ELj137ELj64EiidEEvT5_PKS1_S3_NS_24const_host_device_scalarIT6_EEPKT4_S3_PKS5_S9_S3_SB_S6_S9_S3_SB_S9_PS1_PS5_21rocsparse_index_base_SE_SE_SE_bbb,comdat
	.globl	_ZN9rocsparseL26csrgemm_fill_block_per_rowILj1024ELj64ELj8192ELj137ELj64EiidEEvT5_PKS1_S3_NS_24const_host_device_scalarIT6_EEPKT4_S3_PKS5_S9_S3_SB_S6_S9_S3_SB_S9_PS1_PS5_21rocsparse_index_base_SE_SE_SE_bbb ; -- Begin function _ZN9rocsparseL26csrgemm_fill_block_per_rowILj1024ELj64ELj8192ELj137ELj64EiidEEvT5_PKS1_S3_NS_24const_host_device_scalarIT6_EEPKT4_S3_PKS5_S9_S3_SB_S6_S9_S3_SB_S9_PS1_PS5_21rocsparse_index_base_SE_SE_SE_bbb
	.p2align	8
	.type	_ZN9rocsparseL26csrgemm_fill_block_per_rowILj1024ELj64ELj8192ELj137ELj64EiidEEvT5_PKS1_S3_NS_24const_host_device_scalarIT6_EEPKT4_S3_PKS5_S9_S3_SB_S6_S9_S3_SB_S9_PS1_PS5_21rocsparse_index_base_SE_SE_SE_bbb,@function
_ZN9rocsparseL26csrgemm_fill_block_per_rowILj1024ELj64ELj8192ELj137ELj64EiidEEvT5_PKS1_S3_NS_24const_host_device_scalarIT6_EEPKT4_S3_PKS5_S9_S3_SB_S6_S9_S3_SB_S9_PS1_PS5_21rocsparse_index_base_SE_SE_SE_bbb: ; @_ZN9rocsparseL26csrgemm_fill_block_per_rowILj1024ELj64ELj8192ELj137ELj64EiidEEvT5_PKS1_S3_NS_24const_host_device_scalarIT6_EEPKT4_S3_PKS5_S9_S3_SB_S6_S9_S3_SB_S9_PS1_PS5_21rocsparse_index_base_SE_SE_SE_bbb
; %bb.0:
	s_clause 0x4
	s_load_b32 s11, s[0:1], 0x98
	s_load_b64 s[8:9], s[0:1], 0x18
	s_load_b128 s[4:7], s[0:1], 0x8
	s_load_b128 s[16:19], s[0:1], 0x88
	s_load_b64 s[2:3], s[0:1], 0x50
	s_waitcnt lgkmcnt(0)
	s_and_b32 s10, 1, s11
	s_bitcmp1_b32 s11, 16
	s_cselect_b32 s13, -1, 0
	s_cmp_eq_u32 s10, 1
	s_cselect_b32 s10, -1, 0
	s_delay_alu instid0(SALU_CYCLE_1)
	s_and_b32 s12, s10, exec_lo
	s_cselect_b32 s21, s9, 0
	s_cselect_b32 s20, s8, 0
	s_xor_b32 s12, s10, -1
	v_dual_mov_b32 v3, s20 :: v_dual_mov_b32 v4, s21
	s_or_b32 s12, s12, s13
	s_delay_alu instid0(SALU_CYCLE_1)
	s_and_b32 vcc_lo, exec_lo, s12
	s_cbranch_vccnz .LBB38_2
; %bb.1:
	v_dual_mov_b32 v1, s8 :: v_dual_mov_b32 v2, s9
	flat_load_b64 v[3:4], v[1:2]
.LBB38_2:
	s_bitcmp1_b32 s11, 8
	s_cselect_b32 s12, -1, 0
	s_delay_alu instid0(SALU_CYCLE_1)
	s_and_b32 s8, s12, exec_lo
	s_cselect_b32 s9, s3, 0
	s_cselect_b32 s8, s2, 0
	s_xor_b32 s11, s12, -1
	v_dual_mov_b32 v1, s8 :: v_dual_mov_b32 v2, s9
	s_or_b32 s11, s11, s13
	s_delay_alu instid0(SALU_CYCLE_1)
	s_and_b32 vcc_lo, exec_lo, s11
	s_cbranch_vccnz .LBB38_4
; %bb.3:
	v_dual_mov_b32 v1, s2 :: v_dual_mov_b32 v2, s3
	flat_load_b64 v[1:2], v[1:2]
.LBB38_4:
	s_load_b32 s26, s[0:1], 0x0
	s_mov_b32 s2, 0
	s_delay_alu instid0(SALU_CYCLE_1) | instskip(NEXT) | instid1(SALU_CYCLE_1)
	s_mov_b32 s3, s2
	v_dual_mov_b32 v6, s3 :: v_dual_lshlrev_b32 v7, 2, v0
	v_dual_mov_b32 v5, s2 :: v_dual_lshlrev_b32 v16, 3, v0
	s_delay_alu instid0(VALU_DEP_2) | instskip(NEXT) | instid1(VALU_DEP_2)
	v_add_nc_u32_e32 v15, 0, v7
	v_add3_u32 v8, 0, 0x8000, v16
	ds_store_2addr_stride64_b64 v8, v[5:6], v[5:6] offset0:16 offset1:32
	ds_store_2addr_stride64_b64 v8, v[5:6], v[5:6] offset0:48 offset1:64
	;; [unrolled: 1-line block ×3, first 2 shown]
	s_waitcnt lgkmcnt(0)
	v_dual_mov_b32 v10, s26 :: v_dual_add_nc_u32 v7, v15, v7
	v_dual_mov_b32 v12, s26 :: v_dual_mov_b32 v9, s26
	v_dual_mov_b32 v14, s26 :: v_dual_mov_b32 v11, s26
	;; [unrolled: 1-line block ×3, first 2 shown]
	v_mov_b32_e32 v17, s26
	ds_store_b64 v7, v[5:6] offset:32768
	ds_store_b64 v8, v[5:6] offset:57344
	ds_store_2addr_stride64_b32 v15, v9, v10 offset1:16
	ds_store_2addr_stride64_b32 v15, v11, v12 offset0:32 offset1:48
	ds_store_2addr_stride64_b32 v15, v13, v14 offset0:64 offset1:80
	;; [unrolled: 1-line block ×3, first 2 shown]
	s_waitcnt vmcnt(0) lgkmcnt(0)
	s_barrier
	buffer_gl0_inv
	s_load_b32 s3, s[4:5], 0x0
	s_mov_b32 s5, s2
	v_lshrrev_b32_e32 v17, 6, v0
	s_waitcnt lgkmcnt(0)
	s_add_i32 s4, s3, s15
	s_delay_alu instid0(SALU_CYCLE_1) | instskip(NEXT) | instid1(SALU_CYCLE_1)
	s_lshl_b64 s[2:3], s[4:5], 2
	s_add_u32 s2, s6, s2
	s_addc_u32 s3, s7, s3
	s_and_not1_b32 vcc_lo, exec_lo, s10
	s_load_b32 s24, s[2:3], 0x0
	s_cbranch_vccnz .LBB38_28
; %bb.5:
	s_load_b64 s[2:3], s[0:1], 0x20
	s_waitcnt lgkmcnt(0)
	s_ashr_i32 s25, s24, 31
	v_subrev_nc_u32_e32 v5, s16, v17
	s_lshl_b64 s[4:5], s[24:25], 2
	s_mov_b32 s14, exec_lo
	s_add_u32 s2, s2, s4
	s_addc_u32 s3, s3, s5
	s_load_b64 s[2:3], s[2:3], 0x0
	s_waitcnt lgkmcnt(0)
	v_add_nc_u32_e32 v5, s2, v5
	s_sub_i32 s13, s3, s16
	s_delay_alu instid0(VALU_DEP_1) | instid1(SALU_CYCLE_1)
	v_cmpx_gt_i32_e64 s13, v5
	s_cbranch_execz .LBB38_27
; %bb.6:
	s_clause 0x1
	s_load_b64 s[2:3], s[0:1], 0x48
	s_load_b256 s[4:11], s[0:1], 0x28
	v_and_b32_e32 v6, 63, v0
	s_mov_b32 s15, 0
	s_delay_alu instid0(VALU_DEP_1)
	v_subrev_nc_u32_e32 v18, s17, v6
	s_branch .LBB38_8
.LBB38_7:                               ;   in Loop: Header=BB38_8 Depth=1
	s_or_b32 exec_lo, exec_lo, s20
	v_add_nc_u32_e32 v5, 16, v5
	s_delay_alu instid0(VALU_DEP_1) | instskip(SKIP_1) | instid1(SALU_CYCLE_1)
	v_cmp_le_i32_e32 vcc_lo, s13, v5
	s_or_b32 s15, vcc_lo, s15
	s_and_not1_b32 exec_lo, exec_lo, s15
	s_cbranch_execz .LBB38_27
.LBB38_8:                               ; =>This Loop Header: Depth=1
                                        ;     Child Loop BB38_11 Depth 2
                                        ;       Child Loop BB38_13 Depth 3
                                        ;         Child Loop BB38_19 Depth 4
                                        ;         Child Loop BB38_25 Depth 4
	v_ashrrev_i32_e32 v6, 31, v5
	s_mov_b32 s20, exec_lo
	s_delay_alu instid0(VALU_DEP_1) | instskip(SKIP_1) | instid1(VALU_DEP_1)
	v_lshlrev_b64 v[7:8], 2, v[5:6]
	s_waitcnt lgkmcnt(0)
	v_add_co_u32 v7, vcc_lo, s4, v7
	s_delay_alu instid0(VALU_DEP_2) | instskip(SKIP_3) | instid1(VALU_DEP_1)
	v_add_co_ci_u32_e32 v8, vcc_lo, s5, v8, vcc_lo
	global_load_b32 v7, v[7:8], off
	s_waitcnt vmcnt(0)
	v_subrev_nc_u32_e32 v7, s16, v7
	v_ashrrev_i32_e32 v8, 31, v7
	s_delay_alu instid0(VALU_DEP_1) | instskip(NEXT) | instid1(VALU_DEP_1)
	v_lshlrev_b64 v[7:8], 2, v[7:8]
	v_add_co_u32 v7, vcc_lo, s8, v7
	s_delay_alu instid0(VALU_DEP_2) | instskip(SKIP_4) | instid1(VALU_DEP_1)
	v_add_co_ci_u32_e32 v8, vcc_lo, s9, v8, vcc_lo
	global_load_b64 v[7:8], v[7:8], off
	s_waitcnt vmcnt(0)
	v_subrev_nc_u32_e32 v19, s17, v8
	v_add_nc_u32_e32 v7, v7, v18
	v_cmpx_lt_i32_e64 v7, v19
	s_cbranch_execz .LBB38_7
; %bb.9:                                ;   in Loop: Header=BB38_8 Depth=1
	v_lshlrev_b64 v[8:9], 3, v[5:6]
	s_mov_b32 s21, 0
	s_delay_alu instid0(VALU_DEP_1) | instskip(NEXT) | instid1(VALU_DEP_2)
	v_add_co_u32 v8, vcc_lo, s6, v8
	v_add_co_ci_u32_e32 v9, vcc_lo, s7, v9, vcc_lo
	global_load_b64 v[8:9], v[8:9], off
	s_waitcnt vmcnt(0)
	v_mul_f64 v[9:10], v[3:4], v[8:9]
	s_branch .LBB38_11
.LBB38_10:                              ;   in Loop: Header=BB38_11 Depth=2
	s_or_b32 exec_lo, exec_lo, s22
	v_add_nc_u32_e32 v7, 64, v7
	s_delay_alu instid0(VALU_DEP_1) | instskip(SKIP_1) | instid1(SALU_CYCLE_1)
	v_cmp_ge_i32_e32 vcc_lo, v7, v19
	s_or_b32 s21, vcc_lo, s21
	s_and_not1_b32 exec_lo, exec_lo, s21
	s_cbranch_execz .LBB38_7
.LBB38_11:                              ;   Parent Loop BB38_8 Depth=1
                                        ; =>  This Loop Header: Depth=2
                                        ;       Child Loop BB38_13 Depth 3
                                        ;         Child Loop BB38_19 Depth 4
                                        ;         Child Loop BB38_25 Depth 4
	v_ashrrev_i32_e32 v8, 31, v7
	s_mov_b32 s22, 0
	s_delay_alu instid0(VALU_DEP_1) | instskip(SKIP_1) | instid1(VALU_DEP_2)
	v_lshlrev_b64 v[11:12], 3, v[7:8]
	v_lshlrev_b64 v[13:14], 2, v[7:8]
	v_add_co_u32 v11, vcc_lo, s2, v11
	s_delay_alu instid0(VALU_DEP_3) | instskip(NEXT) | instid1(VALU_DEP_3)
	v_add_co_ci_u32_e32 v12, vcc_lo, s3, v12, vcc_lo
	v_add_co_u32 v13, vcc_lo, s10, v13
	s_delay_alu instid0(VALU_DEP_4)
	v_add_co_ci_u32_e32 v14, vcc_lo, s11, v14, vcc_lo
	global_load_b64 v[11:12], v[11:12], off
	global_load_b32 v6, v[13:14], off
	s_waitcnt vmcnt(1)
	v_mul_f64 v[11:12], v[9:10], v[11:12]
	s_waitcnt vmcnt(0)
	v_subrev_nc_u32_e32 v6, s17, v6
	s_delay_alu instid0(VALU_DEP_1) | instskip(NEXT) | instid1(VALU_DEP_1)
	v_mul_lo_u32 v8, 0x89, v6
	v_and_b32_e32 v8, 0x1fff, v8
	s_branch .LBB38_13
.LBB38_12:                              ;   in Loop: Header=BB38_13 Depth=3
	s_or_b32 exec_lo, exec_lo, s23
	s_xor_b32 s23, s25, -1
	s_delay_alu instid0(SALU_CYCLE_1) | instskip(NEXT) | instid1(SALU_CYCLE_1)
	s_and_b32 s23, exec_lo, s23
	s_or_b32 s22, s23, s22
	s_delay_alu instid0(SALU_CYCLE_1)
	s_and_not1_b32 exec_lo, exec_lo, s22
	s_cbranch_execz .LBB38_10
.LBB38_13:                              ;   Parent Loop BB38_8 Depth=1
                                        ;     Parent Loop BB38_11 Depth=2
                                        ; =>    This Loop Header: Depth=3
                                        ;         Child Loop BB38_19 Depth 4
                                        ;         Child Loop BB38_25 Depth 4
	s_delay_alu instid0(VALU_DEP_1)
	v_lshl_add_u32 v13, v8, 2, 0
	s_mov_b32 s23, exec_lo
                                        ; implicit-def: $sgpr25
	ds_load_b32 v14, v13
	s_waitcnt lgkmcnt(0)
	v_cmpx_ne_u32_e64 v14, v6
	s_xor_b32 s23, exec_lo, s23
	s_cbranch_execz .LBB38_23
; %bb.14:                               ;   in Loop: Header=BB38_13 Depth=3
	s_mov_b32 s27, exec_lo
                                        ; implicit-def: $sgpr25
	v_cmpx_ne_u32_e64 s26, v14
	s_xor_b32 s27, exec_lo, s27
; %bb.15:                               ;   in Loop: Header=BB38_13 Depth=3
	v_add_nc_u32_e32 v8, 1, v8
	s_mov_b32 s25, -1
                                        ; implicit-def: $vgpr13
	s_delay_alu instid0(VALU_DEP_1)
	v_and_b32_e32 v8, 0x1fff, v8
; %bb.16:                               ;   in Loop: Header=BB38_13 Depth=3
	s_and_not1_saveexec_b32 s27, s27
	s_cbranch_execz .LBB38_22
; %bb.17:                               ;   in Loop: Header=BB38_13 Depth=3
	v_mov_b32_e32 v14, s26
	s_mov_b32 s29, -1
	s_mov_b32 s28, exec_lo
	ds_cmpstore_rtn_b32 v14, v13, v6, v14
	s_waitcnt lgkmcnt(0)
	v_cmpx_eq_u32_e64 s26, v14
	s_cbranch_execz .LBB38_21
; %bb.18:                               ;   in Loop: Header=BB38_13 Depth=3
	v_lshlrev_b32_e32 v14, 2, v8
	s_mov_b32 s29, 0
	s_delay_alu instid0(VALU_DEP_1)
	v_add_nc_u32_e32 v20, v13, v14
	ds_load_b64 v[13:14], v20 offset:32768
.LBB38_19:                              ;   Parent Loop BB38_8 Depth=1
                                        ;     Parent Loop BB38_11 Depth=2
                                        ;       Parent Loop BB38_13 Depth=3
                                        ; =>      This Inner Loop Header: Depth=4
	s_waitcnt lgkmcnt(0)
	v_add_f64 v[21:22], v[13:14], v[11:12]
	ds_cmpstore_rtn_b64 v[21:22], v20, v[21:22], v[13:14] offset:32768
	s_waitcnt lgkmcnt(0)
	v_cmp_eq_u64_e32 vcc_lo, v[21:22], v[13:14]
	v_dual_mov_b32 v13, v21 :: v_dual_mov_b32 v14, v22
	s_or_b32 s29, vcc_lo, s29
	s_delay_alu instid0(SALU_CYCLE_1)
	s_and_not1_b32 exec_lo, exec_lo, s29
	s_cbranch_execnz .LBB38_19
; %bb.20:                               ;   in Loop: Header=BB38_13 Depth=3
	s_or_b32 exec_lo, exec_lo, s29
	s_delay_alu instid0(SALU_CYCLE_1)
	s_xor_b32 s29, exec_lo, -1
.LBB38_21:                              ;   in Loop: Header=BB38_13 Depth=3
	s_or_b32 exec_lo, exec_lo, s28
	s_delay_alu instid0(SALU_CYCLE_1) | instskip(SKIP_1) | instid1(SALU_CYCLE_1)
	s_and_not1_b32 s25, s25, exec_lo
	s_and_b32 s28, s29, exec_lo
	s_or_b32 s25, s25, s28
.LBB38_22:                              ;   in Loop: Header=BB38_13 Depth=3
	s_or_b32 exec_lo, exec_lo, s27
	s_delay_alu instid0(SALU_CYCLE_1)
	s_and_b32 s25, s25, exec_lo
                                        ; implicit-def: $vgpr13
.LBB38_23:                              ;   in Loop: Header=BB38_13 Depth=3
	s_and_not1_saveexec_b32 s23, s23
	s_cbranch_execz .LBB38_12
; %bb.24:                               ;   in Loop: Header=BB38_13 Depth=3
	v_lshlrev_b32_e32 v14, 2, v8
	s_mov_b32 s27, 0
	s_delay_alu instid0(VALU_DEP_1)
	v_add_nc_u32_e32 v20, v13, v14
	ds_load_b64 v[13:14], v20 offset:32768
.LBB38_25:                              ;   Parent Loop BB38_8 Depth=1
                                        ;     Parent Loop BB38_11 Depth=2
                                        ;       Parent Loop BB38_13 Depth=3
                                        ; =>      This Inner Loop Header: Depth=4
	s_waitcnt lgkmcnt(0)
	v_add_f64 v[21:22], v[13:14], v[11:12]
	ds_cmpstore_rtn_b64 v[21:22], v20, v[21:22], v[13:14] offset:32768
	s_waitcnt lgkmcnt(0)
	v_cmp_eq_u64_e32 vcc_lo, v[21:22], v[13:14]
	v_dual_mov_b32 v13, v21 :: v_dual_mov_b32 v14, v22
	s_or_b32 s27, vcc_lo, s27
	s_delay_alu instid0(SALU_CYCLE_1)
	s_and_not1_b32 exec_lo, exec_lo, s27
	s_cbranch_execnz .LBB38_25
; %bb.26:                               ;   in Loop: Header=BB38_13 Depth=3
	s_or_b32 exec_lo, exec_lo, s27
	s_delay_alu instid0(SALU_CYCLE_1)
	s_and_not1_b32 s25, s25, exec_lo
	s_branch .LBB38_12
.LBB38_27:
	s_or_b32 exec_lo, exec_lo, s14
.LBB38_28:
	s_clause 0x1
	s_load_b64 s[16:17], s[0:1], 0x80
	s_load_b128 s[20:23], s[0:1], 0x70
	s_and_not1_b32 vcc_lo, exec_lo, s12
	s_cbranch_vccnz .LBB38_49
; %bb.29:
	s_load_b64 s[2:3], s[0:1], 0x58
	s_waitcnt lgkmcnt(0)
	s_ashr_i32 s25, s24, 31
	v_subrev_nc_u32_e32 v3, s19, v0
	s_lshl_b64 s[4:5], s[24:25], 2
	s_delay_alu instid0(SALU_CYCLE_1)
	s_add_u32 s2, s2, s4
	s_addc_u32 s3, s3, s5
	s_mov_b32 s5, exec_lo
	s_load_b64 s[2:3], s[2:3], 0x0
	s_waitcnt lgkmcnt(0)
	v_add_nc_u32_e32 v3, s2, v3
	s_sub_i32 s4, s3, s19
	s_delay_alu instid0(VALU_DEP_1) | instid1(SALU_CYCLE_1)
	v_cmpx_gt_i32_e64 s4, v3
	s_cbranch_execz .LBB38_48
; %bb.30:
	s_load_b128 s[0:3], s[0:1], 0x60
	s_mov_b32 s6, 0
	s_branch .LBB38_32
.LBB38_31:                              ;   in Loop: Header=BB38_32 Depth=1
	s_or_b32 exec_lo, exec_lo, s7
	v_add_nc_u32_e32 v3, 0x400, v3
	s_delay_alu instid0(VALU_DEP_1) | instskip(SKIP_1) | instid1(SALU_CYCLE_1)
	v_cmp_le_i32_e32 vcc_lo, s4, v3
	s_or_b32 s6, vcc_lo, s6
	s_and_not1_b32 exec_lo, exec_lo, s6
	s_cbranch_execz .LBB38_48
.LBB38_32:                              ; =>This Loop Header: Depth=1
                                        ;     Child Loop BB38_34 Depth 2
                                        ;       Child Loop BB38_40 Depth 3
                                        ;       Child Loop BB38_46 Depth 3
	v_ashrrev_i32_e32 v4, 31, v3
	s_mov_b32 s7, 0
	s_delay_alu instid0(VALU_DEP_1) | instskip(SKIP_2) | instid1(VALU_DEP_2)
	v_lshlrev_b64 v[5:6], 3, v[3:4]
	v_lshlrev_b64 v[7:8], 2, v[3:4]
	s_waitcnt lgkmcnt(0)
	v_add_co_u32 v5, vcc_lo, s2, v5
	s_delay_alu instid0(VALU_DEP_3) | instskip(NEXT) | instid1(VALU_DEP_3)
	v_add_co_ci_u32_e32 v6, vcc_lo, s3, v6, vcc_lo
	v_add_co_u32 v7, vcc_lo, s0, v7
	s_delay_alu instid0(VALU_DEP_4)
	v_add_co_ci_u32_e32 v8, vcc_lo, s1, v8, vcc_lo
	global_load_b64 v[5:6], v[5:6], off
	global_load_b32 v7, v[7:8], off
	s_waitcnt vmcnt(1)
	v_mul_f64 v[4:5], v[1:2], v[5:6]
	s_waitcnt vmcnt(0)
	v_subrev_nc_u32_e32 v8, s19, v7
	s_delay_alu instid0(VALU_DEP_1) | instskip(NEXT) | instid1(VALU_DEP_1)
	v_mul_lo_u32 v6, 0x89, v8
	v_and_b32_e32 v9, 0x1fff, v6
	s_branch .LBB38_34
.LBB38_33:                              ;   in Loop: Header=BB38_34 Depth=2
	s_or_b32 exec_lo, exec_lo, s8
	s_xor_b32 s8, s9, -1
	s_delay_alu instid0(SALU_CYCLE_1) | instskip(NEXT) | instid1(SALU_CYCLE_1)
	s_and_b32 s8, exec_lo, s8
	s_or_b32 s7, s8, s7
	s_delay_alu instid0(SALU_CYCLE_1)
	s_and_not1_b32 exec_lo, exec_lo, s7
	s_cbranch_execz .LBB38_31
.LBB38_34:                              ;   Parent Loop BB38_32 Depth=1
                                        ; =>  This Loop Header: Depth=2
                                        ;       Child Loop BB38_40 Depth 3
                                        ;       Child Loop BB38_46 Depth 3
	s_delay_alu instid0(VALU_DEP_1)
	v_lshl_add_u32 v6, v9, 2, 0
	s_mov_b32 s8, exec_lo
                                        ; implicit-def: $sgpr9
	ds_load_b32 v7, v6
	s_waitcnt lgkmcnt(0)
	v_cmpx_ne_u32_e64 v7, v8
	s_xor_b32 s8, exec_lo, s8
	s_cbranch_execz .LBB38_44
; %bb.35:                               ;   in Loop: Header=BB38_34 Depth=2
	s_mov_b32 s10, exec_lo
                                        ; implicit-def: $sgpr9
	v_cmpx_ne_u32_e64 s26, v7
	s_xor_b32 s10, exec_lo, s10
; %bb.36:                               ;   in Loop: Header=BB38_34 Depth=2
	v_add_nc_u32_e32 v6, 1, v9
	s_mov_b32 s9, -1
	s_delay_alu instid0(VALU_DEP_1)
	v_and_b32_e32 v9, 0x1fff, v6
                                        ; implicit-def: $vgpr6
; %bb.37:                               ;   in Loop: Header=BB38_34 Depth=2
	s_and_not1_saveexec_b32 s10, s10
	s_cbranch_execz .LBB38_43
; %bb.38:                               ;   in Loop: Header=BB38_34 Depth=2
	v_mov_b32_e32 v7, s26
	s_mov_b32 s12, -1
	s_mov_b32 s11, exec_lo
	ds_cmpstore_rtn_b32 v7, v6, v8, v7
	s_waitcnt lgkmcnt(0)
	v_cmpx_eq_u32_e64 s26, v7
	s_cbranch_execz .LBB38_42
; %bb.39:                               ;   in Loop: Header=BB38_34 Depth=2
	v_lshlrev_b32_e32 v7, 2, v9
	s_mov_b32 s12, 0
	s_delay_alu instid0(VALU_DEP_1)
	v_add_nc_u32_e32 v10, v6, v7
	ds_load_b64 v[6:7], v10 offset:32768
.LBB38_40:                              ;   Parent Loop BB38_32 Depth=1
                                        ;     Parent Loop BB38_34 Depth=2
                                        ; =>    This Inner Loop Header: Depth=3
	s_waitcnt lgkmcnt(0)
	v_add_f64 v[11:12], v[6:7], v[4:5]
	ds_cmpstore_rtn_b64 v[11:12], v10, v[11:12], v[6:7] offset:32768
	s_waitcnt lgkmcnt(0)
	v_cmp_eq_u64_e32 vcc_lo, v[11:12], v[6:7]
	v_dual_mov_b32 v6, v11 :: v_dual_mov_b32 v7, v12
	s_or_b32 s12, vcc_lo, s12
	s_delay_alu instid0(SALU_CYCLE_1)
	s_and_not1_b32 exec_lo, exec_lo, s12
	s_cbranch_execnz .LBB38_40
; %bb.41:                               ;   in Loop: Header=BB38_34 Depth=2
	s_or_b32 exec_lo, exec_lo, s12
	s_delay_alu instid0(SALU_CYCLE_1)
	s_xor_b32 s12, exec_lo, -1
.LBB38_42:                              ;   in Loop: Header=BB38_34 Depth=2
	s_or_b32 exec_lo, exec_lo, s11
	s_delay_alu instid0(SALU_CYCLE_1) | instskip(SKIP_1) | instid1(SALU_CYCLE_1)
	s_and_not1_b32 s9, s9, exec_lo
	s_and_b32 s11, s12, exec_lo
	s_or_b32 s9, s9, s11
.LBB38_43:                              ;   in Loop: Header=BB38_34 Depth=2
	s_or_b32 exec_lo, exec_lo, s10
	s_delay_alu instid0(SALU_CYCLE_1)
	s_and_b32 s9, s9, exec_lo
                                        ; implicit-def: $vgpr6
.LBB38_44:                              ;   in Loop: Header=BB38_34 Depth=2
	s_and_not1_saveexec_b32 s8, s8
	s_cbranch_execz .LBB38_33
; %bb.45:                               ;   in Loop: Header=BB38_34 Depth=2
	v_lshlrev_b32_e32 v7, 2, v9
	s_mov_b32 s10, 0
	s_delay_alu instid0(VALU_DEP_1)
	v_add_nc_u32_e32 v10, v6, v7
	ds_load_b64 v[6:7], v10 offset:32768
.LBB38_46:                              ;   Parent Loop BB38_32 Depth=1
                                        ;     Parent Loop BB38_34 Depth=2
                                        ; =>    This Inner Loop Header: Depth=3
	s_waitcnt lgkmcnt(0)
	v_add_f64 v[11:12], v[6:7], v[4:5]
	ds_cmpstore_rtn_b64 v[11:12], v10, v[11:12], v[6:7] offset:32768
	s_waitcnt lgkmcnt(0)
	v_cmp_eq_u64_e32 vcc_lo, v[11:12], v[6:7]
	v_dual_mov_b32 v6, v11 :: v_dual_mov_b32 v7, v12
	s_or_b32 s10, vcc_lo, s10
	s_delay_alu instid0(SALU_CYCLE_1)
	s_and_not1_b32 exec_lo, exec_lo, s10
	s_cbranch_execnz .LBB38_46
; %bb.47:                               ;   in Loop: Header=BB38_34 Depth=2
	s_or_b32 exec_lo, exec_lo, s10
	s_delay_alu instid0(SALU_CYCLE_1)
	s_and_not1_b32 s9, s9, exec_lo
	s_branch .LBB38_33
.LBB38_48:
	s_or_b32 exec_lo, exec_lo, s5
.LBB38_49:
	v_mbcnt_lo_u32_b32 v1, -1, 0
	v_dual_mov_b32 v7, 0 :: v_dual_lshlrev_b32 v2, 2, v17
	s_add_i32 s38, 0, 0x1803c
	v_cmp_eq_u32_e32 vcc_lo, 0x3ff, v0
	s_delay_alu instid0(VALU_DEP_3) | instskip(NEXT) | instid1(VALU_DEP_3)
	v_xor_b32_e32 v1, 63, v1
	v_add3_u32 v4, 0, 0x18000, v2
	v_cmp_lt_u32_e64 s0, 63, v0
	v_cmp_lt_u32_e64 s1, 0x7f, v0
	;; [unrolled: 1-line block ×3, first 2 shown]
	v_lshrrev_b64 v[1:2], v1, -1
	v_cmp_lt_u32_e64 s3, 0xff, v0
	v_cmp_lt_u32_e64 s4, 0x13f, v0
	v_cmp_lt_u32_e64 s5, 0x17f, v0
	v_cmp_lt_u32_e64 s6, 0x1bf, v0
	v_cmp_lt_u32_e64 s7, 0x1ff, v0
	v_cmp_lt_u32_e64 s8, 0x23f, v0
	v_cmp_lt_u32_e64 s9, 0x27f, v0
	v_cmp_lt_u32_e64 s10, 0x2bf, v0
	v_cmp_lt_u32_e64 s11, 0x2ff, v0
	v_cmp_lt_u32_e64 s12, 0x33f, v0
	v_cmp_lt_u32_e64 s13, 0x37f, v0
	v_cmp_lt_u32_e64 s14, 0x3bf, v0
	v_add3_u32 v5, v16, 0, 0x8000
	v_or_b32_e32 v6, 0xfffffc00, v0
	v_mov_b32_e32 v8, s38
	s_mov_b32 s19, 0
	s_add_i32 s25, 0, 0x18000
	s_add_i32 s27, 0, 0x18004
	;; [unrolled: 1-line block ×15, first 2 shown]
	s_waitcnt lgkmcnt(0)
	s_barrier
	buffer_gl0_inv
	s_branch .LBB38_51
.LBB38_50:                              ;   in Loop: Header=BB38_51 Depth=1
	s_or_b32 exec_lo, exec_lo, s15
	s_waitcnt lgkmcnt(0)
	s_barrier
	buffer_gl0_inv
	ds_load_b32 v2, v8
	v_add_nc_u32_e32 v6, 0x400, v6
	v_add_nc_u32_e32 v5, 0x2000, v5
	;; [unrolled: 1-line block ×3, first 2 shown]
	s_delay_alu instid0(VALU_DEP_3) | instskip(NEXT) | instid1(VALU_DEP_1)
	v_cmp_lt_u32_e64 s15, 0x1bff, v6
	s_or_b32 s19, s15, s19
	s_waitcnt lgkmcnt(0)
	v_add_nc_u32_e32 v7, v2, v7
	s_and_not1_b32 exec_lo, exec_lo, s19
	s_cbranch_execz .LBB38_85
.LBB38_51:                              ; =>This Inner Loop Header: Depth=1
	ds_load_b32 v9, v15
	ds_load_b64 v[2:3], v5
	s_waitcnt lgkmcnt(0)
	s_barrier
	buffer_gl0_inv
	v_cmp_gt_i32_e64 s15, s26, v9
	s_delay_alu instid0(VALU_DEP_1) | instskip(NEXT) | instid1(SALU_CYCLE_1)
	s_bcnt1_i32_b32 s43, s15
	v_dual_mov_b32 v11, s43 :: v_dual_and_b32 v10, s15, v1
	s_delay_alu instid0(VALU_DEP_1)
	v_bcnt_u32_b32 v10, v10, 0
	ds_store_b32 v4, v11
	s_waitcnt lgkmcnt(0)
	s_barrier
	buffer_gl0_inv
	s_and_saveexec_b32 s43, s0
	s_cbranch_execnz .LBB38_68
; %bb.52:                               ;   in Loop: Header=BB38_51 Depth=1
	s_or_b32 exec_lo, exec_lo, s43
	s_and_saveexec_b32 s43, s1
	s_cbranch_execnz .LBB38_69
.LBB38_53:                              ;   in Loop: Header=BB38_51 Depth=1
	s_or_b32 exec_lo, exec_lo, s43
	s_and_saveexec_b32 s43, s2
	s_cbranch_execnz .LBB38_70
.LBB38_54:                              ;   in Loop: Header=BB38_51 Depth=1
	s_or_b32 exec_lo, exec_lo, s43
	s_and_saveexec_b32 s43, s3
	s_cbranch_execnz .LBB38_71
.LBB38_55:                              ;   in Loop: Header=BB38_51 Depth=1
	s_or_b32 exec_lo, exec_lo, s43
	s_and_saveexec_b32 s43, s4
	s_cbranch_execnz .LBB38_72
.LBB38_56:                              ;   in Loop: Header=BB38_51 Depth=1
	s_or_b32 exec_lo, exec_lo, s43
	s_and_saveexec_b32 s43, s5
	s_cbranch_execnz .LBB38_73
.LBB38_57:                              ;   in Loop: Header=BB38_51 Depth=1
	s_or_b32 exec_lo, exec_lo, s43
	s_and_saveexec_b32 s43, s6
	s_cbranch_execnz .LBB38_74
.LBB38_58:                              ;   in Loop: Header=BB38_51 Depth=1
	s_or_b32 exec_lo, exec_lo, s43
	s_and_saveexec_b32 s43, s7
	s_cbranch_execnz .LBB38_75
.LBB38_59:                              ;   in Loop: Header=BB38_51 Depth=1
	s_or_b32 exec_lo, exec_lo, s43
	s_and_saveexec_b32 s43, s8
	s_cbranch_execnz .LBB38_76
.LBB38_60:                              ;   in Loop: Header=BB38_51 Depth=1
	s_or_b32 exec_lo, exec_lo, s43
	s_and_saveexec_b32 s43, s9
	s_cbranch_execnz .LBB38_77
.LBB38_61:                              ;   in Loop: Header=BB38_51 Depth=1
	s_or_b32 exec_lo, exec_lo, s43
	s_and_saveexec_b32 s43, s10
	s_cbranch_execnz .LBB38_78
.LBB38_62:                              ;   in Loop: Header=BB38_51 Depth=1
	s_or_b32 exec_lo, exec_lo, s43
	s_and_saveexec_b32 s43, s11
	s_cbranch_execnz .LBB38_79
.LBB38_63:                              ;   in Loop: Header=BB38_51 Depth=1
	s_or_b32 exec_lo, exec_lo, s43
	s_and_saveexec_b32 s43, s12
	s_cbranch_execnz .LBB38_80
.LBB38_64:                              ;   in Loop: Header=BB38_51 Depth=1
	s_or_b32 exec_lo, exec_lo, s43
	s_and_saveexec_b32 s43, s13
	s_cbranch_execnz .LBB38_81
.LBB38_65:                              ;   in Loop: Header=BB38_51 Depth=1
	s_or_b32 exec_lo, exec_lo, s43
	s_and_saveexec_b32 s43, s14
	s_cbranch_execnz .LBB38_82
.LBB38_66:                              ;   in Loop: Header=BB38_51 Depth=1
	s_or_b32 exec_lo, exec_lo, s43
	s_and_saveexec_b32 s43, s15
	s_cbranch_execnz .LBB38_83
.LBB38_67:                              ;   in Loop: Header=BB38_51 Depth=1
	s_or_b32 exec_lo, exec_lo, s43
	s_and_saveexec_b32 s15, vcc_lo
	s_cbranch_execz .LBB38_50
	s_branch .LBB38_84
.LBB38_68:                              ;   in Loop: Header=BB38_51 Depth=1
	v_mov_b32_e32 v11, s25
	ds_load_b32 v11, v11
	s_waitcnt lgkmcnt(0)
	v_add_nc_u32_e32 v10, v11, v10
	s_or_b32 exec_lo, exec_lo, s43
	s_and_saveexec_b32 s43, s1
	s_cbranch_execz .LBB38_53
.LBB38_69:                              ;   in Loop: Header=BB38_51 Depth=1
	v_mov_b32_e32 v11, s27
	ds_load_b32 v11, v11
	s_waitcnt lgkmcnt(0)
	v_add_nc_u32_e32 v10, v11, v10
	s_or_b32 exec_lo, exec_lo, s43
	s_and_saveexec_b32 s43, s2
	s_cbranch_execz .LBB38_54
.LBB38_70:                              ;   in Loop: Header=BB38_51 Depth=1
	v_mov_b32_e32 v11, s28
	ds_load_b32 v11, v11
	s_waitcnt lgkmcnt(0)
	v_add_nc_u32_e32 v10, v11, v10
	s_or_b32 exec_lo, exec_lo, s43
	s_and_saveexec_b32 s43, s3
	s_cbranch_execz .LBB38_55
.LBB38_71:                              ;   in Loop: Header=BB38_51 Depth=1
	v_mov_b32_e32 v11, s29
	ds_load_b32 v11, v11
	s_waitcnt lgkmcnt(0)
	v_add_nc_u32_e32 v10, v11, v10
	s_or_b32 exec_lo, exec_lo, s43
	s_and_saveexec_b32 s43, s4
	s_cbranch_execz .LBB38_56
.LBB38_72:                              ;   in Loop: Header=BB38_51 Depth=1
	v_mov_b32_e32 v11, s30
	ds_load_b32 v11, v11
	s_waitcnt lgkmcnt(0)
	v_add_nc_u32_e32 v10, v11, v10
	s_or_b32 exec_lo, exec_lo, s43
	s_and_saveexec_b32 s43, s5
	s_cbranch_execz .LBB38_57
.LBB38_73:                              ;   in Loop: Header=BB38_51 Depth=1
	v_mov_b32_e32 v11, s31
	ds_load_b32 v11, v11
	s_waitcnt lgkmcnt(0)
	v_add_nc_u32_e32 v10, v11, v10
	s_or_b32 exec_lo, exec_lo, s43
	s_and_saveexec_b32 s43, s6
	s_cbranch_execz .LBB38_58
.LBB38_74:                              ;   in Loop: Header=BB38_51 Depth=1
	v_mov_b32_e32 v11, s33
	ds_load_b32 v11, v11
	s_waitcnt lgkmcnt(0)
	v_add_nc_u32_e32 v10, v11, v10
	s_or_b32 exec_lo, exec_lo, s43
	s_and_saveexec_b32 s43, s7
	s_cbranch_execz .LBB38_59
.LBB38_75:                              ;   in Loop: Header=BB38_51 Depth=1
	v_mov_b32_e32 v11, s34
	ds_load_b32 v11, v11
	s_waitcnt lgkmcnt(0)
	v_add_nc_u32_e32 v10, v11, v10
	s_or_b32 exec_lo, exec_lo, s43
	s_and_saveexec_b32 s43, s8
	s_cbranch_execz .LBB38_60
.LBB38_76:                              ;   in Loop: Header=BB38_51 Depth=1
	v_mov_b32_e32 v11, s35
	ds_load_b32 v11, v11
	s_waitcnt lgkmcnt(0)
	v_add_nc_u32_e32 v10, v11, v10
	s_or_b32 exec_lo, exec_lo, s43
	s_and_saveexec_b32 s43, s9
	s_cbranch_execz .LBB38_61
.LBB38_77:                              ;   in Loop: Header=BB38_51 Depth=1
	v_mov_b32_e32 v11, s36
	ds_load_b32 v11, v11
	s_waitcnt lgkmcnt(0)
	v_add_nc_u32_e32 v10, v11, v10
	s_or_b32 exec_lo, exec_lo, s43
	s_and_saveexec_b32 s43, s10
	s_cbranch_execz .LBB38_62
.LBB38_78:                              ;   in Loop: Header=BB38_51 Depth=1
	v_mov_b32_e32 v11, s37
	ds_load_b32 v11, v11
	s_waitcnt lgkmcnt(0)
	v_add_nc_u32_e32 v10, v11, v10
	s_or_b32 exec_lo, exec_lo, s43
	s_and_saveexec_b32 s43, s11
	s_cbranch_execz .LBB38_63
.LBB38_79:                              ;   in Loop: Header=BB38_51 Depth=1
	v_mov_b32_e32 v11, s39
	ds_load_b32 v11, v11
	s_waitcnt lgkmcnt(0)
	v_add_nc_u32_e32 v10, v11, v10
	s_or_b32 exec_lo, exec_lo, s43
	s_and_saveexec_b32 s43, s12
	s_cbranch_execz .LBB38_64
.LBB38_80:                              ;   in Loop: Header=BB38_51 Depth=1
	v_mov_b32_e32 v11, s40
	ds_load_b32 v11, v11
	s_waitcnt lgkmcnt(0)
	v_add_nc_u32_e32 v10, v11, v10
	s_or_b32 exec_lo, exec_lo, s43
	s_and_saveexec_b32 s43, s13
	s_cbranch_execz .LBB38_65
.LBB38_81:                              ;   in Loop: Header=BB38_51 Depth=1
	v_mov_b32_e32 v11, s41
	ds_load_b32 v11, v11
	s_waitcnt lgkmcnt(0)
	v_add_nc_u32_e32 v10, v11, v10
	s_or_b32 exec_lo, exec_lo, s43
	s_and_saveexec_b32 s43, s14
	s_cbranch_execz .LBB38_66
.LBB38_82:                              ;   in Loop: Header=BB38_51 Depth=1
	v_mov_b32_e32 v11, s42
	ds_load_b32 v11, v11
	s_waitcnt lgkmcnt(0)
	v_add_nc_u32_e32 v10, v11, v10
	s_or_b32 exec_lo, exec_lo, s43
	s_and_saveexec_b32 s43, s15
	s_cbranch_execz .LBB38_67
.LBB38_83:                              ;   in Loop: Header=BB38_51 Depth=1
	s_delay_alu instid0(VALU_DEP_1) | instskip(NEXT) | instid1(VALU_DEP_1)
	v_add3_u32 v11, v7, -1, v10
	v_lshl_add_u32 v12, v11, 2, 0
	v_lshl_add_u32 v11, v11, 3, 0
	ds_store_b32 v12, v9
	ds_store_b64 v11, v[2:3] offset:32768
	s_or_b32 exec_lo, exec_lo, s43
	s_and_saveexec_b32 s15, vcc_lo
	s_cbranch_execz .LBB38_50
.LBB38_84:                              ;   in Loop: Header=BB38_51 Depth=1
	v_mov_b32_e32 v2, s38
	ds_store_b32 v2, v10
	s_branch .LBB38_50
.LBB38_85:
	s_or_b32 exec_lo, exec_lo, s19
	s_ashr_i32 s25, s24, 31
	s_mov_b32 s3, exec_lo
	s_lshl_b64 s[0:1], s[24:25], 2
	s_delay_alu instid0(SALU_CYCLE_1) | instskip(SKIP_4) | instid1(SALU_CYCLE_1)
	s_add_u32 s0, s20, s0
	s_addc_u32 s1, s21, s1
	s_load_b64 s[0:1], s[0:1], 0x0
	s_waitcnt lgkmcnt(0)
	s_sub_i32 s2, s1, s0
	v_cmpx_gt_i32_e64 s2, v0
	s_cbranch_execz .LBB38_95
; %bb.86:
	s_sub_i32 s3, s0, s18
	s_sub_i32 s0, s0, s1
	s_and_b32 s1, s2, 7
	s_cmp_lt_u32 s0, -7
	s_mov_b32 s7, 0
	s_cselect_b32 s4, -1, 0
	s_and_b32 s5, s2, -8
	s_cmp_lg_u32 s1, 0
	s_cselect_b32 s6, -1, 0
	s_branch .LBB38_88
.LBB38_87:                              ;   in Loop: Header=BB38_88 Depth=1
	s_delay_alu instid0(VALU_DEP_1) | instskip(SKIP_3) | instid1(VALU_DEP_3)
	v_ashrrev_i32_e32 v4, 31, v3
	v_add_nc_u32_e32 v0, 0x400, v0
	s_waitcnt lgkmcnt(1)
	v_add_nc_u32_e32 v8, s18, v5
	v_lshlrev_b64 v[6:7], 2, v[3:4]
	v_lshlrev_b64 v[3:4], 3, v[3:4]
	v_cmp_le_i32_e32 vcc_lo, s2, v0
	s_delay_alu instid0(VALU_DEP_3) | instskip(NEXT) | instid1(VALU_DEP_1)
	v_add_co_u32 v5, s0, s22, v6
	v_add_co_ci_u32_e64 v6, s0, s23, v7, s0
	s_delay_alu instid0(VALU_DEP_4) | instskip(NEXT) | instid1(VALU_DEP_1)
	v_add_co_u32 v3, s0, s16, v3
	v_add_co_ci_u32_e64 v4, s0, s17, v4, s0
	s_or_b32 s7, vcc_lo, s7
	global_store_b32 v[5:6], v8, off
	s_waitcnt lgkmcnt(0)
	global_store_b64 v[3:4], v[1:2], off
	s_and_not1_b32 exec_lo, exec_lo, s7
	s_cbranch_execz .LBB38_95
.LBB38_88:                              ; =>This Loop Header: Depth=1
                                        ;     Child Loop BB38_90 Depth 2
                                        ;     Child Loop BB38_94 Depth 2
	v_lshlrev_b32_e32 v1, 2, v0
	s_and_not1_b32 vcc_lo, exec_lo, s4
	s_mov_b32 s0, 0
	s_delay_alu instid0(VALU_DEP_1) | instskip(NEXT) | instid1(VALU_DEP_1)
	v_dual_mov_b32 v3, s3 :: v_dual_add_nc_u32 v2, 0, v1
	v_add_nc_u32_e32 v1, v2, v1
	ds_load_b32 v5, v2
	ds_load_b64 v[1:2], v1 offset:32768
	s_cbranch_vccnz .LBB38_92
; %bb.89:                               ;   in Loop: Header=BB38_88 Depth=1
	v_mov_b32_e32 v3, s3
	s_mov_b32 s8, 0
	s_set_inst_prefetch_distance 0x1
	.p2align	6
.LBB38_90:                              ;   Parent Loop BB38_88 Depth=1
                                        ; =>  This Inner Loop Header: Depth=2
	v_mov_b32_e32 v4, s8
	s_add_i32 s0, s0, 8
	s_add_i32 s8, s8, 32
	s_cmp_eq_u32 s5, s0
	ds_load_2addr_b32 v[6:7], v4 offset1:1
	ds_load_2addr_b32 v[8:9], v4 offset0:2 offset1:3
	ds_load_2addr_b32 v[10:11], v4 offset0:4 offset1:5
	;; [unrolled: 1-line block ×3, first 2 shown]
	s_waitcnt lgkmcnt(3)
	v_cmp_gt_i32_e32 vcc_lo, v5, v6
	v_cndmask_b32_e64 v4, 0, 1, vcc_lo
	s_waitcnt lgkmcnt(2)
	v_cmp_gt_i32_e32 vcc_lo, v5, v8
	v_cndmask_b32_e64 v6, 0, 1, vcc_lo
	v_cmp_gt_i32_e32 vcc_lo, v5, v7
	v_add_co_ci_u32_e32 v3, vcc_lo, v3, v4, vcc_lo
	s_waitcnt lgkmcnt(1)
	v_cmp_gt_i32_e32 vcc_lo, v5, v10
	v_cndmask_b32_e64 v4, 0, 1, vcc_lo
	v_cmp_gt_i32_e32 vcc_lo, v5, v9
	v_add_co_ci_u32_e32 v3, vcc_lo, v3, v6, vcc_lo
	;; [unrolled: 5-line block ×3, first 2 shown]
	v_cmp_gt_i32_e32 vcc_lo, v5, v13
	s_delay_alu instid0(VALU_DEP_2)
	v_add_co_ci_u32_e32 v3, vcc_lo, v3, v6, vcc_lo
	s_cbranch_scc0 .LBB38_90
; %bb.91:                               ;   in Loop: Header=BB38_88 Depth=1
	s_set_inst_prefetch_distance 0x2
	s_mov_b32 s0, s5
.LBB38_92:                              ;   in Loop: Header=BB38_88 Depth=1
	s_and_not1_b32 vcc_lo, exec_lo, s6
	s_cbranch_vccnz .LBB38_87
; %bb.93:                               ;   in Loop: Header=BB38_88 Depth=1
	s_lshl_b32 s0, s0, 2
	s_mov_b32 s8, s1
	s_add_i32 s0, s0, 0
.LBB38_94:                              ;   Parent Loop BB38_88 Depth=1
                                        ; =>  This Inner Loop Header: Depth=2
	s_delay_alu instid0(SALU_CYCLE_1)
	v_mov_b32_e32 v4, s0
	s_add_i32 s8, s8, -1
	s_add_i32 s0, s0, 4
	s_cmp_lg_u32 s8, 0
	ds_load_b32 v4, v4
	s_waitcnt lgkmcnt(0)
	v_cmp_gt_i32_e32 vcc_lo, v5, v4
	v_add_co_ci_u32_e32 v3, vcc_lo, 0, v3, vcc_lo
	s_cbranch_scc1 .LBB38_94
	s_branch .LBB38_87
.LBB38_95:
	s_nop 0
	s_sendmsg sendmsg(MSG_DEALLOC_VGPRS)
	s_endpgm
	.section	.rodata,"a",@progbits
	.p2align	6, 0x0
	.amdhsa_kernel _ZN9rocsparseL26csrgemm_fill_block_per_rowILj1024ELj64ELj8192ELj137ELj64EiidEEvT5_PKS1_S3_NS_24const_host_device_scalarIT6_EEPKT4_S3_PKS5_S9_S3_SB_S6_S9_S3_SB_S9_PS1_PS5_21rocsparse_index_base_SE_SE_SE_bbb
		.amdhsa_group_segment_fixed_size 0
		.amdhsa_private_segment_fixed_size 0
		.amdhsa_kernarg_size 156
		.amdhsa_user_sgpr_count 15
		.amdhsa_user_sgpr_dispatch_ptr 0
		.amdhsa_user_sgpr_queue_ptr 0
		.amdhsa_user_sgpr_kernarg_segment_ptr 1
		.amdhsa_user_sgpr_dispatch_id 0
		.amdhsa_user_sgpr_private_segment_size 0
		.amdhsa_wavefront_size32 1
		.amdhsa_uses_dynamic_stack 0
		.amdhsa_enable_private_segment 0
		.amdhsa_system_sgpr_workgroup_id_x 1
		.amdhsa_system_sgpr_workgroup_id_y 0
		.amdhsa_system_sgpr_workgroup_id_z 0
		.amdhsa_system_sgpr_workgroup_info 0
		.amdhsa_system_vgpr_workitem_id 0
		.amdhsa_next_free_vgpr 23
		.amdhsa_next_free_sgpr 44
		.amdhsa_reserve_vcc 1
		.amdhsa_float_round_mode_32 0
		.amdhsa_float_round_mode_16_64 0
		.amdhsa_float_denorm_mode_32 3
		.amdhsa_float_denorm_mode_16_64 3
		.amdhsa_dx10_clamp 1
		.amdhsa_ieee_mode 1
		.amdhsa_fp16_overflow 0
		.amdhsa_workgroup_processor_mode 1
		.amdhsa_memory_ordered 1
		.amdhsa_forward_progress 0
		.amdhsa_shared_vgpr_count 0
		.amdhsa_exception_fp_ieee_invalid_op 0
		.amdhsa_exception_fp_denorm_src 0
		.amdhsa_exception_fp_ieee_div_zero 0
		.amdhsa_exception_fp_ieee_overflow 0
		.amdhsa_exception_fp_ieee_underflow 0
		.amdhsa_exception_fp_ieee_inexact 0
		.amdhsa_exception_int_div_zero 0
	.end_amdhsa_kernel
	.section	.text._ZN9rocsparseL26csrgemm_fill_block_per_rowILj1024ELj64ELj8192ELj137ELj64EiidEEvT5_PKS1_S3_NS_24const_host_device_scalarIT6_EEPKT4_S3_PKS5_S9_S3_SB_S6_S9_S3_SB_S9_PS1_PS5_21rocsparse_index_base_SE_SE_SE_bbb,"axG",@progbits,_ZN9rocsparseL26csrgemm_fill_block_per_rowILj1024ELj64ELj8192ELj137ELj64EiidEEvT5_PKS1_S3_NS_24const_host_device_scalarIT6_EEPKT4_S3_PKS5_S9_S3_SB_S6_S9_S3_SB_S9_PS1_PS5_21rocsparse_index_base_SE_SE_SE_bbb,comdat
.Lfunc_end38:
	.size	_ZN9rocsparseL26csrgemm_fill_block_per_rowILj1024ELj64ELj8192ELj137ELj64EiidEEvT5_PKS1_S3_NS_24const_host_device_scalarIT6_EEPKT4_S3_PKS5_S9_S3_SB_S6_S9_S3_SB_S9_PS1_PS5_21rocsparse_index_base_SE_SE_SE_bbb, .Lfunc_end38-_ZN9rocsparseL26csrgemm_fill_block_per_rowILj1024ELj64ELj8192ELj137ELj64EiidEEvT5_PKS1_S3_NS_24const_host_device_scalarIT6_EEPKT4_S3_PKS5_S9_S3_SB_S6_S9_S3_SB_S9_PS1_PS5_21rocsparse_index_base_SE_SE_SE_bbb
                                        ; -- End function
	.section	.AMDGPU.csdata,"",@progbits
; Kernel info:
; codeLenInByte = 3792
; NumSgprs: 46
; NumVgprs: 23
; ScratchSize: 0
; MemoryBound: 0
; FloatMode: 240
; IeeeMode: 1
; LDSByteSize: 0 bytes/workgroup (compile time only)
; SGPRBlocks: 5
; VGPRBlocks: 2
; NumSGPRsForWavesPerEU: 46
; NumVGPRsForWavesPerEU: 23
; Occupancy: 16
; WaveLimiterHint : 1
; COMPUTE_PGM_RSRC2:SCRATCH_EN: 0
; COMPUTE_PGM_RSRC2:USER_SGPR: 15
; COMPUTE_PGM_RSRC2:TRAP_HANDLER: 0
; COMPUTE_PGM_RSRC2:TGID_X_EN: 1
; COMPUTE_PGM_RSRC2:TGID_Y_EN: 0
; COMPUTE_PGM_RSRC2:TGID_Z_EN: 0
; COMPUTE_PGM_RSRC2:TIDIG_COMP_CNT: 0
	.section	.text._ZN9rocsparseL26csrgemm_fill_block_per_rowILj1024ELj64ELj16384ELj137ELj32EiidEEvT5_PKS1_S3_NS_24const_host_device_scalarIT6_EEPKT4_S3_PKS5_S9_S3_SB_S6_S9_S3_SB_S9_PS1_PS5_21rocsparse_index_base_SE_SE_SE_bbb,"axG",@progbits,_ZN9rocsparseL26csrgemm_fill_block_per_rowILj1024ELj64ELj16384ELj137ELj32EiidEEvT5_PKS1_S3_NS_24const_host_device_scalarIT6_EEPKT4_S3_PKS5_S9_S3_SB_S6_S9_S3_SB_S9_PS1_PS5_21rocsparse_index_base_SE_SE_SE_bbb,comdat
	.globl	_ZN9rocsparseL26csrgemm_fill_block_per_rowILj1024ELj64ELj16384ELj137ELj32EiidEEvT5_PKS1_S3_NS_24const_host_device_scalarIT6_EEPKT4_S3_PKS5_S9_S3_SB_S6_S9_S3_SB_S9_PS1_PS5_21rocsparse_index_base_SE_SE_SE_bbb ; -- Begin function _ZN9rocsparseL26csrgemm_fill_block_per_rowILj1024ELj64ELj16384ELj137ELj32EiidEEvT5_PKS1_S3_NS_24const_host_device_scalarIT6_EEPKT4_S3_PKS5_S9_S3_SB_S6_S9_S3_SB_S9_PS1_PS5_21rocsparse_index_base_SE_SE_SE_bbb
	.p2align	8
	.type	_ZN9rocsparseL26csrgemm_fill_block_per_rowILj1024ELj64ELj16384ELj137ELj32EiidEEvT5_PKS1_S3_NS_24const_host_device_scalarIT6_EEPKT4_S3_PKS5_S9_S3_SB_S6_S9_S3_SB_S9_PS1_PS5_21rocsparse_index_base_SE_SE_SE_bbb,@function
_ZN9rocsparseL26csrgemm_fill_block_per_rowILj1024ELj64ELj16384ELj137ELj32EiidEEvT5_PKS1_S3_NS_24const_host_device_scalarIT6_EEPKT4_S3_PKS5_S9_S3_SB_S6_S9_S3_SB_S9_PS1_PS5_21rocsparse_index_base_SE_SE_SE_bbb: ; @_ZN9rocsparseL26csrgemm_fill_block_per_rowILj1024ELj64ELj16384ELj137ELj32EiidEEvT5_PKS1_S3_NS_24const_host_device_scalarIT6_EEPKT4_S3_PKS5_S9_S3_SB_S6_S9_S3_SB_S9_PS1_PS5_21rocsparse_index_base_SE_SE_SE_bbb
; %bb.0:
	s_clause 0x3
	s_load_b32 s12, s[0:1], 0x98
	s_load_b64 s[4:5], s[0:1], 0x18
	s_load_b128 s[44:47], s[0:1], 0x88
	s_load_b64 s[2:3], s[0:1], 0x50
	s_waitcnt lgkmcnt(0)
	s_and_b32 s6, 1, s12
	s_bitcmp1_b32 s12, 16
	s_cselect_b32 s14, -1, 0
	s_cmp_eq_u32 s6, 1
	s_cselect_b32 s13, -1, 0
	s_delay_alu instid0(SALU_CYCLE_1)
	s_and_b32 s6, s13, exec_lo
	s_cselect_b32 s7, s5, 0
	s_cselect_b32 s6, s4, 0
	s_xor_b32 s8, s13, -1
	v_dual_mov_b32 v3, s6 :: v_dual_mov_b32 v4, s7
	s_or_b32 s8, s8, s14
	s_delay_alu instid0(SALU_CYCLE_1)
	s_and_b32 vcc_lo, exec_lo, s8
	s_cbranch_vccnz .LBB39_2
; %bb.1:
	v_dual_mov_b32 v1, s4 :: v_dual_mov_b32 v2, s5
	flat_load_b64 v[3:4], v[1:2]
.LBB39_2:
	s_clause 0x4
	s_load_b128 s[48:51], s[0:1], 0x78
	s_load_b256 s[36:43], s[0:1], 0x58
	s_load_b128 s[16:19], s[0:1], 0x40
	s_load_b128 s[20:23], s[0:1], 0x8
	s_load_b256 s[4:11], s[0:1], 0x20
	s_bitcmp1_b32 s12, 8
	s_cselect_b32 s12, -1, 0
	s_delay_alu instid0(SALU_CYCLE_1)
	s_and_b32 s24, s12, exec_lo
	s_cselect_b32 s25, s3, 0
	s_cselect_b32 s24, s2, 0
	s_xor_b32 s26, s12, -1
	v_dual_mov_b32 v1, s24 :: v_dual_mov_b32 v2, s25
	s_or_b32 s14, s26, s14
	s_delay_alu instid0(SALU_CYCLE_1)
	s_and_b32 vcc_lo, exec_lo, s14
	s_cbranch_vccnz .LBB39_4
; %bb.3:
	v_dual_mov_b32 v1, s2 :: v_dual_mov_b32 v2, s3
	flat_load_b64 v[1:2], v[1:2]
.LBB39_4:
	s_load_b32 s33, s[0:1], 0x0
	v_dual_mov_b32 v5, 0 :: v_dual_lshlrev_b32 v6, 3, v0
	v_lshl_add_u32 v15, v0, 2, 0
	v_or_b32_e32 v17, 0xfffffc00, v0
	s_mov_b32 s0, 0
	s_delay_alu instid0(VALU_DEP_3) | instskip(NEXT) | instid1(VALU_DEP_3)
	v_add3_u32 v16, v6, 0, 0x10000
	v_dual_mov_b32 v6, v5 :: v_dual_mov_b32 v7, v15
	s_delay_alu instid0(VALU_DEP_3) | instskip(SKIP_1) | instid1(VALU_DEP_3)
	v_mov_b32_e32 v10, v17
	s_waitcnt lgkmcnt(0)
	v_dual_mov_b32 v8, v16 :: v_dual_mov_b32 v9, s33
.LBB39_5:                               ; =>This Inner Loop Header: Depth=1
	s_delay_alu instid0(VALU_DEP_2)
	v_add_nc_u32_e32 v10, 0x400, v10
	ds_store_b32 v7, v9
	ds_store_b64 v8, v[5:6]
	v_add_nc_u32_e32 v8, 0x2000, v8
	v_add_nc_u32_e32 v7, 0x1000, v7
	v_cmp_lt_u32_e32 vcc_lo, 0x3bff, v10
	s_or_b32 s0, vcc_lo, s0
	s_delay_alu instid0(SALU_CYCLE_1)
	s_and_not1_b32 exec_lo, exec_lo, s0
	s_cbranch_execnz .LBB39_5
; %bb.6:
	s_or_b32 exec_lo, exec_lo, s0
	s_waitcnt vmcnt(0) lgkmcnt(0)
	s_barrier
	buffer_gl0_inv
	s_load_b32 s0, s[20:21], 0x0
	s_mov_b32 s1, 0
	s_waitcnt lgkmcnt(0)
	s_add_i32 s0, s0, s15
	s_delay_alu instid0(SALU_CYCLE_1) | instskip(NEXT) | instid1(SALU_CYCLE_1)
	s_lshl_b64 s[0:1], s[0:1], 2
	s_add_u32 s0, s22, s0
	s_addc_u32 s1, s23, s1
	s_and_b32 vcc_lo, exec_lo, s13
	s_load_b32 s34, s[0:1], 0x0
	s_cbranch_vccz .LBB39_30
; %bb.7:
	s_waitcnt lgkmcnt(0)
	s_ashr_i32 s35, s34, 31
	v_lshrrev_b32_e32 v5, 6, v0
	s_lshl_b64 s[0:1], s[34:35], 2
	s_delay_alu instid0(SALU_CYCLE_1) | instskip(SKIP_1) | instid1(VALU_DEP_1)
	s_add_u32 s0, s4, s0
	s_addc_u32 s1, s5, s1
	v_subrev_nc_u32_e32 v5, s44, v5
	s_load_b64 s[0:1], s[0:1], 0x0
	s_waitcnt lgkmcnt(0)
	s_delay_alu instid0(VALU_DEP_1) | instskip(SKIP_2) | instid1(VALU_DEP_1)
	v_add_nc_u32_e32 v5, s0, v5
	s_sub_i32 s0, s1, s44
	s_mov_b32 s1, exec_lo
	v_cmpx_gt_i32_e64 s0, v5
	s_cbranch_execz .LBB39_29
; %bb.8:
	v_and_b32_e32 v6, 63, v0
	s_mov_b32 s2, 0
	s_delay_alu instid0(VALU_DEP_1)
	v_subrev_nc_u32_e32 v18, s45, v6
	s_branch .LBB39_10
.LBB39_9:                               ;   in Loop: Header=BB39_10 Depth=1
	s_or_b32 exec_lo, exec_lo, s3
	v_add_nc_u32_e32 v5, 16, v5
	s_delay_alu instid0(VALU_DEP_1) | instskip(SKIP_1) | instid1(SALU_CYCLE_1)
	v_cmp_le_i32_e32 vcc_lo, s0, v5
	s_or_b32 s2, vcc_lo, s2
	s_and_not1_b32 exec_lo, exec_lo, s2
	s_cbranch_execz .LBB39_29
.LBB39_10:                              ; =>This Loop Header: Depth=1
                                        ;     Child Loop BB39_13 Depth 2
                                        ;       Child Loop BB39_15 Depth 3
                                        ;         Child Loop BB39_21 Depth 4
                                        ;         Child Loop BB39_27 Depth 4
	v_ashrrev_i32_e32 v6, 31, v5
	s_mov_b32 s3, exec_lo
	s_delay_alu instid0(VALU_DEP_1) | instskip(NEXT) | instid1(VALU_DEP_1)
	v_lshlrev_b64 v[7:8], 2, v[5:6]
	v_add_co_u32 v7, vcc_lo, s6, v7
	s_delay_alu instid0(VALU_DEP_2) | instskip(SKIP_3) | instid1(VALU_DEP_1)
	v_add_co_ci_u32_e32 v8, vcc_lo, s7, v8, vcc_lo
	global_load_b32 v7, v[7:8], off
	s_waitcnt vmcnt(0)
	v_subrev_nc_u32_e32 v7, s44, v7
	v_ashrrev_i32_e32 v8, 31, v7
	s_delay_alu instid0(VALU_DEP_1) | instskip(NEXT) | instid1(VALU_DEP_1)
	v_lshlrev_b64 v[7:8], 2, v[7:8]
	v_add_co_u32 v7, vcc_lo, s10, v7
	s_delay_alu instid0(VALU_DEP_2) | instskip(SKIP_4) | instid1(VALU_DEP_1)
	v_add_co_ci_u32_e32 v8, vcc_lo, s11, v8, vcc_lo
	global_load_b64 v[7:8], v[7:8], off
	s_waitcnt vmcnt(0)
	v_subrev_nc_u32_e32 v19, s45, v8
	v_add_nc_u32_e32 v7, v7, v18
	v_cmpx_lt_i32_e64 v7, v19
	s_cbranch_execz .LBB39_9
; %bb.11:                               ;   in Loop: Header=BB39_10 Depth=1
	v_lshlrev_b64 v[8:9], 3, v[5:6]
	s_mov_b32 s4, 0
	s_delay_alu instid0(VALU_DEP_1) | instskip(NEXT) | instid1(VALU_DEP_2)
	v_add_co_u32 v8, vcc_lo, s8, v8
	v_add_co_ci_u32_e32 v9, vcc_lo, s9, v9, vcc_lo
	global_load_b64 v[8:9], v[8:9], off
	s_waitcnt vmcnt(0)
	v_mul_f64 v[9:10], v[3:4], v[8:9]
	s_branch .LBB39_13
.LBB39_12:                              ;   in Loop: Header=BB39_13 Depth=2
	s_or_b32 exec_lo, exec_lo, s5
	v_add_nc_u32_e32 v7, 64, v7
	s_delay_alu instid0(VALU_DEP_1) | instskip(SKIP_1) | instid1(SALU_CYCLE_1)
	v_cmp_ge_i32_e32 vcc_lo, v7, v19
	s_or_b32 s4, vcc_lo, s4
	s_and_not1_b32 exec_lo, exec_lo, s4
	s_cbranch_execz .LBB39_9
.LBB39_13:                              ;   Parent Loop BB39_10 Depth=1
                                        ; =>  This Loop Header: Depth=2
                                        ;       Child Loop BB39_15 Depth 3
                                        ;         Child Loop BB39_21 Depth 4
                                        ;         Child Loop BB39_27 Depth 4
	v_ashrrev_i32_e32 v8, 31, v7
	s_mov_b32 s5, 0
	s_delay_alu instid0(VALU_DEP_1) | instskip(SKIP_1) | instid1(VALU_DEP_2)
	v_lshlrev_b64 v[11:12], 3, v[7:8]
	v_lshlrev_b64 v[13:14], 2, v[7:8]
	v_add_co_u32 v11, vcc_lo, s18, v11
	s_delay_alu instid0(VALU_DEP_3) | instskip(NEXT) | instid1(VALU_DEP_3)
	v_add_co_ci_u32_e32 v12, vcc_lo, s19, v12, vcc_lo
	v_add_co_u32 v13, vcc_lo, s16, v13
	s_delay_alu instid0(VALU_DEP_4)
	v_add_co_ci_u32_e32 v14, vcc_lo, s17, v14, vcc_lo
	global_load_b64 v[11:12], v[11:12], off
	global_load_b32 v6, v[13:14], off
	s_waitcnt vmcnt(1)
	v_mul_f64 v[11:12], v[9:10], v[11:12]
	s_waitcnt vmcnt(0)
	v_subrev_nc_u32_e32 v6, s45, v6
	s_delay_alu instid0(VALU_DEP_1) | instskip(NEXT) | instid1(VALU_DEP_1)
	v_mul_lo_u32 v8, 0x89, v6
	v_and_b32_e32 v8, 0x3fff, v8
	s_branch .LBB39_15
.LBB39_14:                              ;   in Loop: Header=BB39_15 Depth=3
	s_or_b32 exec_lo, exec_lo, s13
	s_xor_b32 s13, s14, -1
	s_delay_alu instid0(SALU_CYCLE_1) | instskip(NEXT) | instid1(SALU_CYCLE_1)
	s_and_b32 s13, exec_lo, s13
	s_or_b32 s5, s13, s5
	s_delay_alu instid0(SALU_CYCLE_1)
	s_and_not1_b32 exec_lo, exec_lo, s5
	s_cbranch_execz .LBB39_12
.LBB39_15:                              ;   Parent Loop BB39_10 Depth=1
                                        ;     Parent Loop BB39_13 Depth=2
                                        ; =>    This Loop Header: Depth=3
                                        ;         Child Loop BB39_21 Depth 4
                                        ;         Child Loop BB39_27 Depth 4
	s_delay_alu instid0(VALU_DEP_1)
	v_lshl_add_u32 v13, v8, 2, 0
	s_mov_b32 s13, exec_lo
                                        ; implicit-def: $sgpr14
	ds_load_b32 v14, v13
	s_waitcnt lgkmcnt(0)
	v_cmpx_ne_u32_e64 v14, v6
	s_xor_b32 s13, exec_lo, s13
	s_cbranch_execz .LBB39_25
; %bb.16:                               ;   in Loop: Header=BB39_15 Depth=3
	s_mov_b32 s15, exec_lo
                                        ; implicit-def: $sgpr14
	v_cmpx_ne_u32_e64 s33, v14
	s_xor_b32 s15, exec_lo, s15
; %bb.17:                               ;   in Loop: Header=BB39_15 Depth=3
	v_add_nc_u32_e32 v8, 1, v8
	s_mov_b32 s14, -1
                                        ; implicit-def: $vgpr13
	s_delay_alu instid0(VALU_DEP_1)
	v_and_b32_e32 v8, 0x3fff, v8
; %bb.18:                               ;   in Loop: Header=BB39_15 Depth=3
	s_and_not1_saveexec_b32 s15, s15
	s_cbranch_execz .LBB39_24
; %bb.19:                               ;   in Loop: Header=BB39_15 Depth=3
	v_mov_b32_e32 v14, s33
	s_mov_b32 s21, -1
	s_mov_b32 s20, exec_lo
	ds_cmpstore_rtn_b32 v13, v13, v6, v14
	s_waitcnt lgkmcnt(0)
	v_cmpx_eq_u32_e64 s33, v13
	s_cbranch_execz .LBB39_23
; %bb.20:                               ;   in Loop: Header=BB39_15 Depth=3
	v_lshlrev_b32_e32 v13, 3, v8
	s_mov_b32 s21, 0
	s_delay_alu instid0(VALU_DEP_1)
	v_add3_u32 v20, 0, v13, 0x10000
	ds_load_b64 v[13:14], v20
.LBB39_21:                              ;   Parent Loop BB39_10 Depth=1
                                        ;     Parent Loop BB39_13 Depth=2
                                        ;       Parent Loop BB39_15 Depth=3
                                        ; =>      This Inner Loop Header: Depth=4
	s_waitcnt lgkmcnt(0)
	v_add_f64 v[21:22], v[13:14], v[11:12]
	ds_cmpstore_rtn_b64 v[21:22], v20, v[21:22], v[13:14]
	s_waitcnt lgkmcnt(0)
	v_cmp_eq_u64_e32 vcc_lo, v[21:22], v[13:14]
	v_dual_mov_b32 v13, v21 :: v_dual_mov_b32 v14, v22
	s_or_b32 s21, vcc_lo, s21
	s_delay_alu instid0(SALU_CYCLE_1)
	s_and_not1_b32 exec_lo, exec_lo, s21
	s_cbranch_execnz .LBB39_21
; %bb.22:                               ;   in Loop: Header=BB39_15 Depth=3
	s_or_b32 exec_lo, exec_lo, s21
	s_delay_alu instid0(SALU_CYCLE_1)
	s_xor_b32 s21, exec_lo, -1
.LBB39_23:                              ;   in Loop: Header=BB39_15 Depth=3
	s_or_b32 exec_lo, exec_lo, s20
	s_delay_alu instid0(SALU_CYCLE_1) | instskip(SKIP_1) | instid1(SALU_CYCLE_1)
	s_and_not1_b32 s14, s14, exec_lo
	s_and_b32 s20, s21, exec_lo
	s_or_b32 s14, s14, s20
.LBB39_24:                              ;   in Loop: Header=BB39_15 Depth=3
	s_or_b32 exec_lo, exec_lo, s15
	s_delay_alu instid0(SALU_CYCLE_1)
	s_and_b32 s14, s14, exec_lo
.LBB39_25:                              ;   in Loop: Header=BB39_15 Depth=3
	s_and_not1_saveexec_b32 s13, s13
	s_cbranch_execz .LBB39_14
; %bb.26:                               ;   in Loop: Header=BB39_15 Depth=3
	v_lshlrev_b32_e32 v13, 3, v8
	s_mov_b32 s15, 0
	s_delay_alu instid0(VALU_DEP_1)
	v_add3_u32 v20, 0, v13, 0x10000
	ds_load_b64 v[13:14], v20
.LBB39_27:                              ;   Parent Loop BB39_10 Depth=1
                                        ;     Parent Loop BB39_13 Depth=2
                                        ;       Parent Loop BB39_15 Depth=3
                                        ; =>      This Inner Loop Header: Depth=4
	s_waitcnt lgkmcnt(0)
	v_add_f64 v[21:22], v[13:14], v[11:12]
	ds_cmpstore_rtn_b64 v[21:22], v20, v[21:22], v[13:14]
	s_waitcnt lgkmcnt(0)
	v_cmp_eq_u64_e32 vcc_lo, v[21:22], v[13:14]
	v_dual_mov_b32 v13, v21 :: v_dual_mov_b32 v14, v22
	s_or_b32 s15, vcc_lo, s15
	s_delay_alu instid0(SALU_CYCLE_1)
	s_and_not1_b32 exec_lo, exec_lo, s15
	s_cbranch_execnz .LBB39_27
; %bb.28:                               ;   in Loop: Header=BB39_15 Depth=3
	s_or_b32 exec_lo, exec_lo, s15
	s_delay_alu instid0(SALU_CYCLE_1)
	s_and_not1_b32 s14, s14, exec_lo
	s_branch .LBB39_14
.LBB39_29:
	s_or_b32 exec_lo, exec_lo, s1
.LBB39_30:
	s_delay_alu instid0(SALU_CYCLE_1)
	s_and_not1_b32 vcc_lo, exec_lo, s12
	s_cbranch_vccnz .LBB39_51
; %bb.31:
	s_waitcnt lgkmcnt(0)
	s_ashr_i32 s35, s34, 31
	v_subrev_nc_u32_e32 v3, s47, v0
	s_lshl_b64 s[0:1], s[34:35], 2
	s_delay_alu instid0(SALU_CYCLE_1)
	s_add_u32 s0, s36, s0
	s_addc_u32 s1, s37, s1
	s_load_b64 s[0:1], s[0:1], 0x0
	s_waitcnt lgkmcnt(0)
	v_add_nc_u32_e32 v3, s0, v3
	s_sub_i32 s0, s1, s47
	s_mov_b32 s1, exec_lo
	s_delay_alu instid0(VALU_DEP_1)
	v_cmpx_gt_i32_e64 s0, v3
	s_cbranch_execz .LBB39_50
; %bb.32:
	s_mov_b32 s2, 0
	s_branch .LBB39_34
.LBB39_33:                              ;   in Loop: Header=BB39_34 Depth=1
	s_or_b32 exec_lo, exec_lo, s3
	v_add_nc_u32_e32 v3, 0x400, v3
	s_delay_alu instid0(VALU_DEP_1) | instskip(SKIP_1) | instid1(SALU_CYCLE_1)
	v_cmp_le_i32_e32 vcc_lo, s0, v3
	s_or_b32 s2, vcc_lo, s2
	s_and_not1_b32 exec_lo, exec_lo, s2
	s_cbranch_execz .LBB39_50
.LBB39_34:                              ; =>This Loop Header: Depth=1
                                        ;     Child Loop BB39_36 Depth 2
                                        ;       Child Loop BB39_42 Depth 3
                                        ;       Child Loop BB39_48 Depth 3
	v_ashrrev_i32_e32 v4, 31, v3
	s_mov_b32 s3, 0
	s_delay_alu instid0(VALU_DEP_1) | instskip(SKIP_1) | instid1(VALU_DEP_2)
	v_lshlrev_b64 v[5:6], 3, v[3:4]
	v_lshlrev_b64 v[7:8], 2, v[3:4]
	v_add_co_u32 v5, vcc_lo, s40, v5
	s_delay_alu instid0(VALU_DEP_3) | instskip(NEXT) | instid1(VALU_DEP_3)
	v_add_co_ci_u32_e32 v6, vcc_lo, s41, v6, vcc_lo
	v_add_co_u32 v7, vcc_lo, s38, v7
	s_delay_alu instid0(VALU_DEP_4)
	v_add_co_ci_u32_e32 v8, vcc_lo, s39, v8, vcc_lo
	global_load_b64 v[5:6], v[5:6], off
	global_load_b32 v7, v[7:8], off
	s_waitcnt vmcnt(1)
	v_mul_f64 v[4:5], v[1:2], v[5:6]
	s_waitcnt vmcnt(0)
	v_subrev_nc_u32_e32 v8, s47, v7
	s_delay_alu instid0(VALU_DEP_1) | instskip(NEXT) | instid1(VALU_DEP_1)
	v_mul_lo_u32 v6, 0x89, v8
	v_and_b32_e32 v9, 0x3fff, v6
	s_branch .LBB39_36
.LBB39_35:                              ;   in Loop: Header=BB39_36 Depth=2
	s_or_b32 exec_lo, exec_lo, s4
	s_xor_b32 s4, s5, -1
	s_delay_alu instid0(SALU_CYCLE_1) | instskip(NEXT) | instid1(SALU_CYCLE_1)
	s_and_b32 s4, exec_lo, s4
	s_or_b32 s3, s4, s3
	s_delay_alu instid0(SALU_CYCLE_1)
	s_and_not1_b32 exec_lo, exec_lo, s3
	s_cbranch_execz .LBB39_33
.LBB39_36:                              ;   Parent Loop BB39_34 Depth=1
                                        ; =>  This Loop Header: Depth=2
                                        ;       Child Loop BB39_42 Depth 3
                                        ;       Child Loop BB39_48 Depth 3
	s_delay_alu instid0(VALU_DEP_1)
	v_lshl_add_u32 v6, v9, 2, 0
	s_mov_b32 s4, exec_lo
                                        ; implicit-def: $sgpr5
	ds_load_b32 v7, v6
	s_waitcnt lgkmcnt(0)
	v_cmpx_ne_u32_e64 v7, v8
	s_xor_b32 s4, exec_lo, s4
	s_cbranch_execz .LBB39_46
; %bb.37:                               ;   in Loop: Header=BB39_36 Depth=2
	s_mov_b32 s6, exec_lo
                                        ; implicit-def: $sgpr5
	v_cmpx_ne_u32_e64 s33, v7
	s_xor_b32 s6, exec_lo, s6
; %bb.38:                               ;   in Loop: Header=BB39_36 Depth=2
	v_add_nc_u32_e32 v6, 1, v9
	s_mov_b32 s5, -1
	s_delay_alu instid0(VALU_DEP_1)
	v_and_b32_e32 v9, 0x3fff, v6
                                        ; implicit-def: $vgpr6
; %bb.39:                               ;   in Loop: Header=BB39_36 Depth=2
	s_and_not1_saveexec_b32 s6, s6
	s_cbranch_execz .LBB39_45
; %bb.40:                               ;   in Loop: Header=BB39_36 Depth=2
	v_mov_b32_e32 v7, s33
	s_mov_b32 s8, -1
	s_mov_b32 s7, exec_lo
	ds_cmpstore_rtn_b32 v6, v6, v8, v7
	s_waitcnt lgkmcnt(0)
	v_cmpx_eq_u32_e64 s33, v6
	s_cbranch_execz .LBB39_44
; %bb.41:                               ;   in Loop: Header=BB39_36 Depth=2
	v_lshlrev_b32_e32 v6, 3, v9
	s_mov_b32 s8, 0
	s_delay_alu instid0(VALU_DEP_1)
	v_add3_u32 v10, 0, v6, 0x10000
	ds_load_b64 v[6:7], v10
.LBB39_42:                              ;   Parent Loop BB39_34 Depth=1
                                        ;     Parent Loop BB39_36 Depth=2
                                        ; =>    This Inner Loop Header: Depth=3
	s_waitcnt lgkmcnt(0)
	v_add_f64 v[11:12], v[6:7], v[4:5]
	ds_cmpstore_rtn_b64 v[11:12], v10, v[11:12], v[6:7]
	s_waitcnt lgkmcnt(0)
	v_cmp_eq_u64_e32 vcc_lo, v[11:12], v[6:7]
	v_dual_mov_b32 v6, v11 :: v_dual_mov_b32 v7, v12
	s_or_b32 s8, vcc_lo, s8
	s_delay_alu instid0(SALU_CYCLE_1)
	s_and_not1_b32 exec_lo, exec_lo, s8
	s_cbranch_execnz .LBB39_42
; %bb.43:                               ;   in Loop: Header=BB39_36 Depth=2
	s_or_b32 exec_lo, exec_lo, s8
	s_delay_alu instid0(SALU_CYCLE_1)
	s_xor_b32 s8, exec_lo, -1
.LBB39_44:                              ;   in Loop: Header=BB39_36 Depth=2
	s_or_b32 exec_lo, exec_lo, s7
	s_delay_alu instid0(SALU_CYCLE_1) | instskip(SKIP_1) | instid1(SALU_CYCLE_1)
	s_and_not1_b32 s5, s5, exec_lo
	s_and_b32 s7, s8, exec_lo
	s_or_b32 s5, s5, s7
.LBB39_45:                              ;   in Loop: Header=BB39_36 Depth=2
	s_or_b32 exec_lo, exec_lo, s6
	s_delay_alu instid0(SALU_CYCLE_1)
	s_and_b32 s5, s5, exec_lo
.LBB39_46:                              ;   in Loop: Header=BB39_36 Depth=2
	s_and_not1_saveexec_b32 s4, s4
	s_cbranch_execz .LBB39_35
; %bb.47:                               ;   in Loop: Header=BB39_36 Depth=2
	v_lshlrev_b32_e32 v6, 3, v9
	s_mov_b32 s6, 0
	s_delay_alu instid0(VALU_DEP_1)
	v_add3_u32 v10, 0, v6, 0x10000
	ds_load_b64 v[6:7], v10
.LBB39_48:                              ;   Parent Loop BB39_34 Depth=1
                                        ;     Parent Loop BB39_36 Depth=2
                                        ; =>    This Inner Loop Header: Depth=3
	s_waitcnt lgkmcnt(0)
	v_add_f64 v[11:12], v[6:7], v[4:5]
	ds_cmpstore_rtn_b64 v[11:12], v10, v[11:12], v[6:7]
	s_waitcnt lgkmcnt(0)
	v_cmp_eq_u64_e32 vcc_lo, v[11:12], v[6:7]
	v_dual_mov_b32 v6, v11 :: v_dual_mov_b32 v7, v12
	s_or_b32 s6, vcc_lo, s6
	s_delay_alu instid0(SALU_CYCLE_1)
	s_and_not1_b32 exec_lo, exec_lo, s6
	s_cbranch_execnz .LBB39_48
; %bb.49:                               ;   in Loop: Header=BB39_36 Depth=2
	s_or_b32 exec_lo, exec_lo, s6
	s_delay_alu instid0(SALU_CYCLE_1)
	s_and_not1_b32 s5, s5, exec_lo
	s_branch .LBB39_35
.LBB39_50:
	s_or_b32 exec_lo, exec_lo, s1
.LBB39_51:
	v_mbcnt_lo_u32_b32 v1, -1, 0
	v_lshrrev_b32_e32 v2, 3, v0
	s_add_i32 s70, 0, 0x3007c
	v_cmp_eq_u32_e32 vcc_lo, 0x3ff, v0
	v_cmp_lt_u32_e64 s0, 31, v0
	v_xor_b32_e32 v1, 63, v1
	v_dual_mov_b32 v6, s70 :: v_dual_and_b32 v3, 0x7c, v2
	v_cmp_lt_u32_e64 s1, 63, v0
	v_cmp_lt_u32_e64 s2, 0x5f, v0
	s_delay_alu instid0(VALU_DEP_4) | instskip(NEXT) | instid1(VALU_DEP_4)
	v_lshrrev_b64 v[1:2], v1, -1
	v_add3_u32 v4, 0, 0x30000, v3
	v_cmp_lt_u32_e64 s3, 0x7f, v0
	v_cmp_lt_u32_e64 s4, 0x9f, v0
	;; [unrolled: 1-line block ×28, first 2 shown]
	v_mov_b32_e32 v5, 0
	s_mov_b32 s35, 0
	s_add_i32 s36, 0, 0x30000
	s_add_i32 s37, 0, 0x30004
	s_add_i32 s38, 0, 0x30008
	s_add_i32 s39, 0, 0x3000c
	s_add_i32 s40, 0, 0x30010
	s_add_i32 s41, 0, 0x30014
	s_add_i32 s44, 0, 0x30018
	s_add_i32 s45, 0, 0x3001c
	s_add_i32 s47, 0, 0x30020
	s_add_i32 s52, 0, 0x30024
	s_add_i32 s53, 0, 0x30028
	s_add_i32 s54, 0, 0x3002c
	s_add_i32 s55, 0, 0x30030
	s_add_i32 s56, 0, 0x30034
	s_add_i32 s57, 0, 0x30038
	s_add_i32 s58, 0, 0x3003c
	s_add_i32 s59, 0, 0x30040
	s_add_i32 s60, 0, 0x30044
	s_add_i32 s61, 0, 0x30048
	s_add_i32 s62, 0, 0x3004c
	s_add_i32 s63, 0, 0x30050
	s_add_i32 s64, 0, 0x30054
	s_add_i32 s65, 0, 0x30058
	s_add_i32 s66, 0, 0x3005c
	s_add_i32 s67, 0, 0x30060
	s_add_i32 s68, 0, 0x30064
	s_add_i32 s69, 0, 0x30068
	s_add_i32 s71, 0, 0x3006c
	s_add_i32 s72, 0, 0x30070
	s_add_i32 s73, 0, 0x30074
	s_add_i32 s74, 0, 0x30078
	s_waitcnt lgkmcnt(0)
	s_barrier
	buffer_gl0_inv
	s_branch .LBB39_53
.LBB39_52:                              ;   in Loop: Header=BB39_53 Depth=1
	s_or_b32 exec_lo, exec_lo, s31
	s_waitcnt lgkmcnt(0)
	s_barrier
	buffer_gl0_inv
	ds_load_b32 v2, v6
	v_add_nc_u32_e32 v17, 0x400, v17
	v_add_nc_u32_e32 v16, 0x2000, v16
	v_add_nc_u32_e32 v15, 0x1000, v15
	s_delay_alu instid0(VALU_DEP_3) | instskip(NEXT) | instid1(VALU_DEP_1)
	v_cmp_lt_u32_e64 s31, 0x3bff, v17
	s_or_b32 s35, s31, s35
	s_waitcnt lgkmcnt(0)
	v_add_nc_u32_e32 v5, v2, v5
	s_and_not1_b32 exec_lo, exec_lo, s35
	s_cbranch_execz .LBB39_119
.LBB39_53:                              ; =>This Inner Loop Header: Depth=1
	ds_load_b32 v7, v15
	ds_load_b64 v[2:3], v16
	s_waitcnt lgkmcnt(0)
	s_barrier
	buffer_gl0_inv
	v_cmp_gt_i32_e64 s31, s33, v7
	s_delay_alu instid0(VALU_DEP_1) | instskip(NEXT) | instid1(SALU_CYCLE_1)
	s_bcnt1_i32_b32 s75, s31
	v_dual_mov_b32 v9, s75 :: v_dual_and_b32 v8, s31, v1
	s_delay_alu instid0(VALU_DEP_1)
	v_bcnt_u32_b32 v8, v8, 0
	ds_store_b32 v4, v9
	s_waitcnt lgkmcnt(0)
	s_barrier
	buffer_gl0_inv
	s_and_saveexec_b32 s75, s0
	s_cbranch_execnz .LBB39_86
; %bb.54:                               ;   in Loop: Header=BB39_53 Depth=1
	s_or_b32 exec_lo, exec_lo, s75
	s_and_saveexec_b32 s75, s1
	s_cbranch_execnz .LBB39_87
.LBB39_55:                              ;   in Loop: Header=BB39_53 Depth=1
	s_or_b32 exec_lo, exec_lo, s75
	s_and_saveexec_b32 s75, s2
	s_cbranch_execnz .LBB39_88
.LBB39_56:                              ;   in Loop: Header=BB39_53 Depth=1
	s_or_b32 exec_lo, exec_lo, s75
	s_and_saveexec_b32 s75, s3
	s_cbranch_execnz .LBB39_89
.LBB39_57:                              ;   in Loop: Header=BB39_53 Depth=1
	s_or_b32 exec_lo, exec_lo, s75
	s_and_saveexec_b32 s75, s4
	s_cbranch_execnz .LBB39_90
.LBB39_58:                              ;   in Loop: Header=BB39_53 Depth=1
	s_or_b32 exec_lo, exec_lo, s75
	s_and_saveexec_b32 s75, s5
	s_cbranch_execnz .LBB39_91
.LBB39_59:                              ;   in Loop: Header=BB39_53 Depth=1
	s_or_b32 exec_lo, exec_lo, s75
	s_and_saveexec_b32 s75, s6
	s_cbranch_execnz .LBB39_92
.LBB39_60:                              ;   in Loop: Header=BB39_53 Depth=1
	s_or_b32 exec_lo, exec_lo, s75
	s_and_saveexec_b32 s75, s7
	s_cbranch_execnz .LBB39_93
.LBB39_61:                              ;   in Loop: Header=BB39_53 Depth=1
	s_or_b32 exec_lo, exec_lo, s75
	s_and_saveexec_b32 s75, s8
	s_cbranch_execnz .LBB39_94
.LBB39_62:                              ;   in Loop: Header=BB39_53 Depth=1
	s_or_b32 exec_lo, exec_lo, s75
	s_and_saveexec_b32 s75, s9
	s_cbranch_execnz .LBB39_95
.LBB39_63:                              ;   in Loop: Header=BB39_53 Depth=1
	s_or_b32 exec_lo, exec_lo, s75
	s_and_saveexec_b32 s75, s10
	s_cbranch_execnz .LBB39_96
.LBB39_64:                              ;   in Loop: Header=BB39_53 Depth=1
	s_or_b32 exec_lo, exec_lo, s75
	s_and_saveexec_b32 s75, s11
	s_cbranch_execnz .LBB39_97
.LBB39_65:                              ;   in Loop: Header=BB39_53 Depth=1
	s_or_b32 exec_lo, exec_lo, s75
	s_and_saveexec_b32 s75, s12
	s_cbranch_execnz .LBB39_98
.LBB39_66:                              ;   in Loop: Header=BB39_53 Depth=1
	s_or_b32 exec_lo, exec_lo, s75
	s_and_saveexec_b32 s75, s13
	s_cbranch_execnz .LBB39_99
.LBB39_67:                              ;   in Loop: Header=BB39_53 Depth=1
	s_or_b32 exec_lo, exec_lo, s75
	s_and_saveexec_b32 s75, s14
	s_cbranch_execnz .LBB39_100
.LBB39_68:                              ;   in Loop: Header=BB39_53 Depth=1
	s_or_b32 exec_lo, exec_lo, s75
	s_and_saveexec_b32 s75, s15
	s_cbranch_execnz .LBB39_101
.LBB39_69:                              ;   in Loop: Header=BB39_53 Depth=1
	s_or_b32 exec_lo, exec_lo, s75
	s_and_saveexec_b32 s75, s16
	s_cbranch_execnz .LBB39_102
.LBB39_70:                              ;   in Loop: Header=BB39_53 Depth=1
	s_or_b32 exec_lo, exec_lo, s75
	s_and_saveexec_b32 s75, s17
	s_cbranch_execnz .LBB39_103
.LBB39_71:                              ;   in Loop: Header=BB39_53 Depth=1
	s_or_b32 exec_lo, exec_lo, s75
	s_and_saveexec_b32 s75, s18
	s_cbranch_execnz .LBB39_104
.LBB39_72:                              ;   in Loop: Header=BB39_53 Depth=1
	s_or_b32 exec_lo, exec_lo, s75
	s_and_saveexec_b32 s75, s19
	s_cbranch_execnz .LBB39_105
.LBB39_73:                              ;   in Loop: Header=BB39_53 Depth=1
	s_or_b32 exec_lo, exec_lo, s75
	s_and_saveexec_b32 s75, s20
	s_cbranch_execnz .LBB39_106
.LBB39_74:                              ;   in Loop: Header=BB39_53 Depth=1
	s_or_b32 exec_lo, exec_lo, s75
	s_and_saveexec_b32 s75, s21
	s_cbranch_execnz .LBB39_107
.LBB39_75:                              ;   in Loop: Header=BB39_53 Depth=1
	s_or_b32 exec_lo, exec_lo, s75
	s_and_saveexec_b32 s75, s22
	s_cbranch_execnz .LBB39_108
.LBB39_76:                              ;   in Loop: Header=BB39_53 Depth=1
	s_or_b32 exec_lo, exec_lo, s75
	s_and_saveexec_b32 s75, s23
	s_cbranch_execnz .LBB39_109
.LBB39_77:                              ;   in Loop: Header=BB39_53 Depth=1
	s_or_b32 exec_lo, exec_lo, s75
	s_and_saveexec_b32 s75, s24
	s_cbranch_execnz .LBB39_110
.LBB39_78:                              ;   in Loop: Header=BB39_53 Depth=1
	s_or_b32 exec_lo, exec_lo, s75
	s_and_saveexec_b32 s75, s25
	s_cbranch_execnz .LBB39_111
.LBB39_79:                              ;   in Loop: Header=BB39_53 Depth=1
	s_or_b32 exec_lo, exec_lo, s75
	s_and_saveexec_b32 s75, s26
	s_cbranch_execnz .LBB39_112
.LBB39_80:                              ;   in Loop: Header=BB39_53 Depth=1
	s_or_b32 exec_lo, exec_lo, s75
	s_and_saveexec_b32 s75, s27
	s_cbranch_execnz .LBB39_113
.LBB39_81:                              ;   in Loop: Header=BB39_53 Depth=1
	s_or_b32 exec_lo, exec_lo, s75
	s_and_saveexec_b32 s75, s28
	s_cbranch_execnz .LBB39_114
.LBB39_82:                              ;   in Loop: Header=BB39_53 Depth=1
	s_or_b32 exec_lo, exec_lo, s75
	s_and_saveexec_b32 s75, s29
	s_cbranch_execnz .LBB39_115
.LBB39_83:                              ;   in Loop: Header=BB39_53 Depth=1
	s_or_b32 exec_lo, exec_lo, s75
	s_and_saveexec_b32 s75, s30
	s_cbranch_execnz .LBB39_116
.LBB39_84:                              ;   in Loop: Header=BB39_53 Depth=1
	s_or_b32 exec_lo, exec_lo, s75
	s_and_saveexec_b32 s75, s31
	s_cbranch_execnz .LBB39_117
.LBB39_85:                              ;   in Loop: Header=BB39_53 Depth=1
	s_or_b32 exec_lo, exec_lo, s75
	s_and_saveexec_b32 s31, vcc_lo
	s_cbranch_execz .LBB39_52
	s_branch .LBB39_118
.LBB39_86:                              ;   in Loop: Header=BB39_53 Depth=1
	v_mov_b32_e32 v9, s36
	ds_load_b32 v9, v9
	s_waitcnt lgkmcnt(0)
	v_add_nc_u32_e32 v8, v9, v8
	s_or_b32 exec_lo, exec_lo, s75
	s_and_saveexec_b32 s75, s1
	s_cbranch_execz .LBB39_55
.LBB39_87:                              ;   in Loop: Header=BB39_53 Depth=1
	v_mov_b32_e32 v9, s37
	ds_load_b32 v9, v9
	s_waitcnt lgkmcnt(0)
	v_add_nc_u32_e32 v8, v9, v8
	s_or_b32 exec_lo, exec_lo, s75
	s_and_saveexec_b32 s75, s2
	s_cbranch_execz .LBB39_56
.LBB39_88:                              ;   in Loop: Header=BB39_53 Depth=1
	v_mov_b32_e32 v9, s38
	ds_load_b32 v9, v9
	s_waitcnt lgkmcnt(0)
	v_add_nc_u32_e32 v8, v9, v8
	s_or_b32 exec_lo, exec_lo, s75
	s_and_saveexec_b32 s75, s3
	s_cbranch_execz .LBB39_57
.LBB39_89:                              ;   in Loop: Header=BB39_53 Depth=1
	v_mov_b32_e32 v9, s39
	ds_load_b32 v9, v9
	s_waitcnt lgkmcnt(0)
	v_add_nc_u32_e32 v8, v9, v8
	s_or_b32 exec_lo, exec_lo, s75
	s_and_saveexec_b32 s75, s4
	s_cbranch_execz .LBB39_58
.LBB39_90:                              ;   in Loop: Header=BB39_53 Depth=1
	v_mov_b32_e32 v9, s40
	ds_load_b32 v9, v9
	s_waitcnt lgkmcnt(0)
	v_add_nc_u32_e32 v8, v9, v8
	s_or_b32 exec_lo, exec_lo, s75
	s_and_saveexec_b32 s75, s5
	s_cbranch_execz .LBB39_59
.LBB39_91:                              ;   in Loop: Header=BB39_53 Depth=1
	v_mov_b32_e32 v9, s41
	ds_load_b32 v9, v9
	s_waitcnt lgkmcnt(0)
	v_add_nc_u32_e32 v8, v9, v8
	s_or_b32 exec_lo, exec_lo, s75
	s_and_saveexec_b32 s75, s6
	s_cbranch_execz .LBB39_60
.LBB39_92:                              ;   in Loop: Header=BB39_53 Depth=1
	v_mov_b32_e32 v9, s44
	ds_load_b32 v9, v9
	s_waitcnt lgkmcnt(0)
	v_add_nc_u32_e32 v8, v9, v8
	s_or_b32 exec_lo, exec_lo, s75
	s_and_saveexec_b32 s75, s7
	s_cbranch_execz .LBB39_61
.LBB39_93:                              ;   in Loop: Header=BB39_53 Depth=1
	v_mov_b32_e32 v9, s45
	ds_load_b32 v9, v9
	s_waitcnt lgkmcnt(0)
	v_add_nc_u32_e32 v8, v9, v8
	s_or_b32 exec_lo, exec_lo, s75
	s_and_saveexec_b32 s75, s8
	s_cbranch_execz .LBB39_62
.LBB39_94:                              ;   in Loop: Header=BB39_53 Depth=1
	v_mov_b32_e32 v9, s47
	ds_load_b32 v9, v9
	s_waitcnt lgkmcnt(0)
	v_add_nc_u32_e32 v8, v9, v8
	s_or_b32 exec_lo, exec_lo, s75
	s_and_saveexec_b32 s75, s9
	s_cbranch_execz .LBB39_63
.LBB39_95:                              ;   in Loop: Header=BB39_53 Depth=1
	v_mov_b32_e32 v9, s52
	ds_load_b32 v9, v9
	s_waitcnt lgkmcnt(0)
	v_add_nc_u32_e32 v8, v9, v8
	s_or_b32 exec_lo, exec_lo, s75
	s_and_saveexec_b32 s75, s10
	s_cbranch_execz .LBB39_64
.LBB39_96:                              ;   in Loop: Header=BB39_53 Depth=1
	v_mov_b32_e32 v9, s53
	ds_load_b32 v9, v9
	s_waitcnt lgkmcnt(0)
	v_add_nc_u32_e32 v8, v9, v8
	s_or_b32 exec_lo, exec_lo, s75
	s_and_saveexec_b32 s75, s11
	s_cbranch_execz .LBB39_65
.LBB39_97:                              ;   in Loop: Header=BB39_53 Depth=1
	v_mov_b32_e32 v9, s54
	ds_load_b32 v9, v9
	s_waitcnt lgkmcnt(0)
	v_add_nc_u32_e32 v8, v9, v8
	s_or_b32 exec_lo, exec_lo, s75
	s_and_saveexec_b32 s75, s12
	s_cbranch_execz .LBB39_66
.LBB39_98:                              ;   in Loop: Header=BB39_53 Depth=1
	v_mov_b32_e32 v9, s55
	ds_load_b32 v9, v9
	s_waitcnt lgkmcnt(0)
	v_add_nc_u32_e32 v8, v9, v8
	s_or_b32 exec_lo, exec_lo, s75
	s_and_saveexec_b32 s75, s13
	s_cbranch_execz .LBB39_67
.LBB39_99:                              ;   in Loop: Header=BB39_53 Depth=1
	v_mov_b32_e32 v9, s56
	ds_load_b32 v9, v9
	s_waitcnt lgkmcnt(0)
	v_add_nc_u32_e32 v8, v9, v8
	s_or_b32 exec_lo, exec_lo, s75
	s_and_saveexec_b32 s75, s14
	s_cbranch_execz .LBB39_68
.LBB39_100:                             ;   in Loop: Header=BB39_53 Depth=1
	v_mov_b32_e32 v9, s57
	ds_load_b32 v9, v9
	s_waitcnt lgkmcnt(0)
	v_add_nc_u32_e32 v8, v9, v8
	s_or_b32 exec_lo, exec_lo, s75
	s_and_saveexec_b32 s75, s15
	s_cbranch_execz .LBB39_69
.LBB39_101:                             ;   in Loop: Header=BB39_53 Depth=1
	v_mov_b32_e32 v9, s58
	ds_load_b32 v9, v9
	s_waitcnt lgkmcnt(0)
	v_add_nc_u32_e32 v8, v9, v8
	s_or_b32 exec_lo, exec_lo, s75
	s_and_saveexec_b32 s75, s16
	s_cbranch_execz .LBB39_70
.LBB39_102:                             ;   in Loop: Header=BB39_53 Depth=1
	v_mov_b32_e32 v9, s59
	ds_load_b32 v9, v9
	s_waitcnt lgkmcnt(0)
	v_add_nc_u32_e32 v8, v9, v8
	s_or_b32 exec_lo, exec_lo, s75
	s_and_saveexec_b32 s75, s17
	s_cbranch_execz .LBB39_71
.LBB39_103:                             ;   in Loop: Header=BB39_53 Depth=1
	v_mov_b32_e32 v9, s60
	ds_load_b32 v9, v9
	s_waitcnt lgkmcnt(0)
	v_add_nc_u32_e32 v8, v9, v8
	s_or_b32 exec_lo, exec_lo, s75
	s_and_saveexec_b32 s75, s18
	s_cbranch_execz .LBB39_72
.LBB39_104:                             ;   in Loop: Header=BB39_53 Depth=1
	v_mov_b32_e32 v9, s61
	ds_load_b32 v9, v9
	s_waitcnt lgkmcnt(0)
	v_add_nc_u32_e32 v8, v9, v8
	s_or_b32 exec_lo, exec_lo, s75
	s_and_saveexec_b32 s75, s19
	s_cbranch_execz .LBB39_73
.LBB39_105:                             ;   in Loop: Header=BB39_53 Depth=1
	v_mov_b32_e32 v9, s62
	ds_load_b32 v9, v9
	s_waitcnt lgkmcnt(0)
	v_add_nc_u32_e32 v8, v9, v8
	s_or_b32 exec_lo, exec_lo, s75
	s_and_saveexec_b32 s75, s20
	s_cbranch_execz .LBB39_74
.LBB39_106:                             ;   in Loop: Header=BB39_53 Depth=1
	v_mov_b32_e32 v9, s63
	ds_load_b32 v9, v9
	s_waitcnt lgkmcnt(0)
	v_add_nc_u32_e32 v8, v9, v8
	s_or_b32 exec_lo, exec_lo, s75
	s_and_saveexec_b32 s75, s21
	s_cbranch_execz .LBB39_75
.LBB39_107:                             ;   in Loop: Header=BB39_53 Depth=1
	v_mov_b32_e32 v9, s64
	ds_load_b32 v9, v9
	s_waitcnt lgkmcnt(0)
	v_add_nc_u32_e32 v8, v9, v8
	s_or_b32 exec_lo, exec_lo, s75
	s_and_saveexec_b32 s75, s22
	s_cbranch_execz .LBB39_76
.LBB39_108:                             ;   in Loop: Header=BB39_53 Depth=1
	v_mov_b32_e32 v9, s65
	ds_load_b32 v9, v9
	s_waitcnt lgkmcnt(0)
	v_add_nc_u32_e32 v8, v9, v8
	s_or_b32 exec_lo, exec_lo, s75
	s_and_saveexec_b32 s75, s23
	s_cbranch_execz .LBB39_77
.LBB39_109:                             ;   in Loop: Header=BB39_53 Depth=1
	v_mov_b32_e32 v9, s66
	ds_load_b32 v9, v9
	s_waitcnt lgkmcnt(0)
	v_add_nc_u32_e32 v8, v9, v8
	s_or_b32 exec_lo, exec_lo, s75
	s_and_saveexec_b32 s75, s24
	s_cbranch_execz .LBB39_78
.LBB39_110:                             ;   in Loop: Header=BB39_53 Depth=1
	v_mov_b32_e32 v9, s67
	ds_load_b32 v9, v9
	s_waitcnt lgkmcnt(0)
	v_add_nc_u32_e32 v8, v9, v8
	s_or_b32 exec_lo, exec_lo, s75
	s_and_saveexec_b32 s75, s25
	s_cbranch_execz .LBB39_79
.LBB39_111:                             ;   in Loop: Header=BB39_53 Depth=1
	v_mov_b32_e32 v9, s68
	ds_load_b32 v9, v9
	s_waitcnt lgkmcnt(0)
	v_add_nc_u32_e32 v8, v9, v8
	s_or_b32 exec_lo, exec_lo, s75
	s_and_saveexec_b32 s75, s26
	s_cbranch_execz .LBB39_80
.LBB39_112:                             ;   in Loop: Header=BB39_53 Depth=1
	v_mov_b32_e32 v9, s69
	ds_load_b32 v9, v9
	s_waitcnt lgkmcnt(0)
	v_add_nc_u32_e32 v8, v9, v8
	s_or_b32 exec_lo, exec_lo, s75
	s_and_saveexec_b32 s75, s27
	s_cbranch_execz .LBB39_81
.LBB39_113:                             ;   in Loop: Header=BB39_53 Depth=1
	v_mov_b32_e32 v9, s71
	ds_load_b32 v9, v9
	s_waitcnt lgkmcnt(0)
	v_add_nc_u32_e32 v8, v9, v8
	s_or_b32 exec_lo, exec_lo, s75
	s_and_saveexec_b32 s75, s28
	s_cbranch_execz .LBB39_82
.LBB39_114:                             ;   in Loop: Header=BB39_53 Depth=1
	v_mov_b32_e32 v9, s72
	ds_load_b32 v9, v9
	s_waitcnt lgkmcnt(0)
	v_add_nc_u32_e32 v8, v9, v8
	s_or_b32 exec_lo, exec_lo, s75
	s_and_saveexec_b32 s75, s29
	s_cbranch_execz .LBB39_83
.LBB39_115:                             ;   in Loop: Header=BB39_53 Depth=1
	v_mov_b32_e32 v9, s73
	ds_load_b32 v9, v9
	s_waitcnt lgkmcnt(0)
	v_add_nc_u32_e32 v8, v9, v8
	s_or_b32 exec_lo, exec_lo, s75
	s_and_saveexec_b32 s75, s30
	s_cbranch_execz .LBB39_84
.LBB39_116:                             ;   in Loop: Header=BB39_53 Depth=1
	v_mov_b32_e32 v9, s74
	ds_load_b32 v9, v9
	s_waitcnt lgkmcnt(0)
	v_add_nc_u32_e32 v8, v9, v8
	s_or_b32 exec_lo, exec_lo, s75
	s_and_saveexec_b32 s75, s31
	s_cbranch_execz .LBB39_85
.LBB39_117:                             ;   in Loop: Header=BB39_53 Depth=1
	s_delay_alu instid0(VALU_DEP_1) | instskip(NEXT) | instid1(VALU_DEP_1)
	v_add3_u32 v9, v5, -1, v8
	v_lshlrev_b32_e32 v10, 3, v9
	v_lshl_add_u32 v9, v9, 2, 0
	s_delay_alu instid0(VALU_DEP_2)
	v_add3_u32 v10, 0, v10, 0x10000
	ds_store_b32 v9, v7
	ds_store_b64 v10, v[2:3]
	s_or_b32 exec_lo, exec_lo, s75
	s_and_saveexec_b32 s31, vcc_lo
	s_cbranch_execz .LBB39_52
.LBB39_118:                             ;   in Loop: Header=BB39_53 Depth=1
	v_mov_b32_e32 v2, s70
	ds_store_b32 v2, v8
	s_branch .LBB39_52
.LBB39_119:
	s_or_b32 exec_lo, exec_lo, s35
	s_ashr_i32 s35, s34, 31
	s_mov_b32 s3, exec_lo
	s_lshl_b64 s[0:1], s[34:35], 2
	s_delay_alu instid0(SALU_CYCLE_1) | instskip(SKIP_4) | instid1(SALU_CYCLE_1)
	s_add_u32 s0, s42, s0
	s_addc_u32 s1, s43, s1
	s_load_b64 s[0:1], s[0:1], 0x0
	s_waitcnt lgkmcnt(0)
	s_sub_i32 s2, s1, s0
	v_cmpx_gt_i32_e64 s2, v0
	s_cbranch_execz .LBB39_129
; %bb.120:
	s_sub_i32 s3, s0, s46
	s_sub_i32 s0, s0, s1
	s_and_b32 s1, s2, 7
	s_cmp_lt_u32 s0, -7
	s_mov_b32 s7, 0
	s_cselect_b32 s4, -1, 0
	s_and_b32 s5, s2, -8
	s_cmp_lg_u32 s1, 0
	s_cselect_b32 s6, -1, 0
	s_branch .LBB39_122
.LBB39_121:                             ;   in Loop: Header=BB39_122 Depth=1
	s_delay_alu instid0(VALU_DEP_1) | instskip(SKIP_3) | instid1(VALU_DEP_3)
	v_ashrrev_i32_e32 v4, 31, v3
	v_add_nc_u32_e32 v0, 0x400, v0
	s_waitcnt lgkmcnt(1)
	v_add_nc_u32_e32 v8, s46, v5
	v_lshlrev_b64 v[6:7], 2, v[3:4]
	v_lshlrev_b64 v[3:4], 3, v[3:4]
	v_cmp_le_i32_e32 vcc_lo, s2, v0
	s_delay_alu instid0(VALU_DEP_3) | instskip(NEXT) | instid1(VALU_DEP_1)
	v_add_co_u32 v5, s0, s48, v6
	v_add_co_ci_u32_e64 v6, s0, s49, v7, s0
	s_delay_alu instid0(VALU_DEP_4) | instskip(NEXT) | instid1(VALU_DEP_1)
	v_add_co_u32 v3, s0, s50, v3
	v_add_co_ci_u32_e64 v4, s0, s51, v4, s0
	s_or_b32 s7, vcc_lo, s7
	global_store_b32 v[5:6], v8, off
	s_waitcnt lgkmcnt(0)
	global_store_b64 v[3:4], v[1:2], off
	s_and_not1_b32 exec_lo, exec_lo, s7
	s_cbranch_execz .LBB39_129
.LBB39_122:                             ; =>This Loop Header: Depth=1
                                        ;     Child Loop BB39_124 Depth 2
                                        ;     Child Loop BB39_128 Depth 2
	v_lshlrev_b32_e32 v1, 3, v0
	v_lshl_add_u32 v2, v0, 2, 0
	v_mov_b32_e32 v3, s3
	s_and_not1_b32 vcc_lo, exec_lo, s4
	s_mov_b32 s0, 0
	v_add3_u32 v1, 0, v1, 0x10000
	ds_load_b32 v5, v2
	ds_load_b64 v[1:2], v1
	s_cbranch_vccnz .LBB39_126
; %bb.123:                              ;   in Loop: Header=BB39_122 Depth=1
	v_mov_b32_e32 v3, s3
	s_mov_b32 s8, 0
	s_set_inst_prefetch_distance 0x1
	.p2align	6
.LBB39_124:                             ;   Parent Loop BB39_122 Depth=1
                                        ; =>  This Inner Loop Header: Depth=2
	v_mov_b32_e32 v4, s8
	s_add_i32 s0, s0, 8
	s_add_i32 s8, s8, 32
	s_cmp_eq_u32 s5, s0
	ds_load_2addr_b32 v[6:7], v4 offset1:1
	ds_load_2addr_b32 v[8:9], v4 offset0:2 offset1:3
	ds_load_2addr_b32 v[10:11], v4 offset0:4 offset1:5
	;; [unrolled: 1-line block ×3, first 2 shown]
	s_waitcnt lgkmcnt(3)
	v_cmp_gt_i32_e32 vcc_lo, v5, v6
	v_cndmask_b32_e64 v4, 0, 1, vcc_lo
	s_waitcnt lgkmcnt(2)
	v_cmp_gt_i32_e32 vcc_lo, v5, v8
	v_cndmask_b32_e64 v6, 0, 1, vcc_lo
	v_cmp_gt_i32_e32 vcc_lo, v5, v7
	v_add_co_ci_u32_e32 v3, vcc_lo, v3, v4, vcc_lo
	s_waitcnt lgkmcnt(1)
	v_cmp_gt_i32_e32 vcc_lo, v5, v10
	v_cndmask_b32_e64 v4, 0, 1, vcc_lo
	v_cmp_gt_i32_e32 vcc_lo, v5, v9
	v_add_co_ci_u32_e32 v3, vcc_lo, v3, v6, vcc_lo
	;; [unrolled: 5-line block ×3, first 2 shown]
	v_cmp_gt_i32_e32 vcc_lo, v5, v13
	s_delay_alu instid0(VALU_DEP_2)
	v_add_co_ci_u32_e32 v3, vcc_lo, v3, v6, vcc_lo
	s_cbranch_scc0 .LBB39_124
; %bb.125:                              ;   in Loop: Header=BB39_122 Depth=1
	s_set_inst_prefetch_distance 0x2
	s_mov_b32 s0, s5
.LBB39_126:                             ;   in Loop: Header=BB39_122 Depth=1
	s_and_not1_b32 vcc_lo, exec_lo, s6
	s_cbranch_vccnz .LBB39_121
; %bb.127:                              ;   in Loop: Header=BB39_122 Depth=1
	s_lshl_b32 s0, s0, 2
	s_mov_b32 s8, s1
	s_add_i32 s0, s0, 0
.LBB39_128:                             ;   Parent Loop BB39_122 Depth=1
                                        ; =>  This Inner Loop Header: Depth=2
	s_delay_alu instid0(SALU_CYCLE_1)
	v_mov_b32_e32 v4, s0
	s_add_i32 s8, s8, -1
	s_add_i32 s0, s0, 4
	s_cmp_lg_u32 s8, 0
	ds_load_b32 v4, v4
	s_waitcnt lgkmcnt(0)
	v_cmp_gt_i32_e32 vcc_lo, v5, v4
	v_add_co_ci_u32_e32 v3, vcc_lo, 0, v3, vcc_lo
	s_cbranch_scc1 .LBB39_128
	s_branch .LBB39_121
.LBB39_129:
	s_nop 0
	s_sendmsg sendmsg(MSG_DEALLOC_VGPRS)
	s_endpgm
	.section	.rodata,"a",@progbits
	.p2align	6, 0x0
	.amdhsa_kernel _ZN9rocsparseL26csrgemm_fill_block_per_rowILj1024ELj64ELj16384ELj137ELj32EiidEEvT5_PKS1_S3_NS_24const_host_device_scalarIT6_EEPKT4_S3_PKS5_S9_S3_SB_S6_S9_S3_SB_S9_PS1_PS5_21rocsparse_index_base_SE_SE_SE_bbb
		.amdhsa_group_segment_fixed_size 0
		.amdhsa_private_segment_fixed_size 0
		.amdhsa_kernarg_size 156
		.amdhsa_user_sgpr_count 15
		.amdhsa_user_sgpr_dispatch_ptr 0
		.amdhsa_user_sgpr_queue_ptr 0
		.amdhsa_user_sgpr_kernarg_segment_ptr 1
		.amdhsa_user_sgpr_dispatch_id 0
		.amdhsa_user_sgpr_private_segment_size 0
		.amdhsa_wavefront_size32 1
		.amdhsa_uses_dynamic_stack 0
		.amdhsa_enable_private_segment 0
		.amdhsa_system_sgpr_workgroup_id_x 1
		.amdhsa_system_sgpr_workgroup_id_y 0
		.amdhsa_system_sgpr_workgroup_id_z 0
		.amdhsa_system_sgpr_workgroup_info 0
		.amdhsa_system_vgpr_workitem_id 0
		.amdhsa_next_free_vgpr 23
		.amdhsa_next_free_sgpr 76
		.amdhsa_reserve_vcc 1
		.amdhsa_float_round_mode_32 0
		.amdhsa_float_round_mode_16_64 0
		.amdhsa_float_denorm_mode_32 3
		.amdhsa_float_denorm_mode_16_64 3
		.amdhsa_dx10_clamp 1
		.amdhsa_ieee_mode 1
		.amdhsa_fp16_overflow 0
		.amdhsa_workgroup_processor_mode 1
		.amdhsa_memory_ordered 1
		.amdhsa_forward_progress 0
		.amdhsa_shared_vgpr_count 0
		.amdhsa_exception_fp_ieee_invalid_op 0
		.amdhsa_exception_fp_denorm_src 0
		.amdhsa_exception_fp_ieee_div_zero 0
		.amdhsa_exception_fp_ieee_overflow 0
		.amdhsa_exception_fp_ieee_underflow 0
		.amdhsa_exception_fp_ieee_inexact 0
		.amdhsa_exception_int_div_zero 0
	.end_amdhsa_kernel
	.section	.text._ZN9rocsparseL26csrgemm_fill_block_per_rowILj1024ELj64ELj16384ELj137ELj32EiidEEvT5_PKS1_S3_NS_24const_host_device_scalarIT6_EEPKT4_S3_PKS5_S9_S3_SB_S6_S9_S3_SB_S9_PS1_PS5_21rocsparse_index_base_SE_SE_SE_bbb,"axG",@progbits,_ZN9rocsparseL26csrgemm_fill_block_per_rowILj1024ELj64ELj16384ELj137ELj32EiidEEvT5_PKS1_S3_NS_24const_host_device_scalarIT6_EEPKT4_S3_PKS5_S9_S3_SB_S6_S9_S3_SB_S9_PS1_PS5_21rocsparse_index_base_SE_SE_SE_bbb,comdat
.Lfunc_end39:
	.size	_ZN9rocsparseL26csrgemm_fill_block_per_rowILj1024ELj64ELj16384ELj137ELj32EiidEEvT5_PKS1_S3_NS_24const_host_device_scalarIT6_EEPKT4_S3_PKS5_S9_S3_SB_S6_S9_S3_SB_S9_PS1_PS5_21rocsparse_index_base_SE_SE_SE_bbb, .Lfunc_end39-_ZN9rocsparseL26csrgemm_fill_block_per_rowILj1024ELj64ELj16384ELj137ELj32EiidEEvT5_PKS1_S3_NS_24const_host_device_scalarIT6_EEPKT4_S3_PKS5_S9_S3_SB_S6_S9_S3_SB_S9_PS1_PS5_21rocsparse_index_base_SE_SE_SE_bbb
                                        ; -- End function
	.section	.AMDGPU.csdata,"",@progbits
; Kernel info:
; codeLenInByte = 4808
; NumSgprs: 78
; NumVgprs: 23
; ScratchSize: 0
; MemoryBound: 0
; FloatMode: 240
; IeeeMode: 1
; LDSByteSize: 0 bytes/workgroup (compile time only)
; SGPRBlocks: 9
; VGPRBlocks: 2
; NumSGPRsForWavesPerEU: 78
; NumVGPRsForWavesPerEU: 23
; Occupancy: 16
; WaveLimiterHint : 1
; COMPUTE_PGM_RSRC2:SCRATCH_EN: 0
; COMPUTE_PGM_RSRC2:USER_SGPR: 15
; COMPUTE_PGM_RSRC2:TRAP_HANDLER: 0
; COMPUTE_PGM_RSRC2:TGID_X_EN: 1
; COMPUTE_PGM_RSRC2:TGID_Y_EN: 0
; COMPUTE_PGM_RSRC2:TGID_Z_EN: 0
; COMPUTE_PGM_RSRC2:TIDIG_COMP_CNT: 0
	.section	.text._ZN9rocsparseL26csrgemm_fill_block_per_rowILj1024ELj64ELj16384ELj137ELj64EiidEEvT5_PKS1_S3_NS_24const_host_device_scalarIT6_EEPKT4_S3_PKS5_S9_S3_SB_S6_S9_S3_SB_S9_PS1_PS5_21rocsparse_index_base_SE_SE_SE_bbb,"axG",@progbits,_ZN9rocsparseL26csrgemm_fill_block_per_rowILj1024ELj64ELj16384ELj137ELj64EiidEEvT5_PKS1_S3_NS_24const_host_device_scalarIT6_EEPKT4_S3_PKS5_S9_S3_SB_S6_S9_S3_SB_S9_PS1_PS5_21rocsparse_index_base_SE_SE_SE_bbb,comdat
	.globl	_ZN9rocsparseL26csrgemm_fill_block_per_rowILj1024ELj64ELj16384ELj137ELj64EiidEEvT5_PKS1_S3_NS_24const_host_device_scalarIT6_EEPKT4_S3_PKS5_S9_S3_SB_S6_S9_S3_SB_S9_PS1_PS5_21rocsparse_index_base_SE_SE_SE_bbb ; -- Begin function _ZN9rocsparseL26csrgemm_fill_block_per_rowILj1024ELj64ELj16384ELj137ELj64EiidEEvT5_PKS1_S3_NS_24const_host_device_scalarIT6_EEPKT4_S3_PKS5_S9_S3_SB_S6_S9_S3_SB_S9_PS1_PS5_21rocsparse_index_base_SE_SE_SE_bbb
	.p2align	8
	.type	_ZN9rocsparseL26csrgemm_fill_block_per_rowILj1024ELj64ELj16384ELj137ELj64EiidEEvT5_PKS1_S3_NS_24const_host_device_scalarIT6_EEPKT4_S3_PKS5_S9_S3_SB_S6_S9_S3_SB_S9_PS1_PS5_21rocsparse_index_base_SE_SE_SE_bbb,@function
_ZN9rocsparseL26csrgemm_fill_block_per_rowILj1024ELj64ELj16384ELj137ELj64EiidEEvT5_PKS1_S3_NS_24const_host_device_scalarIT6_EEPKT4_S3_PKS5_S9_S3_SB_S6_S9_S3_SB_S9_PS1_PS5_21rocsparse_index_base_SE_SE_SE_bbb: ; @_ZN9rocsparseL26csrgemm_fill_block_per_rowILj1024ELj64ELj16384ELj137ELj64EiidEEvT5_PKS1_S3_NS_24const_host_device_scalarIT6_EEPKT4_S3_PKS5_S9_S3_SB_S6_S9_S3_SB_S9_PS1_PS5_21rocsparse_index_base_SE_SE_SE_bbb
; %bb.0:
	s_clause 0x3
	s_load_b32 s12, s[0:1], 0x98
	s_load_b64 s[4:5], s[0:1], 0x18
	s_load_b128 s[24:27], s[0:1], 0x88
	s_load_b64 s[2:3], s[0:1], 0x50
	s_waitcnt lgkmcnt(0)
	s_and_b32 s6, 1, s12
	s_bitcmp1_b32 s12, 16
	s_cselect_b32 s14, -1, 0
	s_cmp_eq_u32 s6, 1
	s_cselect_b32 s13, -1, 0
	s_delay_alu instid0(SALU_CYCLE_1)
	s_and_b32 s6, s13, exec_lo
	s_cselect_b32 s7, s5, 0
	s_cselect_b32 s6, s4, 0
	s_xor_b32 s8, s13, -1
	v_dual_mov_b32 v3, s6 :: v_dual_mov_b32 v4, s7
	s_or_b32 s8, s8, s14
	s_delay_alu instid0(SALU_CYCLE_1)
	s_and_b32 vcc_lo, exec_lo, s8
	s_cbranch_vccnz .LBB40_2
; %bb.1:
	v_dual_mov_b32 v1, s4 :: v_dual_mov_b32 v2, s5
	flat_load_b64 v[3:4], v[1:2]
.LBB40_2:
	s_clause 0x4
	s_load_b128 s[28:31], s[0:1], 0x78
	s_load_b256 s[16:23], s[0:1], 0x58
	s_load_b128 s[36:39], s[0:1], 0x40
	s_load_b128 s[40:43], s[0:1], 0x8
	s_load_b256 s[4:11], s[0:1], 0x20
	s_bitcmp1_b32 s12, 8
	s_cselect_b32 s12, -1, 0
	s_delay_alu instid0(SALU_CYCLE_1)
	s_and_b32 s33, s12, exec_lo
	s_cselect_b32 s35, s3, 0
	s_cselect_b32 s34, s2, 0
	s_xor_b32 s33, s12, -1
	v_dual_mov_b32 v1, s34 :: v_dual_mov_b32 v2, s35
	s_or_b32 s14, s33, s14
	s_delay_alu instid0(SALU_CYCLE_1)
	s_and_b32 vcc_lo, exec_lo, s14
	s_cbranch_vccnz .LBB40_4
; %bb.3:
	v_dual_mov_b32 v1, s2 :: v_dual_mov_b32 v2, s3
	flat_load_b64 v[1:2], v[1:2]
.LBB40_4:
	s_load_b32 s33, s[0:1], 0x0
	v_dual_mov_b32 v5, 0 :: v_dual_lshlrev_b32 v6, 3, v0
	v_lshl_add_u32 v15, v0, 2, 0
	v_or_b32_e32 v17, 0xfffffc00, v0
	s_mov_b32 s0, 0
	s_delay_alu instid0(VALU_DEP_3) | instskip(NEXT) | instid1(VALU_DEP_3)
	v_add3_u32 v16, v6, 0, 0x10000
	v_dual_mov_b32 v6, v5 :: v_dual_mov_b32 v7, v15
	s_delay_alu instid0(VALU_DEP_3) | instskip(SKIP_1) | instid1(VALU_DEP_3)
	v_mov_b32_e32 v10, v17
	s_waitcnt lgkmcnt(0)
	v_dual_mov_b32 v8, v16 :: v_dual_mov_b32 v9, s33
.LBB40_5:                               ; =>This Inner Loop Header: Depth=1
	s_delay_alu instid0(VALU_DEP_2)
	v_add_nc_u32_e32 v10, 0x400, v10
	ds_store_b32 v7, v9
	ds_store_b64 v8, v[5:6]
	v_add_nc_u32_e32 v8, 0x2000, v8
	v_add_nc_u32_e32 v7, 0x1000, v7
	v_cmp_lt_u32_e32 vcc_lo, 0x3bff, v10
	s_or_b32 s0, vcc_lo, s0
	s_delay_alu instid0(SALU_CYCLE_1)
	s_and_not1_b32 exec_lo, exec_lo, s0
	s_cbranch_execnz .LBB40_5
; %bb.6:
	s_or_b32 exec_lo, exec_lo, s0
	s_waitcnt vmcnt(0) lgkmcnt(0)
	s_barrier
	buffer_gl0_inv
	s_load_b32 s0, s[40:41], 0x0
	s_mov_b32 s1, 0
	v_lshrrev_b32_e32 v18, 6, v0
	s_waitcnt lgkmcnt(0)
	s_add_i32 s0, s0, s15
	s_delay_alu instid0(SALU_CYCLE_1) | instskip(NEXT) | instid1(SALU_CYCLE_1)
	s_lshl_b64 s[0:1], s[0:1], 2
	s_add_u32 s0, s42, s0
	s_addc_u32 s1, s43, s1
	s_and_b32 vcc_lo, exec_lo, s13
	s_load_b32 s34, s[0:1], 0x0
	s_cbranch_vccz .LBB40_30
; %bb.7:
	s_waitcnt lgkmcnt(0)
	s_ashr_i32 s35, s34, 31
	v_subrev_nc_u32_e32 v5, s24, v18
	s_lshl_b64 s[0:1], s[34:35], 2
	s_delay_alu instid0(SALU_CYCLE_1)
	s_add_u32 s0, s4, s0
	s_addc_u32 s1, s5, s1
	s_load_b64 s[0:1], s[0:1], 0x0
	s_waitcnt lgkmcnt(0)
	v_add_nc_u32_e32 v5, s0, v5
	s_sub_i32 s0, s1, s24
	s_mov_b32 s1, exec_lo
	s_delay_alu instid0(VALU_DEP_1)
	v_cmpx_gt_i32_e64 s0, v5
	s_cbranch_execz .LBB40_29
; %bb.8:
	v_and_b32_e32 v6, 63, v0
	s_mov_b32 s2, 0
	s_delay_alu instid0(VALU_DEP_1)
	v_subrev_nc_u32_e32 v19, s25, v6
	s_branch .LBB40_10
.LBB40_9:                               ;   in Loop: Header=BB40_10 Depth=1
	s_or_b32 exec_lo, exec_lo, s3
	v_add_nc_u32_e32 v5, 16, v5
	s_delay_alu instid0(VALU_DEP_1) | instskip(SKIP_1) | instid1(SALU_CYCLE_1)
	v_cmp_le_i32_e32 vcc_lo, s0, v5
	s_or_b32 s2, vcc_lo, s2
	s_and_not1_b32 exec_lo, exec_lo, s2
	s_cbranch_execz .LBB40_29
.LBB40_10:                              ; =>This Loop Header: Depth=1
                                        ;     Child Loop BB40_13 Depth 2
                                        ;       Child Loop BB40_15 Depth 3
                                        ;         Child Loop BB40_21 Depth 4
                                        ;         Child Loop BB40_27 Depth 4
	v_ashrrev_i32_e32 v6, 31, v5
	s_mov_b32 s3, exec_lo
	s_delay_alu instid0(VALU_DEP_1) | instskip(NEXT) | instid1(VALU_DEP_1)
	v_lshlrev_b64 v[7:8], 2, v[5:6]
	v_add_co_u32 v7, vcc_lo, s6, v7
	s_delay_alu instid0(VALU_DEP_2) | instskip(SKIP_3) | instid1(VALU_DEP_1)
	v_add_co_ci_u32_e32 v8, vcc_lo, s7, v8, vcc_lo
	global_load_b32 v7, v[7:8], off
	s_waitcnt vmcnt(0)
	v_subrev_nc_u32_e32 v7, s24, v7
	v_ashrrev_i32_e32 v8, 31, v7
	s_delay_alu instid0(VALU_DEP_1) | instskip(NEXT) | instid1(VALU_DEP_1)
	v_lshlrev_b64 v[7:8], 2, v[7:8]
	v_add_co_u32 v7, vcc_lo, s10, v7
	s_delay_alu instid0(VALU_DEP_2) | instskip(SKIP_4) | instid1(VALU_DEP_1)
	v_add_co_ci_u32_e32 v8, vcc_lo, s11, v8, vcc_lo
	global_load_b64 v[7:8], v[7:8], off
	s_waitcnt vmcnt(0)
	v_subrev_nc_u32_e32 v20, s25, v8
	v_add_nc_u32_e32 v7, v7, v19
	v_cmpx_lt_i32_e64 v7, v20
	s_cbranch_execz .LBB40_9
; %bb.11:                               ;   in Loop: Header=BB40_10 Depth=1
	v_lshlrev_b64 v[8:9], 3, v[5:6]
	s_mov_b32 s4, 0
	s_delay_alu instid0(VALU_DEP_1) | instskip(NEXT) | instid1(VALU_DEP_2)
	v_add_co_u32 v8, vcc_lo, s8, v8
	v_add_co_ci_u32_e32 v9, vcc_lo, s9, v9, vcc_lo
	global_load_b64 v[8:9], v[8:9], off
	s_waitcnt vmcnt(0)
	v_mul_f64 v[9:10], v[3:4], v[8:9]
	s_branch .LBB40_13
.LBB40_12:                              ;   in Loop: Header=BB40_13 Depth=2
	s_or_b32 exec_lo, exec_lo, s5
	v_add_nc_u32_e32 v7, 64, v7
	s_delay_alu instid0(VALU_DEP_1) | instskip(SKIP_1) | instid1(SALU_CYCLE_1)
	v_cmp_ge_i32_e32 vcc_lo, v7, v20
	s_or_b32 s4, vcc_lo, s4
	s_and_not1_b32 exec_lo, exec_lo, s4
	s_cbranch_execz .LBB40_9
.LBB40_13:                              ;   Parent Loop BB40_10 Depth=1
                                        ; =>  This Loop Header: Depth=2
                                        ;       Child Loop BB40_15 Depth 3
                                        ;         Child Loop BB40_21 Depth 4
                                        ;         Child Loop BB40_27 Depth 4
	v_ashrrev_i32_e32 v8, 31, v7
	s_mov_b32 s5, 0
	s_delay_alu instid0(VALU_DEP_1) | instskip(SKIP_1) | instid1(VALU_DEP_2)
	v_lshlrev_b64 v[11:12], 3, v[7:8]
	v_lshlrev_b64 v[13:14], 2, v[7:8]
	v_add_co_u32 v11, vcc_lo, s38, v11
	s_delay_alu instid0(VALU_DEP_3) | instskip(NEXT) | instid1(VALU_DEP_3)
	v_add_co_ci_u32_e32 v12, vcc_lo, s39, v12, vcc_lo
	v_add_co_u32 v13, vcc_lo, s36, v13
	s_delay_alu instid0(VALU_DEP_4)
	v_add_co_ci_u32_e32 v14, vcc_lo, s37, v14, vcc_lo
	global_load_b64 v[11:12], v[11:12], off
	global_load_b32 v6, v[13:14], off
	s_waitcnt vmcnt(1)
	v_mul_f64 v[11:12], v[9:10], v[11:12]
	s_waitcnt vmcnt(0)
	v_subrev_nc_u32_e32 v6, s25, v6
	s_delay_alu instid0(VALU_DEP_1) | instskip(NEXT) | instid1(VALU_DEP_1)
	v_mul_lo_u32 v8, 0x89, v6
	v_and_b32_e32 v8, 0x3fff, v8
	s_branch .LBB40_15
.LBB40_14:                              ;   in Loop: Header=BB40_15 Depth=3
	s_or_b32 exec_lo, exec_lo, s13
	s_xor_b32 s13, s14, -1
	s_delay_alu instid0(SALU_CYCLE_1) | instskip(NEXT) | instid1(SALU_CYCLE_1)
	s_and_b32 s13, exec_lo, s13
	s_or_b32 s5, s13, s5
	s_delay_alu instid0(SALU_CYCLE_1)
	s_and_not1_b32 exec_lo, exec_lo, s5
	s_cbranch_execz .LBB40_12
.LBB40_15:                              ;   Parent Loop BB40_10 Depth=1
                                        ;     Parent Loop BB40_13 Depth=2
                                        ; =>    This Loop Header: Depth=3
                                        ;         Child Loop BB40_21 Depth 4
                                        ;         Child Loop BB40_27 Depth 4
	s_delay_alu instid0(VALU_DEP_1)
	v_lshl_add_u32 v13, v8, 2, 0
	s_mov_b32 s13, exec_lo
                                        ; implicit-def: $sgpr14
	ds_load_b32 v14, v13
	s_waitcnt lgkmcnt(0)
	v_cmpx_ne_u32_e64 v14, v6
	s_xor_b32 s13, exec_lo, s13
	s_cbranch_execz .LBB40_25
; %bb.16:                               ;   in Loop: Header=BB40_15 Depth=3
	s_mov_b32 s15, exec_lo
                                        ; implicit-def: $sgpr14
	v_cmpx_ne_u32_e64 s33, v14
	s_xor_b32 s15, exec_lo, s15
; %bb.17:                               ;   in Loop: Header=BB40_15 Depth=3
	v_add_nc_u32_e32 v8, 1, v8
	s_mov_b32 s14, -1
                                        ; implicit-def: $vgpr13
	s_delay_alu instid0(VALU_DEP_1)
	v_and_b32_e32 v8, 0x3fff, v8
; %bb.18:                               ;   in Loop: Header=BB40_15 Depth=3
	s_and_not1_saveexec_b32 s15, s15
	s_cbranch_execz .LBB40_24
; %bb.19:                               ;   in Loop: Header=BB40_15 Depth=3
	v_mov_b32_e32 v14, s33
	s_mov_b32 s40, -1
	s_mov_b32 s35, exec_lo
	ds_cmpstore_rtn_b32 v13, v13, v6, v14
	s_waitcnt lgkmcnt(0)
	v_cmpx_eq_u32_e64 s33, v13
	s_cbranch_execz .LBB40_23
; %bb.20:                               ;   in Loop: Header=BB40_15 Depth=3
	v_lshlrev_b32_e32 v13, 3, v8
	s_mov_b32 s40, 0
	s_delay_alu instid0(VALU_DEP_1)
	v_add3_u32 v21, 0, v13, 0x10000
	ds_load_b64 v[13:14], v21
.LBB40_21:                              ;   Parent Loop BB40_10 Depth=1
                                        ;     Parent Loop BB40_13 Depth=2
                                        ;       Parent Loop BB40_15 Depth=3
                                        ; =>      This Inner Loop Header: Depth=4
	s_waitcnt lgkmcnt(0)
	v_add_f64 v[22:23], v[13:14], v[11:12]
	ds_cmpstore_rtn_b64 v[22:23], v21, v[22:23], v[13:14]
	s_waitcnt lgkmcnt(0)
	v_cmp_eq_u64_e32 vcc_lo, v[22:23], v[13:14]
	v_dual_mov_b32 v13, v22 :: v_dual_mov_b32 v14, v23
	s_or_b32 s40, vcc_lo, s40
	s_delay_alu instid0(SALU_CYCLE_1)
	s_and_not1_b32 exec_lo, exec_lo, s40
	s_cbranch_execnz .LBB40_21
; %bb.22:                               ;   in Loop: Header=BB40_15 Depth=3
	s_or_b32 exec_lo, exec_lo, s40
	s_delay_alu instid0(SALU_CYCLE_1)
	s_xor_b32 s40, exec_lo, -1
.LBB40_23:                              ;   in Loop: Header=BB40_15 Depth=3
	s_or_b32 exec_lo, exec_lo, s35
	s_delay_alu instid0(SALU_CYCLE_1) | instskip(SKIP_1) | instid1(SALU_CYCLE_1)
	s_and_not1_b32 s14, s14, exec_lo
	s_and_b32 s35, s40, exec_lo
	s_or_b32 s14, s14, s35
.LBB40_24:                              ;   in Loop: Header=BB40_15 Depth=3
	s_or_b32 exec_lo, exec_lo, s15
	s_delay_alu instid0(SALU_CYCLE_1)
	s_and_b32 s14, s14, exec_lo
.LBB40_25:                              ;   in Loop: Header=BB40_15 Depth=3
	s_and_not1_saveexec_b32 s13, s13
	s_cbranch_execz .LBB40_14
; %bb.26:                               ;   in Loop: Header=BB40_15 Depth=3
	v_lshlrev_b32_e32 v13, 3, v8
	s_mov_b32 s15, 0
	s_delay_alu instid0(VALU_DEP_1)
	v_add3_u32 v21, 0, v13, 0x10000
	ds_load_b64 v[13:14], v21
.LBB40_27:                              ;   Parent Loop BB40_10 Depth=1
                                        ;     Parent Loop BB40_13 Depth=2
                                        ;       Parent Loop BB40_15 Depth=3
                                        ; =>      This Inner Loop Header: Depth=4
	s_waitcnt lgkmcnt(0)
	v_add_f64 v[22:23], v[13:14], v[11:12]
	ds_cmpstore_rtn_b64 v[22:23], v21, v[22:23], v[13:14]
	s_waitcnt lgkmcnt(0)
	v_cmp_eq_u64_e32 vcc_lo, v[22:23], v[13:14]
	v_dual_mov_b32 v13, v22 :: v_dual_mov_b32 v14, v23
	s_or_b32 s15, vcc_lo, s15
	s_delay_alu instid0(SALU_CYCLE_1)
	s_and_not1_b32 exec_lo, exec_lo, s15
	s_cbranch_execnz .LBB40_27
; %bb.28:                               ;   in Loop: Header=BB40_15 Depth=3
	s_or_b32 exec_lo, exec_lo, s15
	s_delay_alu instid0(SALU_CYCLE_1)
	s_and_not1_b32 s14, s14, exec_lo
	s_branch .LBB40_14
.LBB40_29:
	s_or_b32 exec_lo, exec_lo, s1
.LBB40_30:
	s_delay_alu instid0(SALU_CYCLE_1)
	s_and_not1_b32 vcc_lo, exec_lo, s12
	s_cbranch_vccnz .LBB40_51
; %bb.31:
	s_waitcnt lgkmcnt(0)
	s_ashr_i32 s35, s34, 31
	v_subrev_nc_u32_e32 v3, s27, v0
	s_lshl_b64 s[0:1], s[34:35], 2
	s_delay_alu instid0(SALU_CYCLE_1)
	s_add_u32 s0, s16, s0
	s_addc_u32 s1, s17, s1
	s_load_b64 s[0:1], s[0:1], 0x0
	s_waitcnt lgkmcnt(0)
	v_add_nc_u32_e32 v3, s0, v3
	s_sub_i32 s0, s1, s27
	s_mov_b32 s1, exec_lo
	s_delay_alu instid0(VALU_DEP_1)
	v_cmpx_gt_i32_e64 s0, v3
	s_cbranch_execz .LBB40_50
; %bb.32:
	s_mov_b32 s2, 0
	s_branch .LBB40_34
.LBB40_33:                              ;   in Loop: Header=BB40_34 Depth=1
	s_or_b32 exec_lo, exec_lo, s3
	v_add_nc_u32_e32 v3, 0x400, v3
	s_delay_alu instid0(VALU_DEP_1) | instskip(SKIP_1) | instid1(SALU_CYCLE_1)
	v_cmp_le_i32_e32 vcc_lo, s0, v3
	s_or_b32 s2, vcc_lo, s2
	s_and_not1_b32 exec_lo, exec_lo, s2
	s_cbranch_execz .LBB40_50
.LBB40_34:                              ; =>This Loop Header: Depth=1
                                        ;     Child Loop BB40_36 Depth 2
                                        ;       Child Loop BB40_42 Depth 3
                                        ;       Child Loop BB40_48 Depth 3
	v_ashrrev_i32_e32 v4, 31, v3
	s_mov_b32 s3, 0
	s_delay_alu instid0(VALU_DEP_1) | instskip(SKIP_1) | instid1(VALU_DEP_2)
	v_lshlrev_b64 v[5:6], 3, v[3:4]
	v_lshlrev_b64 v[7:8], 2, v[3:4]
	v_add_co_u32 v5, vcc_lo, s20, v5
	s_delay_alu instid0(VALU_DEP_3) | instskip(NEXT) | instid1(VALU_DEP_3)
	v_add_co_ci_u32_e32 v6, vcc_lo, s21, v6, vcc_lo
	v_add_co_u32 v7, vcc_lo, s18, v7
	s_delay_alu instid0(VALU_DEP_4)
	v_add_co_ci_u32_e32 v8, vcc_lo, s19, v8, vcc_lo
	global_load_b64 v[5:6], v[5:6], off
	global_load_b32 v7, v[7:8], off
	s_waitcnt vmcnt(1)
	v_mul_f64 v[4:5], v[1:2], v[5:6]
	s_waitcnt vmcnt(0)
	v_subrev_nc_u32_e32 v8, s27, v7
	s_delay_alu instid0(VALU_DEP_1) | instskip(NEXT) | instid1(VALU_DEP_1)
	v_mul_lo_u32 v6, 0x89, v8
	v_and_b32_e32 v9, 0x3fff, v6
	s_branch .LBB40_36
.LBB40_35:                              ;   in Loop: Header=BB40_36 Depth=2
	s_or_b32 exec_lo, exec_lo, s4
	s_xor_b32 s4, s5, -1
	s_delay_alu instid0(SALU_CYCLE_1) | instskip(NEXT) | instid1(SALU_CYCLE_1)
	s_and_b32 s4, exec_lo, s4
	s_or_b32 s3, s4, s3
	s_delay_alu instid0(SALU_CYCLE_1)
	s_and_not1_b32 exec_lo, exec_lo, s3
	s_cbranch_execz .LBB40_33
.LBB40_36:                              ;   Parent Loop BB40_34 Depth=1
                                        ; =>  This Loop Header: Depth=2
                                        ;       Child Loop BB40_42 Depth 3
                                        ;       Child Loop BB40_48 Depth 3
	s_delay_alu instid0(VALU_DEP_1)
	v_lshl_add_u32 v6, v9, 2, 0
	s_mov_b32 s4, exec_lo
                                        ; implicit-def: $sgpr5
	ds_load_b32 v7, v6
	s_waitcnt lgkmcnt(0)
	v_cmpx_ne_u32_e64 v7, v8
	s_xor_b32 s4, exec_lo, s4
	s_cbranch_execz .LBB40_46
; %bb.37:                               ;   in Loop: Header=BB40_36 Depth=2
	s_mov_b32 s6, exec_lo
                                        ; implicit-def: $sgpr5
	v_cmpx_ne_u32_e64 s33, v7
	s_xor_b32 s6, exec_lo, s6
; %bb.38:                               ;   in Loop: Header=BB40_36 Depth=2
	v_add_nc_u32_e32 v6, 1, v9
	s_mov_b32 s5, -1
	s_delay_alu instid0(VALU_DEP_1)
	v_and_b32_e32 v9, 0x3fff, v6
                                        ; implicit-def: $vgpr6
; %bb.39:                               ;   in Loop: Header=BB40_36 Depth=2
	s_and_not1_saveexec_b32 s6, s6
	s_cbranch_execz .LBB40_45
; %bb.40:                               ;   in Loop: Header=BB40_36 Depth=2
	v_mov_b32_e32 v7, s33
	s_mov_b32 s8, -1
	s_mov_b32 s7, exec_lo
	ds_cmpstore_rtn_b32 v6, v6, v8, v7
	s_waitcnt lgkmcnt(0)
	v_cmpx_eq_u32_e64 s33, v6
	s_cbranch_execz .LBB40_44
; %bb.41:                               ;   in Loop: Header=BB40_36 Depth=2
	v_lshlrev_b32_e32 v6, 3, v9
	s_mov_b32 s8, 0
	s_delay_alu instid0(VALU_DEP_1)
	v_add3_u32 v10, 0, v6, 0x10000
	ds_load_b64 v[6:7], v10
.LBB40_42:                              ;   Parent Loop BB40_34 Depth=1
                                        ;     Parent Loop BB40_36 Depth=2
                                        ; =>    This Inner Loop Header: Depth=3
	s_waitcnt lgkmcnt(0)
	v_add_f64 v[11:12], v[6:7], v[4:5]
	ds_cmpstore_rtn_b64 v[11:12], v10, v[11:12], v[6:7]
	s_waitcnt lgkmcnt(0)
	v_cmp_eq_u64_e32 vcc_lo, v[11:12], v[6:7]
	v_dual_mov_b32 v6, v11 :: v_dual_mov_b32 v7, v12
	s_or_b32 s8, vcc_lo, s8
	s_delay_alu instid0(SALU_CYCLE_1)
	s_and_not1_b32 exec_lo, exec_lo, s8
	s_cbranch_execnz .LBB40_42
; %bb.43:                               ;   in Loop: Header=BB40_36 Depth=2
	s_or_b32 exec_lo, exec_lo, s8
	s_delay_alu instid0(SALU_CYCLE_1)
	s_xor_b32 s8, exec_lo, -1
.LBB40_44:                              ;   in Loop: Header=BB40_36 Depth=2
	s_or_b32 exec_lo, exec_lo, s7
	s_delay_alu instid0(SALU_CYCLE_1) | instskip(SKIP_1) | instid1(SALU_CYCLE_1)
	s_and_not1_b32 s5, s5, exec_lo
	s_and_b32 s7, s8, exec_lo
	s_or_b32 s5, s5, s7
.LBB40_45:                              ;   in Loop: Header=BB40_36 Depth=2
	s_or_b32 exec_lo, exec_lo, s6
	s_delay_alu instid0(SALU_CYCLE_1)
	s_and_b32 s5, s5, exec_lo
.LBB40_46:                              ;   in Loop: Header=BB40_36 Depth=2
	s_and_not1_saveexec_b32 s4, s4
	s_cbranch_execz .LBB40_35
; %bb.47:                               ;   in Loop: Header=BB40_36 Depth=2
	v_lshlrev_b32_e32 v6, 3, v9
	s_mov_b32 s6, 0
	s_delay_alu instid0(VALU_DEP_1)
	v_add3_u32 v10, 0, v6, 0x10000
	ds_load_b64 v[6:7], v10
.LBB40_48:                              ;   Parent Loop BB40_34 Depth=1
                                        ;     Parent Loop BB40_36 Depth=2
                                        ; =>    This Inner Loop Header: Depth=3
	s_waitcnt lgkmcnt(0)
	v_add_f64 v[11:12], v[6:7], v[4:5]
	ds_cmpstore_rtn_b64 v[11:12], v10, v[11:12], v[6:7]
	s_waitcnt lgkmcnt(0)
	v_cmp_eq_u64_e32 vcc_lo, v[11:12], v[6:7]
	v_dual_mov_b32 v6, v11 :: v_dual_mov_b32 v7, v12
	s_or_b32 s6, vcc_lo, s6
	s_delay_alu instid0(SALU_CYCLE_1)
	s_and_not1_b32 exec_lo, exec_lo, s6
	s_cbranch_execnz .LBB40_48
; %bb.49:                               ;   in Loop: Header=BB40_36 Depth=2
	s_or_b32 exec_lo, exec_lo, s6
	s_delay_alu instid0(SALU_CYCLE_1)
	s_and_not1_b32 s5, s5, exec_lo
	s_branch .LBB40_35
.LBB40_50:
	s_or_b32 exec_lo, exec_lo, s1
.LBB40_51:
	v_mbcnt_lo_u32_b32 v1, -1, 0
	v_dual_mov_b32 v5, 0 :: v_dual_lshlrev_b32 v2, 2, v18
	s_add_i32 s38, 0, 0x3003c
	v_cmp_eq_u32_e32 vcc_lo, 0x3ff, v0
	s_delay_alu instid0(VALU_DEP_3) | instskip(NEXT) | instid1(VALU_DEP_3)
	v_xor_b32_e32 v1, 63, v1
	v_add3_u32 v4, 0, 0x30000, v2
	v_cmp_lt_u32_e64 s0, 63, v0
	v_cmp_lt_u32_e64 s1, 0x7f, v0
	;; [unrolled: 1-line block ×3, first 2 shown]
	v_lshrrev_b64 v[1:2], v1, -1
	v_cmp_lt_u32_e64 s3, 0xff, v0
	v_cmp_lt_u32_e64 s4, 0x13f, v0
	;; [unrolled: 1-line block ×12, first 2 shown]
	v_mov_b32_e32 v6, s38
	s_mov_b32 s16, 0
	s_add_i32 s17, 0, 0x30000
	s_add_i32 s18, 0, 0x30004
	;; [unrolled: 1-line block ×15, first 2 shown]
	s_waitcnt lgkmcnt(0)
	s_barrier
	buffer_gl0_inv
	s_branch .LBB40_53
.LBB40_52:                              ;   in Loop: Header=BB40_53 Depth=1
	s_or_b32 exec_lo, exec_lo, s15
	s_waitcnt lgkmcnt(0)
	s_barrier
	buffer_gl0_inv
	ds_load_b32 v2, v6
	v_add_nc_u32_e32 v17, 0x400, v17
	v_add_nc_u32_e32 v16, 0x2000, v16
	;; [unrolled: 1-line block ×3, first 2 shown]
	s_delay_alu instid0(VALU_DEP_3) | instskip(NEXT) | instid1(VALU_DEP_1)
	v_cmp_lt_u32_e64 s15, 0x3bff, v17
	s_or_b32 s16, s15, s16
	s_waitcnt lgkmcnt(0)
	v_add_nc_u32_e32 v5, v2, v5
	s_and_not1_b32 exec_lo, exec_lo, s16
	s_cbranch_execz .LBB40_87
.LBB40_53:                              ; =>This Inner Loop Header: Depth=1
	ds_load_b32 v7, v15
	ds_load_b64 v[2:3], v16
	s_waitcnt lgkmcnt(0)
	s_barrier
	buffer_gl0_inv
	v_cmp_gt_i32_e64 s15, s33, v7
	s_delay_alu instid0(VALU_DEP_1) | instskip(NEXT) | instid1(SALU_CYCLE_1)
	s_bcnt1_i32_b32 s43, s15
	v_dual_mov_b32 v9, s43 :: v_dual_and_b32 v8, s15, v1
	s_delay_alu instid0(VALU_DEP_1)
	v_bcnt_u32_b32 v8, v8, 0
	ds_store_b32 v4, v9
	s_waitcnt lgkmcnt(0)
	s_barrier
	buffer_gl0_inv
	s_and_saveexec_b32 s43, s0
	s_cbranch_execnz .LBB40_70
; %bb.54:                               ;   in Loop: Header=BB40_53 Depth=1
	s_or_b32 exec_lo, exec_lo, s43
	s_and_saveexec_b32 s43, s1
	s_cbranch_execnz .LBB40_71
.LBB40_55:                              ;   in Loop: Header=BB40_53 Depth=1
	s_or_b32 exec_lo, exec_lo, s43
	s_and_saveexec_b32 s43, s2
	s_cbranch_execnz .LBB40_72
.LBB40_56:                              ;   in Loop: Header=BB40_53 Depth=1
	s_or_b32 exec_lo, exec_lo, s43
	s_and_saveexec_b32 s43, s3
	s_cbranch_execnz .LBB40_73
.LBB40_57:                              ;   in Loop: Header=BB40_53 Depth=1
	s_or_b32 exec_lo, exec_lo, s43
	s_and_saveexec_b32 s43, s4
	s_cbranch_execnz .LBB40_74
.LBB40_58:                              ;   in Loop: Header=BB40_53 Depth=1
	s_or_b32 exec_lo, exec_lo, s43
	s_and_saveexec_b32 s43, s5
	s_cbranch_execnz .LBB40_75
.LBB40_59:                              ;   in Loop: Header=BB40_53 Depth=1
	s_or_b32 exec_lo, exec_lo, s43
	s_and_saveexec_b32 s43, s6
	s_cbranch_execnz .LBB40_76
.LBB40_60:                              ;   in Loop: Header=BB40_53 Depth=1
	s_or_b32 exec_lo, exec_lo, s43
	s_and_saveexec_b32 s43, s7
	s_cbranch_execnz .LBB40_77
.LBB40_61:                              ;   in Loop: Header=BB40_53 Depth=1
	s_or_b32 exec_lo, exec_lo, s43
	s_and_saveexec_b32 s43, s8
	s_cbranch_execnz .LBB40_78
.LBB40_62:                              ;   in Loop: Header=BB40_53 Depth=1
	s_or_b32 exec_lo, exec_lo, s43
	s_and_saveexec_b32 s43, s9
	s_cbranch_execnz .LBB40_79
.LBB40_63:                              ;   in Loop: Header=BB40_53 Depth=1
	s_or_b32 exec_lo, exec_lo, s43
	s_and_saveexec_b32 s43, s10
	s_cbranch_execnz .LBB40_80
.LBB40_64:                              ;   in Loop: Header=BB40_53 Depth=1
	s_or_b32 exec_lo, exec_lo, s43
	s_and_saveexec_b32 s43, s11
	s_cbranch_execnz .LBB40_81
.LBB40_65:                              ;   in Loop: Header=BB40_53 Depth=1
	s_or_b32 exec_lo, exec_lo, s43
	s_and_saveexec_b32 s43, s12
	s_cbranch_execnz .LBB40_82
.LBB40_66:                              ;   in Loop: Header=BB40_53 Depth=1
	s_or_b32 exec_lo, exec_lo, s43
	s_and_saveexec_b32 s43, s13
	s_cbranch_execnz .LBB40_83
.LBB40_67:                              ;   in Loop: Header=BB40_53 Depth=1
	s_or_b32 exec_lo, exec_lo, s43
	s_and_saveexec_b32 s43, s14
	s_cbranch_execnz .LBB40_84
.LBB40_68:                              ;   in Loop: Header=BB40_53 Depth=1
	s_or_b32 exec_lo, exec_lo, s43
	s_and_saveexec_b32 s43, s15
	s_cbranch_execnz .LBB40_85
.LBB40_69:                              ;   in Loop: Header=BB40_53 Depth=1
	s_or_b32 exec_lo, exec_lo, s43
	s_and_saveexec_b32 s15, vcc_lo
	s_cbranch_execz .LBB40_52
	s_branch .LBB40_86
.LBB40_70:                              ;   in Loop: Header=BB40_53 Depth=1
	v_mov_b32_e32 v9, s17
	ds_load_b32 v9, v9
	s_waitcnt lgkmcnt(0)
	v_add_nc_u32_e32 v8, v9, v8
	s_or_b32 exec_lo, exec_lo, s43
	s_and_saveexec_b32 s43, s1
	s_cbranch_execz .LBB40_55
.LBB40_71:                              ;   in Loop: Header=BB40_53 Depth=1
	v_mov_b32_e32 v9, s18
	ds_load_b32 v9, v9
	s_waitcnt lgkmcnt(0)
	v_add_nc_u32_e32 v8, v9, v8
	s_or_b32 exec_lo, exec_lo, s43
	s_and_saveexec_b32 s43, s2
	s_cbranch_execz .LBB40_56
.LBB40_72:                              ;   in Loop: Header=BB40_53 Depth=1
	v_mov_b32_e32 v9, s19
	ds_load_b32 v9, v9
	s_waitcnt lgkmcnt(0)
	v_add_nc_u32_e32 v8, v9, v8
	s_or_b32 exec_lo, exec_lo, s43
	s_and_saveexec_b32 s43, s3
	s_cbranch_execz .LBB40_57
.LBB40_73:                              ;   in Loop: Header=BB40_53 Depth=1
	v_mov_b32_e32 v9, s20
	ds_load_b32 v9, v9
	s_waitcnt lgkmcnt(0)
	v_add_nc_u32_e32 v8, v9, v8
	s_or_b32 exec_lo, exec_lo, s43
	s_and_saveexec_b32 s43, s4
	s_cbranch_execz .LBB40_58
.LBB40_74:                              ;   in Loop: Header=BB40_53 Depth=1
	v_mov_b32_e32 v9, s21
	ds_load_b32 v9, v9
	s_waitcnt lgkmcnt(0)
	v_add_nc_u32_e32 v8, v9, v8
	s_or_b32 exec_lo, exec_lo, s43
	s_and_saveexec_b32 s43, s5
	s_cbranch_execz .LBB40_59
.LBB40_75:                              ;   in Loop: Header=BB40_53 Depth=1
	v_mov_b32_e32 v9, s24
	ds_load_b32 v9, v9
	s_waitcnt lgkmcnt(0)
	v_add_nc_u32_e32 v8, v9, v8
	s_or_b32 exec_lo, exec_lo, s43
	s_and_saveexec_b32 s43, s6
	s_cbranch_execz .LBB40_60
.LBB40_76:                              ;   in Loop: Header=BB40_53 Depth=1
	v_mov_b32_e32 v9, s25
	ds_load_b32 v9, v9
	s_waitcnt lgkmcnt(0)
	v_add_nc_u32_e32 v8, v9, v8
	s_or_b32 exec_lo, exec_lo, s43
	s_and_saveexec_b32 s43, s7
	s_cbranch_execz .LBB40_61
.LBB40_77:                              ;   in Loop: Header=BB40_53 Depth=1
	v_mov_b32_e32 v9, s27
	ds_load_b32 v9, v9
	s_waitcnt lgkmcnt(0)
	v_add_nc_u32_e32 v8, v9, v8
	s_or_b32 exec_lo, exec_lo, s43
	s_and_saveexec_b32 s43, s8
	s_cbranch_execz .LBB40_62
.LBB40_78:                              ;   in Loop: Header=BB40_53 Depth=1
	v_mov_b32_e32 v9, s35
	ds_load_b32 v9, v9
	s_waitcnt lgkmcnt(0)
	v_add_nc_u32_e32 v8, v9, v8
	s_or_b32 exec_lo, exec_lo, s43
	s_and_saveexec_b32 s43, s9
	s_cbranch_execz .LBB40_63
.LBB40_79:                              ;   in Loop: Header=BB40_53 Depth=1
	v_mov_b32_e32 v9, s36
	ds_load_b32 v9, v9
	s_waitcnt lgkmcnt(0)
	v_add_nc_u32_e32 v8, v9, v8
	s_or_b32 exec_lo, exec_lo, s43
	s_and_saveexec_b32 s43, s10
	s_cbranch_execz .LBB40_64
.LBB40_80:                              ;   in Loop: Header=BB40_53 Depth=1
	v_mov_b32_e32 v9, s37
	ds_load_b32 v9, v9
	s_waitcnt lgkmcnt(0)
	v_add_nc_u32_e32 v8, v9, v8
	s_or_b32 exec_lo, exec_lo, s43
	s_and_saveexec_b32 s43, s11
	s_cbranch_execz .LBB40_65
.LBB40_81:                              ;   in Loop: Header=BB40_53 Depth=1
	v_mov_b32_e32 v9, s39
	ds_load_b32 v9, v9
	s_waitcnt lgkmcnt(0)
	v_add_nc_u32_e32 v8, v9, v8
	s_or_b32 exec_lo, exec_lo, s43
	s_and_saveexec_b32 s43, s12
	s_cbranch_execz .LBB40_66
.LBB40_82:                              ;   in Loop: Header=BB40_53 Depth=1
	v_mov_b32_e32 v9, s40
	ds_load_b32 v9, v9
	s_waitcnt lgkmcnt(0)
	v_add_nc_u32_e32 v8, v9, v8
	s_or_b32 exec_lo, exec_lo, s43
	s_and_saveexec_b32 s43, s13
	s_cbranch_execz .LBB40_67
.LBB40_83:                              ;   in Loop: Header=BB40_53 Depth=1
	v_mov_b32_e32 v9, s41
	ds_load_b32 v9, v9
	s_waitcnt lgkmcnt(0)
	v_add_nc_u32_e32 v8, v9, v8
	s_or_b32 exec_lo, exec_lo, s43
	s_and_saveexec_b32 s43, s14
	s_cbranch_execz .LBB40_68
.LBB40_84:                              ;   in Loop: Header=BB40_53 Depth=1
	v_mov_b32_e32 v9, s42
	ds_load_b32 v9, v9
	s_waitcnt lgkmcnt(0)
	v_add_nc_u32_e32 v8, v9, v8
	s_or_b32 exec_lo, exec_lo, s43
	s_and_saveexec_b32 s43, s15
	s_cbranch_execz .LBB40_69
.LBB40_85:                              ;   in Loop: Header=BB40_53 Depth=1
	s_delay_alu instid0(VALU_DEP_1) | instskip(NEXT) | instid1(VALU_DEP_1)
	v_add3_u32 v9, v5, -1, v8
	v_lshlrev_b32_e32 v10, 3, v9
	v_lshl_add_u32 v9, v9, 2, 0
	s_delay_alu instid0(VALU_DEP_2)
	v_add3_u32 v10, 0, v10, 0x10000
	ds_store_b32 v9, v7
	ds_store_b64 v10, v[2:3]
	s_or_b32 exec_lo, exec_lo, s43
	s_and_saveexec_b32 s15, vcc_lo
	s_cbranch_execz .LBB40_52
.LBB40_86:                              ;   in Loop: Header=BB40_53 Depth=1
	v_mov_b32_e32 v2, s38
	ds_store_b32 v2, v8
	s_branch .LBB40_52
.LBB40_87:
	s_or_b32 exec_lo, exec_lo, s16
	s_ashr_i32 s35, s34, 31
	s_mov_b32 s3, exec_lo
	s_lshl_b64 s[0:1], s[34:35], 2
	s_delay_alu instid0(SALU_CYCLE_1) | instskip(SKIP_4) | instid1(SALU_CYCLE_1)
	s_add_u32 s0, s22, s0
	s_addc_u32 s1, s23, s1
	s_load_b64 s[0:1], s[0:1], 0x0
	s_waitcnt lgkmcnt(0)
	s_sub_i32 s2, s1, s0
	v_cmpx_gt_i32_e64 s2, v0
	s_cbranch_execz .LBB40_97
; %bb.88:
	s_sub_i32 s3, s0, s26
	s_sub_i32 s0, s0, s1
	s_and_b32 s1, s2, 7
	s_cmp_lt_u32 s0, -7
	s_mov_b32 s7, 0
	s_cselect_b32 s4, -1, 0
	s_and_b32 s5, s2, -8
	s_cmp_lg_u32 s1, 0
	s_cselect_b32 s6, -1, 0
	s_branch .LBB40_90
.LBB40_89:                              ;   in Loop: Header=BB40_90 Depth=1
	s_delay_alu instid0(VALU_DEP_1) | instskip(SKIP_3) | instid1(VALU_DEP_3)
	v_ashrrev_i32_e32 v4, 31, v3
	v_add_nc_u32_e32 v0, 0x400, v0
	s_waitcnt lgkmcnt(1)
	v_add_nc_u32_e32 v8, s26, v5
	v_lshlrev_b64 v[6:7], 2, v[3:4]
	v_lshlrev_b64 v[3:4], 3, v[3:4]
	v_cmp_le_i32_e32 vcc_lo, s2, v0
	s_delay_alu instid0(VALU_DEP_3) | instskip(NEXT) | instid1(VALU_DEP_1)
	v_add_co_u32 v5, s0, s28, v6
	v_add_co_ci_u32_e64 v6, s0, s29, v7, s0
	s_delay_alu instid0(VALU_DEP_4) | instskip(NEXT) | instid1(VALU_DEP_1)
	v_add_co_u32 v3, s0, s30, v3
	v_add_co_ci_u32_e64 v4, s0, s31, v4, s0
	s_or_b32 s7, vcc_lo, s7
	global_store_b32 v[5:6], v8, off
	s_waitcnt lgkmcnt(0)
	global_store_b64 v[3:4], v[1:2], off
	s_and_not1_b32 exec_lo, exec_lo, s7
	s_cbranch_execz .LBB40_97
.LBB40_90:                              ; =>This Loop Header: Depth=1
                                        ;     Child Loop BB40_92 Depth 2
                                        ;     Child Loop BB40_96 Depth 2
	v_lshlrev_b32_e32 v1, 3, v0
	v_lshl_add_u32 v2, v0, 2, 0
	v_mov_b32_e32 v3, s3
	s_and_not1_b32 vcc_lo, exec_lo, s4
	s_mov_b32 s0, 0
	v_add3_u32 v1, 0, v1, 0x10000
	ds_load_b32 v5, v2
	ds_load_b64 v[1:2], v1
	s_cbranch_vccnz .LBB40_94
; %bb.91:                               ;   in Loop: Header=BB40_90 Depth=1
	v_mov_b32_e32 v3, s3
	s_mov_b32 s8, 0
	s_set_inst_prefetch_distance 0x1
	.p2align	6
.LBB40_92:                              ;   Parent Loop BB40_90 Depth=1
                                        ; =>  This Inner Loop Header: Depth=2
	v_mov_b32_e32 v4, s8
	s_add_i32 s0, s0, 8
	s_add_i32 s8, s8, 32
	s_cmp_eq_u32 s5, s0
	ds_load_2addr_b32 v[6:7], v4 offset1:1
	ds_load_2addr_b32 v[8:9], v4 offset0:2 offset1:3
	ds_load_2addr_b32 v[10:11], v4 offset0:4 offset1:5
	;; [unrolled: 1-line block ×3, first 2 shown]
	s_waitcnt lgkmcnt(3)
	v_cmp_gt_i32_e32 vcc_lo, v5, v6
	v_cndmask_b32_e64 v4, 0, 1, vcc_lo
	s_waitcnt lgkmcnt(2)
	v_cmp_gt_i32_e32 vcc_lo, v5, v8
	v_cndmask_b32_e64 v6, 0, 1, vcc_lo
	v_cmp_gt_i32_e32 vcc_lo, v5, v7
	v_add_co_ci_u32_e32 v3, vcc_lo, v3, v4, vcc_lo
	s_waitcnt lgkmcnt(1)
	v_cmp_gt_i32_e32 vcc_lo, v5, v10
	v_cndmask_b32_e64 v4, 0, 1, vcc_lo
	v_cmp_gt_i32_e32 vcc_lo, v5, v9
	v_add_co_ci_u32_e32 v3, vcc_lo, v3, v6, vcc_lo
	;; [unrolled: 5-line block ×3, first 2 shown]
	v_cmp_gt_i32_e32 vcc_lo, v5, v13
	s_delay_alu instid0(VALU_DEP_2)
	v_add_co_ci_u32_e32 v3, vcc_lo, v3, v6, vcc_lo
	s_cbranch_scc0 .LBB40_92
; %bb.93:                               ;   in Loop: Header=BB40_90 Depth=1
	s_set_inst_prefetch_distance 0x2
	s_mov_b32 s0, s5
.LBB40_94:                              ;   in Loop: Header=BB40_90 Depth=1
	s_and_not1_b32 vcc_lo, exec_lo, s6
	s_cbranch_vccnz .LBB40_89
; %bb.95:                               ;   in Loop: Header=BB40_90 Depth=1
	s_lshl_b32 s0, s0, 2
	s_mov_b32 s8, s1
	s_add_i32 s0, s0, 0
.LBB40_96:                              ;   Parent Loop BB40_90 Depth=1
                                        ; =>  This Inner Loop Header: Depth=2
	s_delay_alu instid0(SALU_CYCLE_1)
	v_mov_b32_e32 v4, s0
	s_add_i32 s8, s8, -1
	s_add_i32 s0, s0, 4
	s_cmp_lg_u32 s8, 0
	ds_load_b32 v4, v4
	s_waitcnt lgkmcnt(0)
	v_cmp_gt_i32_e32 vcc_lo, v5, v4
	v_add_co_ci_u32_e32 v3, vcc_lo, 0, v3, vcc_lo
	s_cbranch_scc1 .LBB40_96
	s_branch .LBB40_89
.LBB40_97:
	s_nop 0
	s_sendmsg sendmsg(MSG_DEALLOC_VGPRS)
	s_endpgm
	.section	.rodata,"a",@progbits
	.p2align	6, 0x0
	.amdhsa_kernel _ZN9rocsparseL26csrgemm_fill_block_per_rowILj1024ELj64ELj16384ELj137ELj64EiidEEvT5_PKS1_S3_NS_24const_host_device_scalarIT6_EEPKT4_S3_PKS5_S9_S3_SB_S6_S9_S3_SB_S9_PS1_PS5_21rocsparse_index_base_SE_SE_SE_bbb
		.amdhsa_group_segment_fixed_size 0
		.amdhsa_private_segment_fixed_size 0
		.amdhsa_kernarg_size 156
		.amdhsa_user_sgpr_count 15
		.amdhsa_user_sgpr_dispatch_ptr 0
		.amdhsa_user_sgpr_queue_ptr 0
		.amdhsa_user_sgpr_kernarg_segment_ptr 1
		.amdhsa_user_sgpr_dispatch_id 0
		.amdhsa_user_sgpr_private_segment_size 0
		.amdhsa_wavefront_size32 1
		.amdhsa_uses_dynamic_stack 0
		.amdhsa_enable_private_segment 0
		.amdhsa_system_sgpr_workgroup_id_x 1
		.amdhsa_system_sgpr_workgroup_id_y 0
		.amdhsa_system_sgpr_workgroup_id_z 0
		.amdhsa_system_sgpr_workgroup_info 0
		.amdhsa_system_vgpr_workitem_id 0
		.amdhsa_next_free_vgpr 24
		.amdhsa_next_free_sgpr 44
		.amdhsa_reserve_vcc 1
		.amdhsa_float_round_mode_32 0
		.amdhsa_float_round_mode_16_64 0
		.amdhsa_float_denorm_mode_32 3
		.amdhsa_float_denorm_mode_16_64 3
		.amdhsa_dx10_clamp 1
		.amdhsa_ieee_mode 1
		.amdhsa_fp16_overflow 0
		.amdhsa_workgroup_processor_mode 1
		.amdhsa_memory_ordered 1
		.amdhsa_forward_progress 0
		.amdhsa_shared_vgpr_count 0
		.amdhsa_exception_fp_ieee_invalid_op 0
		.amdhsa_exception_fp_denorm_src 0
		.amdhsa_exception_fp_ieee_div_zero 0
		.amdhsa_exception_fp_ieee_overflow 0
		.amdhsa_exception_fp_ieee_underflow 0
		.amdhsa_exception_fp_ieee_inexact 0
		.amdhsa_exception_int_div_zero 0
	.end_amdhsa_kernel
	.section	.text._ZN9rocsparseL26csrgemm_fill_block_per_rowILj1024ELj64ELj16384ELj137ELj64EiidEEvT5_PKS1_S3_NS_24const_host_device_scalarIT6_EEPKT4_S3_PKS5_S9_S3_SB_S6_S9_S3_SB_S9_PS1_PS5_21rocsparse_index_base_SE_SE_SE_bbb,"axG",@progbits,_ZN9rocsparseL26csrgemm_fill_block_per_rowILj1024ELj64ELj16384ELj137ELj64EiidEEvT5_PKS1_S3_NS_24const_host_device_scalarIT6_EEPKT4_S3_PKS5_S9_S3_SB_S6_S9_S3_SB_S9_PS1_PS5_21rocsparse_index_base_SE_SE_SE_bbb,comdat
.Lfunc_end40:
	.size	_ZN9rocsparseL26csrgemm_fill_block_per_rowILj1024ELj64ELj16384ELj137ELj64EiidEEvT5_PKS1_S3_NS_24const_host_device_scalarIT6_EEPKT4_S3_PKS5_S9_S3_SB_S6_S9_S3_SB_S9_PS1_PS5_21rocsparse_index_base_SE_SE_SE_bbb, .Lfunc_end40-_ZN9rocsparseL26csrgemm_fill_block_per_rowILj1024ELj64ELj16384ELj137ELj64EiidEEvT5_PKS1_S3_NS_24const_host_device_scalarIT6_EEPKT4_S3_PKS5_S9_S3_SB_S6_S9_S3_SB_S9_PS1_PS5_21rocsparse_index_base_SE_SE_SE_bbb
                                        ; -- End function
	.section	.AMDGPU.csdata,"",@progbits
; Kernel info:
; codeLenInByte = 3780
; NumSgprs: 46
; NumVgprs: 24
; ScratchSize: 0
; MemoryBound: 0
; FloatMode: 240
; IeeeMode: 1
; LDSByteSize: 0 bytes/workgroup (compile time only)
; SGPRBlocks: 5
; VGPRBlocks: 2
; NumSGPRsForWavesPerEU: 46
; NumVGPRsForWavesPerEU: 24
; Occupancy: 16
; WaveLimiterHint : 1
; COMPUTE_PGM_RSRC2:SCRATCH_EN: 0
; COMPUTE_PGM_RSRC2:USER_SGPR: 15
; COMPUTE_PGM_RSRC2:TRAP_HANDLER: 0
; COMPUTE_PGM_RSRC2:TGID_X_EN: 1
; COMPUTE_PGM_RSRC2:TGID_Y_EN: 0
; COMPUTE_PGM_RSRC2:TGID_Z_EN: 0
; COMPUTE_PGM_RSRC2:TIDIG_COMP_CNT: 0
	.section	.text._ZN9rocsparseL26csrgemm_fill_block_per_rowILj1024ELj64ELj32768ELj137ELj32EiidEEvT5_PKS1_S3_NS_24const_host_device_scalarIT6_EEPKT4_S3_PKS5_S9_S3_SB_S6_S9_S3_SB_S9_PS1_PS5_21rocsparse_index_base_SE_SE_SE_bbb,"axG",@progbits,_ZN9rocsparseL26csrgemm_fill_block_per_rowILj1024ELj64ELj32768ELj137ELj32EiidEEvT5_PKS1_S3_NS_24const_host_device_scalarIT6_EEPKT4_S3_PKS5_S9_S3_SB_S6_S9_S3_SB_S9_PS1_PS5_21rocsparse_index_base_SE_SE_SE_bbb,comdat
	.globl	_ZN9rocsparseL26csrgemm_fill_block_per_rowILj1024ELj64ELj32768ELj137ELj32EiidEEvT5_PKS1_S3_NS_24const_host_device_scalarIT6_EEPKT4_S3_PKS5_S9_S3_SB_S6_S9_S3_SB_S9_PS1_PS5_21rocsparse_index_base_SE_SE_SE_bbb ; -- Begin function _ZN9rocsparseL26csrgemm_fill_block_per_rowILj1024ELj64ELj32768ELj137ELj32EiidEEvT5_PKS1_S3_NS_24const_host_device_scalarIT6_EEPKT4_S3_PKS5_S9_S3_SB_S6_S9_S3_SB_S9_PS1_PS5_21rocsparse_index_base_SE_SE_SE_bbb
	.p2align	8
	.type	_ZN9rocsparseL26csrgemm_fill_block_per_rowILj1024ELj64ELj32768ELj137ELj32EiidEEvT5_PKS1_S3_NS_24const_host_device_scalarIT6_EEPKT4_S3_PKS5_S9_S3_SB_S6_S9_S3_SB_S9_PS1_PS5_21rocsparse_index_base_SE_SE_SE_bbb,@function
_ZN9rocsparseL26csrgemm_fill_block_per_rowILj1024ELj64ELj32768ELj137ELj32EiidEEvT5_PKS1_S3_NS_24const_host_device_scalarIT6_EEPKT4_S3_PKS5_S9_S3_SB_S6_S9_S3_SB_S9_PS1_PS5_21rocsparse_index_base_SE_SE_SE_bbb: ; @_ZN9rocsparseL26csrgemm_fill_block_per_rowILj1024ELj64ELj32768ELj137ELj32EiidEEvT5_PKS1_S3_NS_24const_host_device_scalarIT6_EEPKT4_S3_PKS5_S9_S3_SB_S6_S9_S3_SB_S9_PS1_PS5_21rocsparse_index_base_SE_SE_SE_bbb
; %bb.0:
	s_clause 0x3
	s_load_b32 s12, s[0:1], 0x98
	s_load_b64 s[4:5], s[0:1], 0x18
	s_load_b128 s[44:47], s[0:1], 0x88
	s_load_b64 s[2:3], s[0:1], 0x50
	s_waitcnt lgkmcnt(0)
	s_and_b32 s6, 1, s12
	s_bitcmp1_b32 s12, 16
	s_cselect_b32 s14, -1, 0
	s_cmp_eq_u32 s6, 1
	s_cselect_b32 s13, -1, 0
	s_delay_alu instid0(SALU_CYCLE_1)
	s_and_b32 s6, s13, exec_lo
	s_cselect_b32 s7, s5, 0
	s_cselect_b32 s6, s4, 0
	s_xor_b32 s8, s13, -1
	v_dual_mov_b32 v3, s6 :: v_dual_mov_b32 v4, s7
	s_or_b32 s8, s8, s14
	s_delay_alu instid0(SALU_CYCLE_1)
	s_and_b32 vcc_lo, exec_lo, s8
	s_cbranch_vccnz .LBB41_2
; %bb.1:
	v_dual_mov_b32 v1, s4 :: v_dual_mov_b32 v2, s5
	flat_load_b64 v[3:4], v[1:2]
.LBB41_2:
	s_clause 0x4
	s_load_b128 s[48:51], s[0:1], 0x78
	s_load_b256 s[36:43], s[0:1], 0x58
	s_load_b128 s[16:19], s[0:1], 0x40
	s_load_b128 s[20:23], s[0:1], 0x8
	s_load_b256 s[4:11], s[0:1], 0x20
	s_bitcmp1_b32 s12, 8
	s_cselect_b32 s12, -1, 0
	s_delay_alu instid0(SALU_CYCLE_1)
	s_and_b32 s24, s12, exec_lo
	s_cselect_b32 s25, s3, 0
	s_cselect_b32 s24, s2, 0
	s_xor_b32 s26, s12, -1
	v_dual_mov_b32 v1, s24 :: v_dual_mov_b32 v2, s25
	s_or_b32 s14, s26, s14
	s_delay_alu instid0(SALU_CYCLE_1)
	s_and_b32 vcc_lo, exec_lo, s14
	s_cbranch_vccnz .LBB41_4
; %bb.3:
	v_dual_mov_b32 v1, s2 :: v_dual_mov_b32 v2, s3
	flat_load_b64 v[1:2], v[1:2]
.LBB41_4:
	s_load_b32 s33, s[0:1], 0x0
	v_dual_mov_b32 v5, 0 :: v_dual_lshlrev_b32 v6, 3, v0
	v_lshl_add_u32 v15, v0, 2, 0
	v_or_b32_e32 v17, 0xfffffc00, v0
	s_mov_b32 s0, 0
	s_delay_alu instid0(VALU_DEP_3) | instskip(NEXT) | instid1(VALU_DEP_3)
	v_add3_u32 v16, v6, 0, 0x20000
	v_dual_mov_b32 v6, v5 :: v_dual_mov_b32 v7, v15
	s_delay_alu instid0(VALU_DEP_3) | instskip(SKIP_1) | instid1(VALU_DEP_3)
	v_mov_b32_e32 v10, v17
	s_waitcnt lgkmcnt(0)
	v_dual_mov_b32 v8, v16 :: v_dual_mov_b32 v9, s33
.LBB41_5:                               ; =>This Inner Loop Header: Depth=1
	s_delay_alu instid0(VALU_DEP_2)
	v_add_nc_u32_e32 v10, 0x400, v10
	ds_store_b32 v7, v9
	ds_store_b64 v8, v[5:6]
	v_add_nc_u32_e32 v8, 0x2000, v8
	v_add_nc_u32_e32 v7, 0x1000, v7
	v_cmp_lt_u32_e32 vcc_lo, 0x7bff, v10
	s_or_b32 s0, vcc_lo, s0
	s_delay_alu instid0(SALU_CYCLE_1)
	s_and_not1_b32 exec_lo, exec_lo, s0
	s_cbranch_execnz .LBB41_5
; %bb.6:
	s_or_b32 exec_lo, exec_lo, s0
	s_waitcnt vmcnt(0) lgkmcnt(0)
	s_barrier
	buffer_gl0_inv
	s_load_b32 s0, s[20:21], 0x0
	s_mov_b32 s1, 0
	s_waitcnt lgkmcnt(0)
	s_add_i32 s0, s0, s15
	s_delay_alu instid0(SALU_CYCLE_1) | instskip(NEXT) | instid1(SALU_CYCLE_1)
	s_lshl_b64 s[0:1], s[0:1], 2
	s_add_u32 s0, s22, s0
	s_addc_u32 s1, s23, s1
	s_and_b32 vcc_lo, exec_lo, s13
	s_load_b32 s34, s[0:1], 0x0
	s_cbranch_vccz .LBB41_30
; %bb.7:
	s_waitcnt lgkmcnt(0)
	s_ashr_i32 s35, s34, 31
	v_lshrrev_b32_e32 v5, 6, v0
	s_lshl_b64 s[0:1], s[34:35], 2
	s_delay_alu instid0(SALU_CYCLE_1) | instskip(SKIP_1) | instid1(VALU_DEP_1)
	s_add_u32 s0, s4, s0
	s_addc_u32 s1, s5, s1
	v_subrev_nc_u32_e32 v5, s44, v5
	s_load_b64 s[0:1], s[0:1], 0x0
	s_waitcnt lgkmcnt(0)
	s_delay_alu instid0(VALU_DEP_1) | instskip(SKIP_2) | instid1(VALU_DEP_1)
	v_add_nc_u32_e32 v5, s0, v5
	s_sub_i32 s0, s1, s44
	s_mov_b32 s1, exec_lo
	v_cmpx_gt_i32_e64 s0, v5
	s_cbranch_execz .LBB41_29
; %bb.8:
	v_and_b32_e32 v6, 63, v0
	s_mov_b32 s2, 0
	s_delay_alu instid0(VALU_DEP_1)
	v_subrev_nc_u32_e32 v18, s45, v6
	s_branch .LBB41_10
.LBB41_9:                               ;   in Loop: Header=BB41_10 Depth=1
	s_or_b32 exec_lo, exec_lo, s3
	v_add_nc_u32_e32 v5, 16, v5
	s_delay_alu instid0(VALU_DEP_1) | instskip(SKIP_1) | instid1(SALU_CYCLE_1)
	v_cmp_le_i32_e32 vcc_lo, s0, v5
	s_or_b32 s2, vcc_lo, s2
	s_and_not1_b32 exec_lo, exec_lo, s2
	s_cbranch_execz .LBB41_29
.LBB41_10:                              ; =>This Loop Header: Depth=1
                                        ;     Child Loop BB41_13 Depth 2
                                        ;       Child Loop BB41_15 Depth 3
                                        ;         Child Loop BB41_21 Depth 4
                                        ;         Child Loop BB41_27 Depth 4
	v_ashrrev_i32_e32 v6, 31, v5
	s_mov_b32 s3, exec_lo
	s_delay_alu instid0(VALU_DEP_1) | instskip(NEXT) | instid1(VALU_DEP_1)
	v_lshlrev_b64 v[7:8], 2, v[5:6]
	v_add_co_u32 v7, vcc_lo, s6, v7
	s_delay_alu instid0(VALU_DEP_2) | instskip(SKIP_3) | instid1(VALU_DEP_1)
	v_add_co_ci_u32_e32 v8, vcc_lo, s7, v8, vcc_lo
	global_load_b32 v7, v[7:8], off
	s_waitcnt vmcnt(0)
	v_subrev_nc_u32_e32 v7, s44, v7
	v_ashrrev_i32_e32 v8, 31, v7
	s_delay_alu instid0(VALU_DEP_1) | instskip(NEXT) | instid1(VALU_DEP_1)
	v_lshlrev_b64 v[7:8], 2, v[7:8]
	v_add_co_u32 v7, vcc_lo, s10, v7
	s_delay_alu instid0(VALU_DEP_2) | instskip(SKIP_4) | instid1(VALU_DEP_1)
	v_add_co_ci_u32_e32 v8, vcc_lo, s11, v8, vcc_lo
	global_load_b64 v[7:8], v[7:8], off
	s_waitcnt vmcnt(0)
	v_subrev_nc_u32_e32 v19, s45, v8
	v_add_nc_u32_e32 v7, v7, v18
	v_cmpx_lt_i32_e64 v7, v19
	s_cbranch_execz .LBB41_9
; %bb.11:                               ;   in Loop: Header=BB41_10 Depth=1
	v_lshlrev_b64 v[8:9], 3, v[5:6]
	s_mov_b32 s4, 0
	s_delay_alu instid0(VALU_DEP_1) | instskip(NEXT) | instid1(VALU_DEP_2)
	v_add_co_u32 v8, vcc_lo, s8, v8
	v_add_co_ci_u32_e32 v9, vcc_lo, s9, v9, vcc_lo
	global_load_b64 v[8:9], v[8:9], off
	s_waitcnt vmcnt(0)
	v_mul_f64 v[9:10], v[3:4], v[8:9]
	s_branch .LBB41_13
.LBB41_12:                              ;   in Loop: Header=BB41_13 Depth=2
	s_or_b32 exec_lo, exec_lo, s5
	v_add_nc_u32_e32 v7, 64, v7
	s_delay_alu instid0(VALU_DEP_1) | instskip(SKIP_1) | instid1(SALU_CYCLE_1)
	v_cmp_ge_i32_e32 vcc_lo, v7, v19
	s_or_b32 s4, vcc_lo, s4
	s_and_not1_b32 exec_lo, exec_lo, s4
	s_cbranch_execz .LBB41_9
.LBB41_13:                              ;   Parent Loop BB41_10 Depth=1
                                        ; =>  This Loop Header: Depth=2
                                        ;       Child Loop BB41_15 Depth 3
                                        ;         Child Loop BB41_21 Depth 4
                                        ;         Child Loop BB41_27 Depth 4
	v_ashrrev_i32_e32 v8, 31, v7
	s_mov_b32 s5, 0
	s_delay_alu instid0(VALU_DEP_1) | instskip(SKIP_1) | instid1(VALU_DEP_2)
	v_lshlrev_b64 v[11:12], 3, v[7:8]
	v_lshlrev_b64 v[13:14], 2, v[7:8]
	v_add_co_u32 v11, vcc_lo, s18, v11
	s_delay_alu instid0(VALU_DEP_3) | instskip(NEXT) | instid1(VALU_DEP_3)
	v_add_co_ci_u32_e32 v12, vcc_lo, s19, v12, vcc_lo
	v_add_co_u32 v13, vcc_lo, s16, v13
	s_delay_alu instid0(VALU_DEP_4)
	v_add_co_ci_u32_e32 v14, vcc_lo, s17, v14, vcc_lo
	global_load_b64 v[11:12], v[11:12], off
	global_load_b32 v6, v[13:14], off
	s_waitcnt vmcnt(1)
	v_mul_f64 v[11:12], v[9:10], v[11:12]
	s_waitcnt vmcnt(0)
	v_subrev_nc_u32_e32 v6, s45, v6
	s_delay_alu instid0(VALU_DEP_1) | instskip(NEXT) | instid1(VALU_DEP_1)
	v_mul_lo_u32 v8, 0x89, v6
	v_and_b32_e32 v8, 0x7fff, v8
	s_branch .LBB41_15
.LBB41_14:                              ;   in Loop: Header=BB41_15 Depth=3
	s_or_b32 exec_lo, exec_lo, s13
	s_xor_b32 s13, s14, -1
	s_delay_alu instid0(SALU_CYCLE_1) | instskip(NEXT) | instid1(SALU_CYCLE_1)
	s_and_b32 s13, exec_lo, s13
	s_or_b32 s5, s13, s5
	s_delay_alu instid0(SALU_CYCLE_1)
	s_and_not1_b32 exec_lo, exec_lo, s5
	s_cbranch_execz .LBB41_12
.LBB41_15:                              ;   Parent Loop BB41_10 Depth=1
                                        ;     Parent Loop BB41_13 Depth=2
                                        ; =>    This Loop Header: Depth=3
                                        ;         Child Loop BB41_21 Depth 4
                                        ;         Child Loop BB41_27 Depth 4
	s_delay_alu instid0(VALU_DEP_1)
	v_lshl_add_u32 v13, v8, 2, 0
	s_mov_b32 s13, exec_lo
                                        ; implicit-def: $sgpr14
	ds_load_b32 v14, v13
	s_waitcnt lgkmcnt(0)
	v_cmpx_ne_u32_e64 v14, v6
	s_xor_b32 s13, exec_lo, s13
	s_cbranch_execz .LBB41_25
; %bb.16:                               ;   in Loop: Header=BB41_15 Depth=3
	s_mov_b32 s15, exec_lo
                                        ; implicit-def: $sgpr14
	v_cmpx_ne_u32_e64 s33, v14
	s_xor_b32 s15, exec_lo, s15
; %bb.17:                               ;   in Loop: Header=BB41_15 Depth=3
	v_add_nc_u32_e32 v8, 1, v8
	s_mov_b32 s14, -1
                                        ; implicit-def: $vgpr13
	s_delay_alu instid0(VALU_DEP_1)
	v_and_b32_e32 v8, 0x7fff, v8
; %bb.18:                               ;   in Loop: Header=BB41_15 Depth=3
	s_and_not1_saveexec_b32 s15, s15
	s_cbranch_execz .LBB41_24
; %bb.19:                               ;   in Loop: Header=BB41_15 Depth=3
	v_mov_b32_e32 v14, s33
	s_mov_b32 s21, -1
	s_mov_b32 s20, exec_lo
	ds_cmpstore_rtn_b32 v13, v13, v6, v14
	s_waitcnt lgkmcnt(0)
	v_cmpx_eq_u32_e64 s33, v13
	s_cbranch_execz .LBB41_23
; %bb.20:                               ;   in Loop: Header=BB41_15 Depth=3
	v_lshlrev_b32_e32 v13, 3, v8
	s_mov_b32 s21, 0
	s_delay_alu instid0(VALU_DEP_1)
	v_add3_u32 v20, 0, v13, 0x20000
	ds_load_b64 v[13:14], v20
.LBB41_21:                              ;   Parent Loop BB41_10 Depth=1
                                        ;     Parent Loop BB41_13 Depth=2
                                        ;       Parent Loop BB41_15 Depth=3
                                        ; =>      This Inner Loop Header: Depth=4
	s_waitcnt lgkmcnt(0)
	v_add_f64 v[21:22], v[13:14], v[11:12]
	ds_cmpstore_rtn_b64 v[21:22], v20, v[21:22], v[13:14]
	s_waitcnt lgkmcnt(0)
	v_cmp_eq_u64_e32 vcc_lo, v[21:22], v[13:14]
	v_dual_mov_b32 v13, v21 :: v_dual_mov_b32 v14, v22
	s_or_b32 s21, vcc_lo, s21
	s_delay_alu instid0(SALU_CYCLE_1)
	s_and_not1_b32 exec_lo, exec_lo, s21
	s_cbranch_execnz .LBB41_21
; %bb.22:                               ;   in Loop: Header=BB41_15 Depth=3
	s_or_b32 exec_lo, exec_lo, s21
	s_delay_alu instid0(SALU_CYCLE_1)
	s_xor_b32 s21, exec_lo, -1
.LBB41_23:                              ;   in Loop: Header=BB41_15 Depth=3
	s_or_b32 exec_lo, exec_lo, s20
	s_delay_alu instid0(SALU_CYCLE_1) | instskip(SKIP_1) | instid1(SALU_CYCLE_1)
	s_and_not1_b32 s14, s14, exec_lo
	s_and_b32 s20, s21, exec_lo
	s_or_b32 s14, s14, s20
.LBB41_24:                              ;   in Loop: Header=BB41_15 Depth=3
	s_or_b32 exec_lo, exec_lo, s15
	s_delay_alu instid0(SALU_CYCLE_1)
	s_and_b32 s14, s14, exec_lo
.LBB41_25:                              ;   in Loop: Header=BB41_15 Depth=3
	s_and_not1_saveexec_b32 s13, s13
	s_cbranch_execz .LBB41_14
; %bb.26:                               ;   in Loop: Header=BB41_15 Depth=3
	v_lshlrev_b32_e32 v13, 3, v8
	s_mov_b32 s15, 0
	s_delay_alu instid0(VALU_DEP_1)
	v_add3_u32 v20, 0, v13, 0x20000
	ds_load_b64 v[13:14], v20
.LBB41_27:                              ;   Parent Loop BB41_10 Depth=1
                                        ;     Parent Loop BB41_13 Depth=2
                                        ;       Parent Loop BB41_15 Depth=3
                                        ; =>      This Inner Loop Header: Depth=4
	s_waitcnt lgkmcnt(0)
	v_add_f64 v[21:22], v[13:14], v[11:12]
	ds_cmpstore_rtn_b64 v[21:22], v20, v[21:22], v[13:14]
	s_waitcnt lgkmcnt(0)
	v_cmp_eq_u64_e32 vcc_lo, v[21:22], v[13:14]
	v_dual_mov_b32 v13, v21 :: v_dual_mov_b32 v14, v22
	s_or_b32 s15, vcc_lo, s15
	s_delay_alu instid0(SALU_CYCLE_1)
	s_and_not1_b32 exec_lo, exec_lo, s15
	s_cbranch_execnz .LBB41_27
; %bb.28:                               ;   in Loop: Header=BB41_15 Depth=3
	s_or_b32 exec_lo, exec_lo, s15
	s_delay_alu instid0(SALU_CYCLE_1)
	s_and_not1_b32 s14, s14, exec_lo
	s_branch .LBB41_14
.LBB41_29:
	s_or_b32 exec_lo, exec_lo, s1
.LBB41_30:
	s_delay_alu instid0(SALU_CYCLE_1)
	s_and_not1_b32 vcc_lo, exec_lo, s12
	s_cbranch_vccnz .LBB41_51
; %bb.31:
	s_waitcnt lgkmcnt(0)
	s_ashr_i32 s35, s34, 31
	v_subrev_nc_u32_e32 v3, s47, v0
	s_lshl_b64 s[0:1], s[34:35], 2
	s_delay_alu instid0(SALU_CYCLE_1)
	s_add_u32 s0, s36, s0
	s_addc_u32 s1, s37, s1
	s_load_b64 s[0:1], s[0:1], 0x0
	s_waitcnt lgkmcnt(0)
	v_add_nc_u32_e32 v3, s0, v3
	s_sub_i32 s0, s1, s47
	s_mov_b32 s1, exec_lo
	s_delay_alu instid0(VALU_DEP_1)
	v_cmpx_gt_i32_e64 s0, v3
	s_cbranch_execz .LBB41_50
; %bb.32:
	s_mov_b32 s2, 0
	s_branch .LBB41_34
.LBB41_33:                              ;   in Loop: Header=BB41_34 Depth=1
	s_or_b32 exec_lo, exec_lo, s3
	v_add_nc_u32_e32 v3, 0x400, v3
	s_delay_alu instid0(VALU_DEP_1) | instskip(SKIP_1) | instid1(SALU_CYCLE_1)
	v_cmp_le_i32_e32 vcc_lo, s0, v3
	s_or_b32 s2, vcc_lo, s2
	s_and_not1_b32 exec_lo, exec_lo, s2
	s_cbranch_execz .LBB41_50
.LBB41_34:                              ; =>This Loop Header: Depth=1
                                        ;     Child Loop BB41_36 Depth 2
                                        ;       Child Loop BB41_42 Depth 3
                                        ;       Child Loop BB41_48 Depth 3
	v_ashrrev_i32_e32 v4, 31, v3
	s_mov_b32 s3, 0
	s_delay_alu instid0(VALU_DEP_1) | instskip(SKIP_1) | instid1(VALU_DEP_2)
	v_lshlrev_b64 v[5:6], 3, v[3:4]
	v_lshlrev_b64 v[7:8], 2, v[3:4]
	v_add_co_u32 v5, vcc_lo, s40, v5
	s_delay_alu instid0(VALU_DEP_3) | instskip(NEXT) | instid1(VALU_DEP_3)
	v_add_co_ci_u32_e32 v6, vcc_lo, s41, v6, vcc_lo
	v_add_co_u32 v7, vcc_lo, s38, v7
	s_delay_alu instid0(VALU_DEP_4)
	v_add_co_ci_u32_e32 v8, vcc_lo, s39, v8, vcc_lo
	global_load_b64 v[5:6], v[5:6], off
	global_load_b32 v7, v[7:8], off
	s_waitcnt vmcnt(1)
	v_mul_f64 v[4:5], v[1:2], v[5:6]
	s_waitcnt vmcnt(0)
	v_subrev_nc_u32_e32 v8, s47, v7
	s_delay_alu instid0(VALU_DEP_1) | instskip(NEXT) | instid1(VALU_DEP_1)
	v_mul_lo_u32 v6, 0x89, v8
	v_and_b32_e32 v9, 0x7fff, v6
	s_branch .LBB41_36
.LBB41_35:                              ;   in Loop: Header=BB41_36 Depth=2
	s_or_b32 exec_lo, exec_lo, s4
	s_xor_b32 s4, s5, -1
	s_delay_alu instid0(SALU_CYCLE_1) | instskip(NEXT) | instid1(SALU_CYCLE_1)
	s_and_b32 s4, exec_lo, s4
	s_or_b32 s3, s4, s3
	s_delay_alu instid0(SALU_CYCLE_1)
	s_and_not1_b32 exec_lo, exec_lo, s3
	s_cbranch_execz .LBB41_33
.LBB41_36:                              ;   Parent Loop BB41_34 Depth=1
                                        ; =>  This Loop Header: Depth=2
                                        ;       Child Loop BB41_42 Depth 3
                                        ;       Child Loop BB41_48 Depth 3
	s_delay_alu instid0(VALU_DEP_1)
	v_lshl_add_u32 v6, v9, 2, 0
	s_mov_b32 s4, exec_lo
                                        ; implicit-def: $sgpr5
	ds_load_b32 v7, v6
	s_waitcnt lgkmcnt(0)
	v_cmpx_ne_u32_e64 v7, v8
	s_xor_b32 s4, exec_lo, s4
	s_cbranch_execz .LBB41_46
; %bb.37:                               ;   in Loop: Header=BB41_36 Depth=2
	s_mov_b32 s6, exec_lo
                                        ; implicit-def: $sgpr5
	v_cmpx_ne_u32_e64 s33, v7
	s_xor_b32 s6, exec_lo, s6
; %bb.38:                               ;   in Loop: Header=BB41_36 Depth=2
	v_add_nc_u32_e32 v6, 1, v9
	s_mov_b32 s5, -1
	s_delay_alu instid0(VALU_DEP_1)
	v_and_b32_e32 v9, 0x7fff, v6
                                        ; implicit-def: $vgpr6
; %bb.39:                               ;   in Loop: Header=BB41_36 Depth=2
	s_and_not1_saveexec_b32 s6, s6
	s_cbranch_execz .LBB41_45
; %bb.40:                               ;   in Loop: Header=BB41_36 Depth=2
	v_mov_b32_e32 v7, s33
	s_mov_b32 s8, -1
	s_mov_b32 s7, exec_lo
	ds_cmpstore_rtn_b32 v6, v6, v8, v7
	s_waitcnt lgkmcnt(0)
	v_cmpx_eq_u32_e64 s33, v6
	s_cbranch_execz .LBB41_44
; %bb.41:                               ;   in Loop: Header=BB41_36 Depth=2
	v_lshlrev_b32_e32 v6, 3, v9
	s_mov_b32 s8, 0
	s_delay_alu instid0(VALU_DEP_1)
	v_add3_u32 v10, 0, v6, 0x20000
	ds_load_b64 v[6:7], v10
.LBB41_42:                              ;   Parent Loop BB41_34 Depth=1
                                        ;     Parent Loop BB41_36 Depth=2
                                        ; =>    This Inner Loop Header: Depth=3
	s_waitcnt lgkmcnt(0)
	v_add_f64 v[11:12], v[6:7], v[4:5]
	ds_cmpstore_rtn_b64 v[11:12], v10, v[11:12], v[6:7]
	s_waitcnt lgkmcnt(0)
	v_cmp_eq_u64_e32 vcc_lo, v[11:12], v[6:7]
	v_dual_mov_b32 v6, v11 :: v_dual_mov_b32 v7, v12
	s_or_b32 s8, vcc_lo, s8
	s_delay_alu instid0(SALU_CYCLE_1)
	s_and_not1_b32 exec_lo, exec_lo, s8
	s_cbranch_execnz .LBB41_42
; %bb.43:                               ;   in Loop: Header=BB41_36 Depth=2
	s_or_b32 exec_lo, exec_lo, s8
	s_delay_alu instid0(SALU_CYCLE_1)
	s_xor_b32 s8, exec_lo, -1
.LBB41_44:                              ;   in Loop: Header=BB41_36 Depth=2
	s_or_b32 exec_lo, exec_lo, s7
	s_delay_alu instid0(SALU_CYCLE_1) | instskip(SKIP_1) | instid1(SALU_CYCLE_1)
	s_and_not1_b32 s5, s5, exec_lo
	s_and_b32 s7, s8, exec_lo
	s_or_b32 s5, s5, s7
.LBB41_45:                              ;   in Loop: Header=BB41_36 Depth=2
	s_or_b32 exec_lo, exec_lo, s6
	s_delay_alu instid0(SALU_CYCLE_1)
	s_and_b32 s5, s5, exec_lo
.LBB41_46:                              ;   in Loop: Header=BB41_36 Depth=2
	s_and_not1_saveexec_b32 s4, s4
	s_cbranch_execz .LBB41_35
; %bb.47:                               ;   in Loop: Header=BB41_36 Depth=2
	v_lshlrev_b32_e32 v6, 3, v9
	s_mov_b32 s6, 0
	s_delay_alu instid0(VALU_DEP_1)
	v_add3_u32 v10, 0, v6, 0x20000
	ds_load_b64 v[6:7], v10
.LBB41_48:                              ;   Parent Loop BB41_34 Depth=1
                                        ;     Parent Loop BB41_36 Depth=2
                                        ; =>    This Inner Loop Header: Depth=3
	s_waitcnt lgkmcnt(0)
	v_add_f64 v[11:12], v[6:7], v[4:5]
	ds_cmpstore_rtn_b64 v[11:12], v10, v[11:12], v[6:7]
	s_waitcnt lgkmcnt(0)
	v_cmp_eq_u64_e32 vcc_lo, v[11:12], v[6:7]
	v_dual_mov_b32 v6, v11 :: v_dual_mov_b32 v7, v12
	s_or_b32 s6, vcc_lo, s6
	s_delay_alu instid0(SALU_CYCLE_1)
	s_and_not1_b32 exec_lo, exec_lo, s6
	s_cbranch_execnz .LBB41_48
; %bb.49:                               ;   in Loop: Header=BB41_36 Depth=2
	s_or_b32 exec_lo, exec_lo, s6
	s_delay_alu instid0(SALU_CYCLE_1)
	s_and_not1_b32 s5, s5, exec_lo
	s_branch .LBB41_35
.LBB41_50:
	s_or_b32 exec_lo, exec_lo, s1
.LBB41_51:
	v_mbcnt_lo_u32_b32 v1, -1, 0
	v_lshrrev_b32_e32 v2, 3, v0
	s_add_i32 s70, 0, 0x6007c
	v_cmp_eq_u32_e32 vcc_lo, 0x3ff, v0
	v_cmp_lt_u32_e64 s0, 31, v0
	v_xor_b32_e32 v1, 63, v1
	v_dual_mov_b32 v6, s70 :: v_dual_and_b32 v3, 0x7c, v2
	v_cmp_lt_u32_e64 s1, 63, v0
	v_cmp_lt_u32_e64 s2, 0x5f, v0
	s_delay_alu instid0(VALU_DEP_4) | instskip(NEXT) | instid1(VALU_DEP_4)
	v_lshrrev_b64 v[1:2], v1, -1
	v_add3_u32 v4, 0, 0x60000, v3
	v_cmp_lt_u32_e64 s3, 0x7f, v0
	v_cmp_lt_u32_e64 s4, 0x9f, v0
	;; [unrolled: 1-line block ×28, first 2 shown]
	v_mov_b32_e32 v5, 0
	s_mov_b32 s35, 0
	s_add_i32 s36, 0, 0x60000
	s_add_i32 s37, 0, 0x60004
	;; [unrolled: 1-line block ×31, first 2 shown]
	s_waitcnt lgkmcnt(0)
	s_barrier
	buffer_gl0_inv
	s_branch .LBB41_53
.LBB41_52:                              ;   in Loop: Header=BB41_53 Depth=1
	s_or_b32 exec_lo, exec_lo, s31
	s_waitcnt lgkmcnt(0)
	s_barrier
	buffer_gl0_inv
	ds_load_b32 v2, v6
	v_add_nc_u32_e32 v17, 0x400, v17
	v_add_nc_u32_e32 v16, 0x2000, v16
	;; [unrolled: 1-line block ×3, first 2 shown]
	s_delay_alu instid0(VALU_DEP_3) | instskip(NEXT) | instid1(VALU_DEP_1)
	v_cmp_lt_u32_e64 s31, 0x7bff, v17
	s_or_b32 s35, s31, s35
	s_waitcnt lgkmcnt(0)
	v_add_nc_u32_e32 v5, v2, v5
	s_and_not1_b32 exec_lo, exec_lo, s35
	s_cbranch_execz .LBB41_119
.LBB41_53:                              ; =>This Inner Loop Header: Depth=1
	ds_load_b32 v7, v15
	ds_load_b64 v[2:3], v16
	s_waitcnt lgkmcnt(0)
	s_barrier
	buffer_gl0_inv
	v_cmp_gt_i32_e64 s31, s33, v7
	s_delay_alu instid0(VALU_DEP_1) | instskip(NEXT) | instid1(SALU_CYCLE_1)
	s_bcnt1_i32_b32 s75, s31
	v_dual_mov_b32 v9, s75 :: v_dual_and_b32 v8, s31, v1
	s_delay_alu instid0(VALU_DEP_1)
	v_bcnt_u32_b32 v8, v8, 0
	ds_store_b32 v4, v9
	s_waitcnt lgkmcnt(0)
	s_barrier
	buffer_gl0_inv
	s_and_saveexec_b32 s75, s0
	s_cbranch_execnz .LBB41_86
; %bb.54:                               ;   in Loop: Header=BB41_53 Depth=1
	s_or_b32 exec_lo, exec_lo, s75
	s_and_saveexec_b32 s75, s1
	s_cbranch_execnz .LBB41_87
.LBB41_55:                              ;   in Loop: Header=BB41_53 Depth=1
	s_or_b32 exec_lo, exec_lo, s75
	s_and_saveexec_b32 s75, s2
	s_cbranch_execnz .LBB41_88
.LBB41_56:                              ;   in Loop: Header=BB41_53 Depth=1
	s_or_b32 exec_lo, exec_lo, s75
	s_and_saveexec_b32 s75, s3
	s_cbranch_execnz .LBB41_89
.LBB41_57:                              ;   in Loop: Header=BB41_53 Depth=1
	s_or_b32 exec_lo, exec_lo, s75
	s_and_saveexec_b32 s75, s4
	s_cbranch_execnz .LBB41_90
.LBB41_58:                              ;   in Loop: Header=BB41_53 Depth=1
	s_or_b32 exec_lo, exec_lo, s75
	s_and_saveexec_b32 s75, s5
	s_cbranch_execnz .LBB41_91
.LBB41_59:                              ;   in Loop: Header=BB41_53 Depth=1
	s_or_b32 exec_lo, exec_lo, s75
	s_and_saveexec_b32 s75, s6
	s_cbranch_execnz .LBB41_92
.LBB41_60:                              ;   in Loop: Header=BB41_53 Depth=1
	s_or_b32 exec_lo, exec_lo, s75
	s_and_saveexec_b32 s75, s7
	s_cbranch_execnz .LBB41_93
.LBB41_61:                              ;   in Loop: Header=BB41_53 Depth=1
	s_or_b32 exec_lo, exec_lo, s75
	s_and_saveexec_b32 s75, s8
	s_cbranch_execnz .LBB41_94
.LBB41_62:                              ;   in Loop: Header=BB41_53 Depth=1
	s_or_b32 exec_lo, exec_lo, s75
	s_and_saveexec_b32 s75, s9
	s_cbranch_execnz .LBB41_95
.LBB41_63:                              ;   in Loop: Header=BB41_53 Depth=1
	s_or_b32 exec_lo, exec_lo, s75
	s_and_saveexec_b32 s75, s10
	s_cbranch_execnz .LBB41_96
.LBB41_64:                              ;   in Loop: Header=BB41_53 Depth=1
	s_or_b32 exec_lo, exec_lo, s75
	s_and_saveexec_b32 s75, s11
	s_cbranch_execnz .LBB41_97
.LBB41_65:                              ;   in Loop: Header=BB41_53 Depth=1
	s_or_b32 exec_lo, exec_lo, s75
	s_and_saveexec_b32 s75, s12
	s_cbranch_execnz .LBB41_98
.LBB41_66:                              ;   in Loop: Header=BB41_53 Depth=1
	s_or_b32 exec_lo, exec_lo, s75
	s_and_saveexec_b32 s75, s13
	s_cbranch_execnz .LBB41_99
.LBB41_67:                              ;   in Loop: Header=BB41_53 Depth=1
	s_or_b32 exec_lo, exec_lo, s75
	s_and_saveexec_b32 s75, s14
	s_cbranch_execnz .LBB41_100
.LBB41_68:                              ;   in Loop: Header=BB41_53 Depth=1
	s_or_b32 exec_lo, exec_lo, s75
	s_and_saveexec_b32 s75, s15
	s_cbranch_execnz .LBB41_101
.LBB41_69:                              ;   in Loop: Header=BB41_53 Depth=1
	s_or_b32 exec_lo, exec_lo, s75
	s_and_saveexec_b32 s75, s16
	s_cbranch_execnz .LBB41_102
.LBB41_70:                              ;   in Loop: Header=BB41_53 Depth=1
	s_or_b32 exec_lo, exec_lo, s75
	s_and_saveexec_b32 s75, s17
	s_cbranch_execnz .LBB41_103
.LBB41_71:                              ;   in Loop: Header=BB41_53 Depth=1
	s_or_b32 exec_lo, exec_lo, s75
	s_and_saveexec_b32 s75, s18
	s_cbranch_execnz .LBB41_104
.LBB41_72:                              ;   in Loop: Header=BB41_53 Depth=1
	s_or_b32 exec_lo, exec_lo, s75
	s_and_saveexec_b32 s75, s19
	s_cbranch_execnz .LBB41_105
.LBB41_73:                              ;   in Loop: Header=BB41_53 Depth=1
	s_or_b32 exec_lo, exec_lo, s75
	s_and_saveexec_b32 s75, s20
	s_cbranch_execnz .LBB41_106
.LBB41_74:                              ;   in Loop: Header=BB41_53 Depth=1
	s_or_b32 exec_lo, exec_lo, s75
	s_and_saveexec_b32 s75, s21
	s_cbranch_execnz .LBB41_107
.LBB41_75:                              ;   in Loop: Header=BB41_53 Depth=1
	s_or_b32 exec_lo, exec_lo, s75
	s_and_saveexec_b32 s75, s22
	s_cbranch_execnz .LBB41_108
.LBB41_76:                              ;   in Loop: Header=BB41_53 Depth=1
	s_or_b32 exec_lo, exec_lo, s75
	s_and_saveexec_b32 s75, s23
	s_cbranch_execnz .LBB41_109
.LBB41_77:                              ;   in Loop: Header=BB41_53 Depth=1
	s_or_b32 exec_lo, exec_lo, s75
	s_and_saveexec_b32 s75, s24
	s_cbranch_execnz .LBB41_110
.LBB41_78:                              ;   in Loop: Header=BB41_53 Depth=1
	s_or_b32 exec_lo, exec_lo, s75
	s_and_saveexec_b32 s75, s25
	s_cbranch_execnz .LBB41_111
.LBB41_79:                              ;   in Loop: Header=BB41_53 Depth=1
	s_or_b32 exec_lo, exec_lo, s75
	s_and_saveexec_b32 s75, s26
	s_cbranch_execnz .LBB41_112
.LBB41_80:                              ;   in Loop: Header=BB41_53 Depth=1
	s_or_b32 exec_lo, exec_lo, s75
	s_and_saveexec_b32 s75, s27
	s_cbranch_execnz .LBB41_113
.LBB41_81:                              ;   in Loop: Header=BB41_53 Depth=1
	s_or_b32 exec_lo, exec_lo, s75
	s_and_saveexec_b32 s75, s28
	s_cbranch_execnz .LBB41_114
.LBB41_82:                              ;   in Loop: Header=BB41_53 Depth=1
	s_or_b32 exec_lo, exec_lo, s75
	s_and_saveexec_b32 s75, s29
	s_cbranch_execnz .LBB41_115
.LBB41_83:                              ;   in Loop: Header=BB41_53 Depth=1
	s_or_b32 exec_lo, exec_lo, s75
	s_and_saveexec_b32 s75, s30
	s_cbranch_execnz .LBB41_116
.LBB41_84:                              ;   in Loop: Header=BB41_53 Depth=1
	s_or_b32 exec_lo, exec_lo, s75
	s_and_saveexec_b32 s75, s31
	s_cbranch_execnz .LBB41_117
.LBB41_85:                              ;   in Loop: Header=BB41_53 Depth=1
	s_or_b32 exec_lo, exec_lo, s75
	s_and_saveexec_b32 s31, vcc_lo
	s_cbranch_execz .LBB41_52
	s_branch .LBB41_118
.LBB41_86:                              ;   in Loop: Header=BB41_53 Depth=1
	v_mov_b32_e32 v9, s36
	ds_load_b32 v9, v9
	s_waitcnt lgkmcnt(0)
	v_add_nc_u32_e32 v8, v9, v8
	s_or_b32 exec_lo, exec_lo, s75
	s_and_saveexec_b32 s75, s1
	s_cbranch_execz .LBB41_55
.LBB41_87:                              ;   in Loop: Header=BB41_53 Depth=1
	v_mov_b32_e32 v9, s37
	ds_load_b32 v9, v9
	s_waitcnt lgkmcnt(0)
	v_add_nc_u32_e32 v8, v9, v8
	s_or_b32 exec_lo, exec_lo, s75
	s_and_saveexec_b32 s75, s2
	s_cbranch_execz .LBB41_56
.LBB41_88:                              ;   in Loop: Header=BB41_53 Depth=1
	v_mov_b32_e32 v9, s38
	ds_load_b32 v9, v9
	s_waitcnt lgkmcnt(0)
	v_add_nc_u32_e32 v8, v9, v8
	s_or_b32 exec_lo, exec_lo, s75
	s_and_saveexec_b32 s75, s3
	s_cbranch_execz .LBB41_57
.LBB41_89:                              ;   in Loop: Header=BB41_53 Depth=1
	v_mov_b32_e32 v9, s39
	ds_load_b32 v9, v9
	s_waitcnt lgkmcnt(0)
	v_add_nc_u32_e32 v8, v9, v8
	s_or_b32 exec_lo, exec_lo, s75
	s_and_saveexec_b32 s75, s4
	s_cbranch_execz .LBB41_58
.LBB41_90:                              ;   in Loop: Header=BB41_53 Depth=1
	v_mov_b32_e32 v9, s40
	ds_load_b32 v9, v9
	s_waitcnt lgkmcnt(0)
	v_add_nc_u32_e32 v8, v9, v8
	s_or_b32 exec_lo, exec_lo, s75
	s_and_saveexec_b32 s75, s5
	s_cbranch_execz .LBB41_59
.LBB41_91:                              ;   in Loop: Header=BB41_53 Depth=1
	v_mov_b32_e32 v9, s41
	ds_load_b32 v9, v9
	s_waitcnt lgkmcnt(0)
	v_add_nc_u32_e32 v8, v9, v8
	s_or_b32 exec_lo, exec_lo, s75
	s_and_saveexec_b32 s75, s6
	s_cbranch_execz .LBB41_60
.LBB41_92:                              ;   in Loop: Header=BB41_53 Depth=1
	v_mov_b32_e32 v9, s44
	ds_load_b32 v9, v9
	s_waitcnt lgkmcnt(0)
	v_add_nc_u32_e32 v8, v9, v8
	s_or_b32 exec_lo, exec_lo, s75
	s_and_saveexec_b32 s75, s7
	s_cbranch_execz .LBB41_61
.LBB41_93:                              ;   in Loop: Header=BB41_53 Depth=1
	v_mov_b32_e32 v9, s45
	ds_load_b32 v9, v9
	s_waitcnt lgkmcnt(0)
	v_add_nc_u32_e32 v8, v9, v8
	s_or_b32 exec_lo, exec_lo, s75
	s_and_saveexec_b32 s75, s8
	s_cbranch_execz .LBB41_62
.LBB41_94:                              ;   in Loop: Header=BB41_53 Depth=1
	v_mov_b32_e32 v9, s47
	ds_load_b32 v9, v9
	s_waitcnt lgkmcnt(0)
	v_add_nc_u32_e32 v8, v9, v8
	s_or_b32 exec_lo, exec_lo, s75
	s_and_saveexec_b32 s75, s9
	s_cbranch_execz .LBB41_63
.LBB41_95:                              ;   in Loop: Header=BB41_53 Depth=1
	v_mov_b32_e32 v9, s52
	ds_load_b32 v9, v9
	s_waitcnt lgkmcnt(0)
	v_add_nc_u32_e32 v8, v9, v8
	s_or_b32 exec_lo, exec_lo, s75
	s_and_saveexec_b32 s75, s10
	s_cbranch_execz .LBB41_64
.LBB41_96:                              ;   in Loop: Header=BB41_53 Depth=1
	v_mov_b32_e32 v9, s53
	ds_load_b32 v9, v9
	s_waitcnt lgkmcnt(0)
	v_add_nc_u32_e32 v8, v9, v8
	s_or_b32 exec_lo, exec_lo, s75
	s_and_saveexec_b32 s75, s11
	s_cbranch_execz .LBB41_65
.LBB41_97:                              ;   in Loop: Header=BB41_53 Depth=1
	v_mov_b32_e32 v9, s54
	ds_load_b32 v9, v9
	s_waitcnt lgkmcnt(0)
	v_add_nc_u32_e32 v8, v9, v8
	s_or_b32 exec_lo, exec_lo, s75
	s_and_saveexec_b32 s75, s12
	s_cbranch_execz .LBB41_66
.LBB41_98:                              ;   in Loop: Header=BB41_53 Depth=1
	v_mov_b32_e32 v9, s55
	ds_load_b32 v9, v9
	s_waitcnt lgkmcnt(0)
	v_add_nc_u32_e32 v8, v9, v8
	s_or_b32 exec_lo, exec_lo, s75
	s_and_saveexec_b32 s75, s13
	s_cbranch_execz .LBB41_67
.LBB41_99:                              ;   in Loop: Header=BB41_53 Depth=1
	v_mov_b32_e32 v9, s56
	ds_load_b32 v9, v9
	s_waitcnt lgkmcnt(0)
	v_add_nc_u32_e32 v8, v9, v8
	s_or_b32 exec_lo, exec_lo, s75
	s_and_saveexec_b32 s75, s14
	s_cbranch_execz .LBB41_68
.LBB41_100:                             ;   in Loop: Header=BB41_53 Depth=1
	v_mov_b32_e32 v9, s57
	ds_load_b32 v9, v9
	s_waitcnt lgkmcnt(0)
	v_add_nc_u32_e32 v8, v9, v8
	s_or_b32 exec_lo, exec_lo, s75
	s_and_saveexec_b32 s75, s15
	s_cbranch_execz .LBB41_69
.LBB41_101:                             ;   in Loop: Header=BB41_53 Depth=1
	v_mov_b32_e32 v9, s58
	ds_load_b32 v9, v9
	s_waitcnt lgkmcnt(0)
	v_add_nc_u32_e32 v8, v9, v8
	s_or_b32 exec_lo, exec_lo, s75
	s_and_saveexec_b32 s75, s16
	s_cbranch_execz .LBB41_70
.LBB41_102:                             ;   in Loop: Header=BB41_53 Depth=1
	v_mov_b32_e32 v9, s59
	ds_load_b32 v9, v9
	s_waitcnt lgkmcnt(0)
	v_add_nc_u32_e32 v8, v9, v8
	s_or_b32 exec_lo, exec_lo, s75
	s_and_saveexec_b32 s75, s17
	s_cbranch_execz .LBB41_71
.LBB41_103:                             ;   in Loop: Header=BB41_53 Depth=1
	v_mov_b32_e32 v9, s60
	ds_load_b32 v9, v9
	s_waitcnt lgkmcnt(0)
	v_add_nc_u32_e32 v8, v9, v8
	s_or_b32 exec_lo, exec_lo, s75
	s_and_saveexec_b32 s75, s18
	s_cbranch_execz .LBB41_72
.LBB41_104:                             ;   in Loop: Header=BB41_53 Depth=1
	v_mov_b32_e32 v9, s61
	ds_load_b32 v9, v9
	s_waitcnt lgkmcnt(0)
	v_add_nc_u32_e32 v8, v9, v8
	s_or_b32 exec_lo, exec_lo, s75
	s_and_saveexec_b32 s75, s19
	s_cbranch_execz .LBB41_73
.LBB41_105:                             ;   in Loop: Header=BB41_53 Depth=1
	v_mov_b32_e32 v9, s62
	ds_load_b32 v9, v9
	s_waitcnt lgkmcnt(0)
	v_add_nc_u32_e32 v8, v9, v8
	s_or_b32 exec_lo, exec_lo, s75
	s_and_saveexec_b32 s75, s20
	s_cbranch_execz .LBB41_74
.LBB41_106:                             ;   in Loop: Header=BB41_53 Depth=1
	v_mov_b32_e32 v9, s63
	ds_load_b32 v9, v9
	s_waitcnt lgkmcnt(0)
	v_add_nc_u32_e32 v8, v9, v8
	s_or_b32 exec_lo, exec_lo, s75
	s_and_saveexec_b32 s75, s21
	s_cbranch_execz .LBB41_75
.LBB41_107:                             ;   in Loop: Header=BB41_53 Depth=1
	v_mov_b32_e32 v9, s64
	ds_load_b32 v9, v9
	s_waitcnt lgkmcnt(0)
	v_add_nc_u32_e32 v8, v9, v8
	s_or_b32 exec_lo, exec_lo, s75
	s_and_saveexec_b32 s75, s22
	s_cbranch_execz .LBB41_76
.LBB41_108:                             ;   in Loop: Header=BB41_53 Depth=1
	v_mov_b32_e32 v9, s65
	ds_load_b32 v9, v9
	s_waitcnt lgkmcnt(0)
	v_add_nc_u32_e32 v8, v9, v8
	s_or_b32 exec_lo, exec_lo, s75
	s_and_saveexec_b32 s75, s23
	s_cbranch_execz .LBB41_77
.LBB41_109:                             ;   in Loop: Header=BB41_53 Depth=1
	v_mov_b32_e32 v9, s66
	ds_load_b32 v9, v9
	s_waitcnt lgkmcnt(0)
	v_add_nc_u32_e32 v8, v9, v8
	s_or_b32 exec_lo, exec_lo, s75
	s_and_saveexec_b32 s75, s24
	s_cbranch_execz .LBB41_78
.LBB41_110:                             ;   in Loop: Header=BB41_53 Depth=1
	v_mov_b32_e32 v9, s67
	ds_load_b32 v9, v9
	s_waitcnt lgkmcnt(0)
	v_add_nc_u32_e32 v8, v9, v8
	s_or_b32 exec_lo, exec_lo, s75
	s_and_saveexec_b32 s75, s25
	s_cbranch_execz .LBB41_79
.LBB41_111:                             ;   in Loop: Header=BB41_53 Depth=1
	v_mov_b32_e32 v9, s68
	ds_load_b32 v9, v9
	s_waitcnt lgkmcnt(0)
	v_add_nc_u32_e32 v8, v9, v8
	s_or_b32 exec_lo, exec_lo, s75
	s_and_saveexec_b32 s75, s26
	s_cbranch_execz .LBB41_80
.LBB41_112:                             ;   in Loop: Header=BB41_53 Depth=1
	v_mov_b32_e32 v9, s69
	ds_load_b32 v9, v9
	s_waitcnt lgkmcnt(0)
	v_add_nc_u32_e32 v8, v9, v8
	s_or_b32 exec_lo, exec_lo, s75
	s_and_saveexec_b32 s75, s27
	s_cbranch_execz .LBB41_81
.LBB41_113:                             ;   in Loop: Header=BB41_53 Depth=1
	v_mov_b32_e32 v9, s71
	ds_load_b32 v9, v9
	s_waitcnt lgkmcnt(0)
	v_add_nc_u32_e32 v8, v9, v8
	s_or_b32 exec_lo, exec_lo, s75
	s_and_saveexec_b32 s75, s28
	s_cbranch_execz .LBB41_82
.LBB41_114:                             ;   in Loop: Header=BB41_53 Depth=1
	v_mov_b32_e32 v9, s72
	ds_load_b32 v9, v9
	s_waitcnt lgkmcnt(0)
	v_add_nc_u32_e32 v8, v9, v8
	s_or_b32 exec_lo, exec_lo, s75
	s_and_saveexec_b32 s75, s29
	s_cbranch_execz .LBB41_83
.LBB41_115:                             ;   in Loop: Header=BB41_53 Depth=1
	v_mov_b32_e32 v9, s73
	ds_load_b32 v9, v9
	s_waitcnt lgkmcnt(0)
	v_add_nc_u32_e32 v8, v9, v8
	s_or_b32 exec_lo, exec_lo, s75
	s_and_saveexec_b32 s75, s30
	s_cbranch_execz .LBB41_84
.LBB41_116:                             ;   in Loop: Header=BB41_53 Depth=1
	v_mov_b32_e32 v9, s74
	ds_load_b32 v9, v9
	s_waitcnt lgkmcnt(0)
	v_add_nc_u32_e32 v8, v9, v8
	s_or_b32 exec_lo, exec_lo, s75
	s_and_saveexec_b32 s75, s31
	s_cbranch_execz .LBB41_85
.LBB41_117:                             ;   in Loop: Header=BB41_53 Depth=1
	s_delay_alu instid0(VALU_DEP_1) | instskip(NEXT) | instid1(VALU_DEP_1)
	v_add3_u32 v9, v5, -1, v8
	v_lshlrev_b32_e32 v10, 3, v9
	v_lshl_add_u32 v9, v9, 2, 0
	s_delay_alu instid0(VALU_DEP_2)
	v_add3_u32 v10, 0, v10, 0x20000
	ds_store_b32 v9, v7
	ds_store_b64 v10, v[2:3]
	s_or_b32 exec_lo, exec_lo, s75
	s_and_saveexec_b32 s31, vcc_lo
	s_cbranch_execz .LBB41_52
.LBB41_118:                             ;   in Loop: Header=BB41_53 Depth=1
	v_mov_b32_e32 v2, s70
	ds_store_b32 v2, v8
	s_branch .LBB41_52
.LBB41_119:
	s_or_b32 exec_lo, exec_lo, s35
	s_ashr_i32 s35, s34, 31
	s_mov_b32 s3, exec_lo
	s_lshl_b64 s[0:1], s[34:35], 2
	s_delay_alu instid0(SALU_CYCLE_1) | instskip(SKIP_4) | instid1(SALU_CYCLE_1)
	s_add_u32 s0, s42, s0
	s_addc_u32 s1, s43, s1
	s_load_b64 s[0:1], s[0:1], 0x0
	s_waitcnt lgkmcnt(0)
	s_sub_i32 s2, s1, s0
	v_cmpx_gt_i32_e64 s2, v0
	s_cbranch_execz .LBB41_129
; %bb.120:
	s_sub_i32 s3, s0, s46
	s_sub_i32 s0, s0, s1
	s_and_b32 s1, s2, 7
	s_cmp_lt_u32 s0, -7
	s_mov_b32 s7, 0
	s_cselect_b32 s4, -1, 0
	s_and_b32 s5, s2, -8
	s_cmp_lg_u32 s1, 0
	s_cselect_b32 s6, -1, 0
	s_branch .LBB41_122
.LBB41_121:                             ;   in Loop: Header=BB41_122 Depth=1
	s_delay_alu instid0(VALU_DEP_1) | instskip(SKIP_3) | instid1(VALU_DEP_3)
	v_ashrrev_i32_e32 v4, 31, v3
	v_add_nc_u32_e32 v0, 0x400, v0
	s_waitcnt lgkmcnt(1)
	v_add_nc_u32_e32 v8, s46, v5
	v_lshlrev_b64 v[6:7], 2, v[3:4]
	v_lshlrev_b64 v[3:4], 3, v[3:4]
	v_cmp_le_i32_e32 vcc_lo, s2, v0
	s_delay_alu instid0(VALU_DEP_3) | instskip(NEXT) | instid1(VALU_DEP_1)
	v_add_co_u32 v5, s0, s48, v6
	v_add_co_ci_u32_e64 v6, s0, s49, v7, s0
	s_delay_alu instid0(VALU_DEP_4) | instskip(NEXT) | instid1(VALU_DEP_1)
	v_add_co_u32 v3, s0, s50, v3
	v_add_co_ci_u32_e64 v4, s0, s51, v4, s0
	s_or_b32 s7, vcc_lo, s7
	global_store_b32 v[5:6], v8, off
	s_waitcnt lgkmcnt(0)
	global_store_b64 v[3:4], v[1:2], off
	s_and_not1_b32 exec_lo, exec_lo, s7
	s_cbranch_execz .LBB41_129
.LBB41_122:                             ; =>This Loop Header: Depth=1
                                        ;     Child Loop BB41_124 Depth 2
                                        ;     Child Loop BB41_128 Depth 2
	v_lshlrev_b32_e32 v1, 3, v0
	v_lshl_add_u32 v2, v0, 2, 0
	v_mov_b32_e32 v3, s3
	s_and_not1_b32 vcc_lo, exec_lo, s4
	s_mov_b32 s0, 0
	v_add3_u32 v1, 0, v1, 0x20000
	ds_load_b32 v5, v2
	ds_load_b64 v[1:2], v1
	s_cbranch_vccnz .LBB41_126
; %bb.123:                              ;   in Loop: Header=BB41_122 Depth=1
	v_mov_b32_e32 v3, s3
	s_mov_b32 s8, 0
	s_set_inst_prefetch_distance 0x1
	.p2align	6
.LBB41_124:                             ;   Parent Loop BB41_122 Depth=1
                                        ; =>  This Inner Loop Header: Depth=2
	v_mov_b32_e32 v4, s8
	s_add_i32 s0, s0, 8
	s_add_i32 s8, s8, 32
	s_cmp_eq_u32 s5, s0
	ds_load_2addr_b32 v[6:7], v4 offset1:1
	ds_load_2addr_b32 v[8:9], v4 offset0:2 offset1:3
	ds_load_2addr_b32 v[10:11], v4 offset0:4 offset1:5
	;; [unrolled: 1-line block ×3, first 2 shown]
	s_waitcnt lgkmcnt(3)
	v_cmp_gt_i32_e32 vcc_lo, v5, v6
	v_cndmask_b32_e64 v4, 0, 1, vcc_lo
	s_waitcnt lgkmcnt(2)
	v_cmp_gt_i32_e32 vcc_lo, v5, v8
	v_cndmask_b32_e64 v6, 0, 1, vcc_lo
	v_cmp_gt_i32_e32 vcc_lo, v5, v7
	v_add_co_ci_u32_e32 v3, vcc_lo, v3, v4, vcc_lo
	s_waitcnt lgkmcnt(1)
	v_cmp_gt_i32_e32 vcc_lo, v5, v10
	v_cndmask_b32_e64 v4, 0, 1, vcc_lo
	v_cmp_gt_i32_e32 vcc_lo, v5, v9
	v_add_co_ci_u32_e32 v3, vcc_lo, v3, v6, vcc_lo
	;; [unrolled: 5-line block ×3, first 2 shown]
	v_cmp_gt_i32_e32 vcc_lo, v5, v13
	s_delay_alu instid0(VALU_DEP_2)
	v_add_co_ci_u32_e32 v3, vcc_lo, v3, v6, vcc_lo
	s_cbranch_scc0 .LBB41_124
; %bb.125:                              ;   in Loop: Header=BB41_122 Depth=1
	s_set_inst_prefetch_distance 0x2
	s_mov_b32 s0, s5
.LBB41_126:                             ;   in Loop: Header=BB41_122 Depth=1
	s_and_not1_b32 vcc_lo, exec_lo, s6
	s_cbranch_vccnz .LBB41_121
; %bb.127:                              ;   in Loop: Header=BB41_122 Depth=1
	s_lshl_b32 s0, s0, 2
	s_mov_b32 s8, s1
	s_add_i32 s0, s0, 0
.LBB41_128:                             ;   Parent Loop BB41_122 Depth=1
                                        ; =>  This Inner Loop Header: Depth=2
	s_delay_alu instid0(SALU_CYCLE_1)
	v_mov_b32_e32 v4, s0
	s_add_i32 s8, s8, -1
	s_add_i32 s0, s0, 4
	s_cmp_lg_u32 s8, 0
	ds_load_b32 v4, v4
	s_waitcnt lgkmcnt(0)
	v_cmp_gt_i32_e32 vcc_lo, v5, v4
	v_add_co_ci_u32_e32 v3, vcc_lo, 0, v3, vcc_lo
	s_cbranch_scc1 .LBB41_128
	s_branch .LBB41_121
.LBB41_129:
	s_nop 0
	s_sendmsg sendmsg(MSG_DEALLOC_VGPRS)
	s_endpgm
	.section	.rodata,"a",@progbits
	.p2align	6, 0x0
	.amdhsa_kernel _ZN9rocsparseL26csrgemm_fill_block_per_rowILj1024ELj64ELj32768ELj137ELj32EiidEEvT5_PKS1_S3_NS_24const_host_device_scalarIT6_EEPKT4_S3_PKS5_S9_S3_SB_S6_S9_S3_SB_S9_PS1_PS5_21rocsparse_index_base_SE_SE_SE_bbb
		.amdhsa_group_segment_fixed_size 0
		.amdhsa_private_segment_fixed_size 0
		.amdhsa_kernarg_size 156
		.amdhsa_user_sgpr_count 15
		.amdhsa_user_sgpr_dispatch_ptr 0
		.amdhsa_user_sgpr_queue_ptr 0
		.amdhsa_user_sgpr_kernarg_segment_ptr 1
		.amdhsa_user_sgpr_dispatch_id 0
		.amdhsa_user_sgpr_private_segment_size 0
		.amdhsa_wavefront_size32 1
		.amdhsa_uses_dynamic_stack 0
		.amdhsa_enable_private_segment 0
		.amdhsa_system_sgpr_workgroup_id_x 1
		.amdhsa_system_sgpr_workgroup_id_y 0
		.amdhsa_system_sgpr_workgroup_id_z 0
		.amdhsa_system_sgpr_workgroup_info 0
		.amdhsa_system_vgpr_workitem_id 0
		.amdhsa_next_free_vgpr 23
		.amdhsa_next_free_sgpr 76
		.amdhsa_reserve_vcc 1
		.amdhsa_float_round_mode_32 0
		.amdhsa_float_round_mode_16_64 0
		.amdhsa_float_denorm_mode_32 3
		.amdhsa_float_denorm_mode_16_64 3
		.amdhsa_dx10_clamp 1
		.amdhsa_ieee_mode 1
		.amdhsa_fp16_overflow 0
		.amdhsa_workgroup_processor_mode 1
		.amdhsa_memory_ordered 1
		.amdhsa_forward_progress 0
		.amdhsa_shared_vgpr_count 0
		.amdhsa_exception_fp_ieee_invalid_op 0
		.amdhsa_exception_fp_denorm_src 0
		.amdhsa_exception_fp_ieee_div_zero 0
		.amdhsa_exception_fp_ieee_overflow 0
		.amdhsa_exception_fp_ieee_underflow 0
		.amdhsa_exception_fp_ieee_inexact 0
		.amdhsa_exception_int_div_zero 0
	.end_amdhsa_kernel
	.section	.text._ZN9rocsparseL26csrgemm_fill_block_per_rowILj1024ELj64ELj32768ELj137ELj32EiidEEvT5_PKS1_S3_NS_24const_host_device_scalarIT6_EEPKT4_S3_PKS5_S9_S3_SB_S6_S9_S3_SB_S9_PS1_PS5_21rocsparse_index_base_SE_SE_SE_bbb,"axG",@progbits,_ZN9rocsparseL26csrgemm_fill_block_per_rowILj1024ELj64ELj32768ELj137ELj32EiidEEvT5_PKS1_S3_NS_24const_host_device_scalarIT6_EEPKT4_S3_PKS5_S9_S3_SB_S6_S9_S3_SB_S9_PS1_PS5_21rocsparse_index_base_SE_SE_SE_bbb,comdat
.Lfunc_end41:
	.size	_ZN9rocsparseL26csrgemm_fill_block_per_rowILj1024ELj64ELj32768ELj137ELj32EiidEEvT5_PKS1_S3_NS_24const_host_device_scalarIT6_EEPKT4_S3_PKS5_S9_S3_SB_S6_S9_S3_SB_S9_PS1_PS5_21rocsparse_index_base_SE_SE_SE_bbb, .Lfunc_end41-_ZN9rocsparseL26csrgemm_fill_block_per_rowILj1024ELj64ELj32768ELj137ELj32EiidEEvT5_PKS1_S3_NS_24const_host_device_scalarIT6_EEPKT4_S3_PKS5_S9_S3_SB_S6_S9_S3_SB_S9_PS1_PS5_21rocsparse_index_base_SE_SE_SE_bbb
                                        ; -- End function
	.section	.AMDGPU.csdata,"",@progbits
; Kernel info:
; codeLenInByte = 4808
; NumSgprs: 78
; NumVgprs: 23
; ScratchSize: 0
; MemoryBound: 0
; FloatMode: 240
; IeeeMode: 1
; LDSByteSize: 0 bytes/workgroup (compile time only)
; SGPRBlocks: 9
; VGPRBlocks: 2
; NumSGPRsForWavesPerEU: 78
; NumVGPRsForWavesPerEU: 23
; Occupancy: 16
; WaveLimiterHint : 1
; COMPUTE_PGM_RSRC2:SCRATCH_EN: 0
; COMPUTE_PGM_RSRC2:USER_SGPR: 15
; COMPUTE_PGM_RSRC2:TRAP_HANDLER: 0
; COMPUTE_PGM_RSRC2:TGID_X_EN: 1
; COMPUTE_PGM_RSRC2:TGID_Y_EN: 0
; COMPUTE_PGM_RSRC2:TGID_Z_EN: 0
; COMPUTE_PGM_RSRC2:TIDIG_COMP_CNT: 0
	.section	.text._ZN9rocsparseL26csrgemm_fill_block_per_rowILj1024ELj64ELj32768ELj137ELj64EiidEEvT5_PKS1_S3_NS_24const_host_device_scalarIT6_EEPKT4_S3_PKS5_S9_S3_SB_S6_S9_S3_SB_S9_PS1_PS5_21rocsparse_index_base_SE_SE_SE_bbb,"axG",@progbits,_ZN9rocsparseL26csrgemm_fill_block_per_rowILj1024ELj64ELj32768ELj137ELj64EiidEEvT5_PKS1_S3_NS_24const_host_device_scalarIT6_EEPKT4_S3_PKS5_S9_S3_SB_S6_S9_S3_SB_S9_PS1_PS5_21rocsparse_index_base_SE_SE_SE_bbb,comdat
	.globl	_ZN9rocsparseL26csrgemm_fill_block_per_rowILj1024ELj64ELj32768ELj137ELj64EiidEEvT5_PKS1_S3_NS_24const_host_device_scalarIT6_EEPKT4_S3_PKS5_S9_S3_SB_S6_S9_S3_SB_S9_PS1_PS5_21rocsparse_index_base_SE_SE_SE_bbb ; -- Begin function _ZN9rocsparseL26csrgemm_fill_block_per_rowILj1024ELj64ELj32768ELj137ELj64EiidEEvT5_PKS1_S3_NS_24const_host_device_scalarIT6_EEPKT4_S3_PKS5_S9_S3_SB_S6_S9_S3_SB_S9_PS1_PS5_21rocsparse_index_base_SE_SE_SE_bbb
	.p2align	8
	.type	_ZN9rocsparseL26csrgemm_fill_block_per_rowILj1024ELj64ELj32768ELj137ELj64EiidEEvT5_PKS1_S3_NS_24const_host_device_scalarIT6_EEPKT4_S3_PKS5_S9_S3_SB_S6_S9_S3_SB_S9_PS1_PS5_21rocsparse_index_base_SE_SE_SE_bbb,@function
_ZN9rocsparseL26csrgemm_fill_block_per_rowILj1024ELj64ELj32768ELj137ELj64EiidEEvT5_PKS1_S3_NS_24const_host_device_scalarIT6_EEPKT4_S3_PKS5_S9_S3_SB_S6_S9_S3_SB_S9_PS1_PS5_21rocsparse_index_base_SE_SE_SE_bbb: ; @_ZN9rocsparseL26csrgemm_fill_block_per_rowILj1024ELj64ELj32768ELj137ELj64EiidEEvT5_PKS1_S3_NS_24const_host_device_scalarIT6_EEPKT4_S3_PKS5_S9_S3_SB_S6_S9_S3_SB_S9_PS1_PS5_21rocsparse_index_base_SE_SE_SE_bbb
; %bb.0:
	s_clause 0x3
	s_load_b32 s12, s[0:1], 0x98
	s_load_b64 s[4:5], s[0:1], 0x18
	s_load_b128 s[24:27], s[0:1], 0x88
	s_load_b64 s[2:3], s[0:1], 0x50
	s_waitcnt lgkmcnt(0)
	s_and_b32 s6, 1, s12
	s_bitcmp1_b32 s12, 16
	s_cselect_b32 s14, -1, 0
	s_cmp_eq_u32 s6, 1
	s_cselect_b32 s13, -1, 0
	s_delay_alu instid0(SALU_CYCLE_1)
	s_and_b32 s6, s13, exec_lo
	s_cselect_b32 s7, s5, 0
	s_cselect_b32 s6, s4, 0
	s_xor_b32 s8, s13, -1
	v_dual_mov_b32 v3, s6 :: v_dual_mov_b32 v4, s7
	s_or_b32 s8, s8, s14
	s_delay_alu instid0(SALU_CYCLE_1)
	s_and_b32 vcc_lo, exec_lo, s8
	s_cbranch_vccnz .LBB42_2
; %bb.1:
	v_dual_mov_b32 v1, s4 :: v_dual_mov_b32 v2, s5
	flat_load_b64 v[3:4], v[1:2]
.LBB42_2:
	s_clause 0x4
	s_load_b128 s[28:31], s[0:1], 0x78
	s_load_b256 s[16:23], s[0:1], 0x58
	s_load_b128 s[36:39], s[0:1], 0x40
	s_load_b128 s[40:43], s[0:1], 0x8
	s_load_b256 s[4:11], s[0:1], 0x20
	s_bitcmp1_b32 s12, 8
	s_cselect_b32 s12, -1, 0
	s_delay_alu instid0(SALU_CYCLE_1)
	s_and_b32 s33, s12, exec_lo
	s_cselect_b32 s35, s3, 0
	s_cselect_b32 s34, s2, 0
	s_xor_b32 s33, s12, -1
	v_dual_mov_b32 v1, s34 :: v_dual_mov_b32 v2, s35
	s_or_b32 s14, s33, s14
	s_delay_alu instid0(SALU_CYCLE_1)
	s_and_b32 vcc_lo, exec_lo, s14
	s_cbranch_vccnz .LBB42_4
; %bb.3:
	v_dual_mov_b32 v1, s2 :: v_dual_mov_b32 v2, s3
	flat_load_b64 v[1:2], v[1:2]
.LBB42_4:
	s_load_b32 s33, s[0:1], 0x0
	v_dual_mov_b32 v5, 0 :: v_dual_lshlrev_b32 v6, 3, v0
	v_lshl_add_u32 v15, v0, 2, 0
	v_or_b32_e32 v17, 0xfffffc00, v0
	s_mov_b32 s0, 0
	s_delay_alu instid0(VALU_DEP_3) | instskip(NEXT) | instid1(VALU_DEP_3)
	v_add3_u32 v16, v6, 0, 0x20000
	v_dual_mov_b32 v6, v5 :: v_dual_mov_b32 v7, v15
	s_delay_alu instid0(VALU_DEP_3) | instskip(SKIP_1) | instid1(VALU_DEP_3)
	v_mov_b32_e32 v10, v17
	s_waitcnt lgkmcnt(0)
	v_dual_mov_b32 v8, v16 :: v_dual_mov_b32 v9, s33
.LBB42_5:                               ; =>This Inner Loop Header: Depth=1
	s_delay_alu instid0(VALU_DEP_2)
	v_add_nc_u32_e32 v10, 0x400, v10
	ds_store_b32 v7, v9
	ds_store_b64 v8, v[5:6]
	v_add_nc_u32_e32 v8, 0x2000, v8
	v_add_nc_u32_e32 v7, 0x1000, v7
	v_cmp_lt_u32_e32 vcc_lo, 0x7bff, v10
	s_or_b32 s0, vcc_lo, s0
	s_delay_alu instid0(SALU_CYCLE_1)
	s_and_not1_b32 exec_lo, exec_lo, s0
	s_cbranch_execnz .LBB42_5
; %bb.6:
	s_or_b32 exec_lo, exec_lo, s0
	s_waitcnt vmcnt(0) lgkmcnt(0)
	s_barrier
	buffer_gl0_inv
	s_load_b32 s0, s[40:41], 0x0
	s_mov_b32 s1, 0
	v_lshrrev_b32_e32 v18, 6, v0
	s_waitcnt lgkmcnt(0)
	s_add_i32 s0, s0, s15
	s_delay_alu instid0(SALU_CYCLE_1) | instskip(NEXT) | instid1(SALU_CYCLE_1)
	s_lshl_b64 s[0:1], s[0:1], 2
	s_add_u32 s0, s42, s0
	s_addc_u32 s1, s43, s1
	s_and_b32 vcc_lo, exec_lo, s13
	s_load_b32 s34, s[0:1], 0x0
	s_cbranch_vccz .LBB42_30
; %bb.7:
	s_waitcnt lgkmcnt(0)
	s_ashr_i32 s35, s34, 31
	v_subrev_nc_u32_e32 v5, s24, v18
	s_lshl_b64 s[0:1], s[34:35], 2
	s_delay_alu instid0(SALU_CYCLE_1)
	s_add_u32 s0, s4, s0
	s_addc_u32 s1, s5, s1
	s_load_b64 s[0:1], s[0:1], 0x0
	s_waitcnt lgkmcnt(0)
	v_add_nc_u32_e32 v5, s0, v5
	s_sub_i32 s0, s1, s24
	s_mov_b32 s1, exec_lo
	s_delay_alu instid0(VALU_DEP_1)
	v_cmpx_gt_i32_e64 s0, v5
	s_cbranch_execz .LBB42_29
; %bb.8:
	v_and_b32_e32 v6, 63, v0
	s_mov_b32 s2, 0
	s_delay_alu instid0(VALU_DEP_1)
	v_subrev_nc_u32_e32 v19, s25, v6
	s_branch .LBB42_10
.LBB42_9:                               ;   in Loop: Header=BB42_10 Depth=1
	s_or_b32 exec_lo, exec_lo, s3
	v_add_nc_u32_e32 v5, 16, v5
	s_delay_alu instid0(VALU_DEP_1) | instskip(SKIP_1) | instid1(SALU_CYCLE_1)
	v_cmp_le_i32_e32 vcc_lo, s0, v5
	s_or_b32 s2, vcc_lo, s2
	s_and_not1_b32 exec_lo, exec_lo, s2
	s_cbranch_execz .LBB42_29
.LBB42_10:                              ; =>This Loop Header: Depth=1
                                        ;     Child Loop BB42_13 Depth 2
                                        ;       Child Loop BB42_15 Depth 3
                                        ;         Child Loop BB42_21 Depth 4
                                        ;         Child Loop BB42_27 Depth 4
	v_ashrrev_i32_e32 v6, 31, v5
	s_mov_b32 s3, exec_lo
	s_delay_alu instid0(VALU_DEP_1) | instskip(NEXT) | instid1(VALU_DEP_1)
	v_lshlrev_b64 v[7:8], 2, v[5:6]
	v_add_co_u32 v7, vcc_lo, s6, v7
	s_delay_alu instid0(VALU_DEP_2) | instskip(SKIP_3) | instid1(VALU_DEP_1)
	v_add_co_ci_u32_e32 v8, vcc_lo, s7, v8, vcc_lo
	global_load_b32 v7, v[7:8], off
	s_waitcnt vmcnt(0)
	v_subrev_nc_u32_e32 v7, s24, v7
	v_ashrrev_i32_e32 v8, 31, v7
	s_delay_alu instid0(VALU_DEP_1) | instskip(NEXT) | instid1(VALU_DEP_1)
	v_lshlrev_b64 v[7:8], 2, v[7:8]
	v_add_co_u32 v7, vcc_lo, s10, v7
	s_delay_alu instid0(VALU_DEP_2) | instskip(SKIP_4) | instid1(VALU_DEP_1)
	v_add_co_ci_u32_e32 v8, vcc_lo, s11, v8, vcc_lo
	global_load_b64 v[7:8], v[7:8], off
	s_waitcnt vmcnt(0)
	v_subrev_nc_u32_e32 v20, s25, v8
	v_add_nc_u32_e32 v7, v7, v19
	v_cmpx_lt_i32_e64 v7, v20
	s_cbranch_execz .LBB42_9
; %bb.11:                               ;   in Loop: Header=BB42_10 Depth=1
	v_lshlrev_b64 v[8:9], 3, v[5:6]
	s_mov_b32 s4, 0
	s_delay_alu instid0(VALU_DEP_1) | instskip(NEXT) | instid1(VALU_DEP_2)
	v_add_co_u32 v8, vcc_lo, s8, v8
	v_add_co_ci_u32_e32 v9, vcc_lo, s9, v9, vcc_lo
	global_load_b64 v[8:9], v[8:9], off
	s_waitcnt vmcnt(0)
	v_mul_f64 v[9:10], v[3:4], v[8:9]
	s_branch .LBB42_13
.LBB42_12:                              ;   in Loop: Header=BB42_13 Depth=2
	s_or_b32 exec_lo, exec_lo, s5
	v_add_nc_u32_e32 v7, 64, v7
	s_delay_alu instid0(VALU_DEP_1) | instskip(SKIP_1) | instid1(SALU_CYCLE_1)
	v_cmp_ge_i32_e32 vcc_lo, v7, v20
	s_or_b32 s4, vcc_lo, s4
	s_and_not1_b32 exec_lo, exec_lo, s4
	s_cbranch_execz .LBB42_9
.LBB42_13:                              ;   Parent Loop BB42_10 Depth=1
                                        ; =>  This Loop Header: Depth=2
                                        ;       Child Loop BB42_15 Depth 3
                                        ;         Child Loop BB42_21 Depth 4
                                        ;         Child Loop BB42_27 Depth 4
	v_ashrrev_i32_e32 v8, 31, v7
	s_mov_b32 s5, 0
	s_delay_alu instid0(VALU_DEP_1) | instskip(SKIP_1) | instid1(VALU_DEP_2)
	v_lshlrev_b64 v[11:12], 3, v[7:8]
	v_lshlrev_b64 v[13:14], 2, v[7:8]
	v_add_co_u32 v11, vcc_lo, s38, v11
	s_delay_alu instid0(VALU_DEP_3) | instskip(NEXT) | instid1(VALU_DEP_3)
	v_add_co_ci_u32_e32 v12, vcc_lo, s39, v12, vcc_lo
	v_add_co_u32 v13, vcc_lo, s36, v13
	s_delay_alu instid0(VALU_DEP_4)
	v_add_co_ci_u32_e32 v14, vcc_lo, s37, v14, vcc_lo
	global_load_b64 v[11:12], v[11:12], off
	global_load_b32 v6, v[13:14], off
	s_waitcnt vmcnt(1)
	v_mul_f64 v[11:12], v[9:10], v[11:12]
	s_waitcnt vmcnt(0)
	v_subrev_nc_u32_e32 v6, s25, v6
	s_delay_alu instid0(VALU_DEP_1) | instskip(NEXT) | instid1(VALU_DEP_1)
	v_mul_lo_u32 v8, 0x89, v6
	v_and_b32_e32 v8, 0x7fff, v8
	s_branch .LBB42_15
.LBB42_14:                              ;   in Loop: Header=BB42_15 Depth=3
	s_or_b32 exec_lo, exec_lo, s13
	s_xor_b32 s13, s14, -1
	s_delay_alu instid0(SALU_CYCLE_1) | instskip(NEXT) | instid1(SALU_CYCLE_1)
	s_and_b32 s13, exec_lo, s13
	s_or_b32 s5, s13, s5
	s_delay_alu instid0(SALU_CYCLE_1)
	s_and_not1_b32 exec_lo, exec_lo, s5
	s_cbranch_execz .LBB42_12
.LBB42_15:                              ;   Parent Loop BB42_10 Depth=1
                                        ;     Parent Loop BB42_13 Depth=2
                                        ; =>    This Loop Header: Depth=3
                                        ;         Child Loop BB42_21 Depth 4
                                        ;         Child Loop BB42_27 Depth 4
	s_delay_alu instid0(VALU_DEP_1)
	v_lshl_add_u32 v13, v8, 2, 0
	s_mov_b32 s13, exec_lo
                                        ; implicit-def: $sgpr14
	ds_load_b32 v14, v13
	s_waitcnt lgkmcnt(0)
	v_cmpx_ne_u32_e64 v14, v6
	s_xor_b32 s13, exec_lo, s13
	s_cbranch_execz .LBB42_25
; %bb.16:                               ;   in Loop: Header=BB42_15 Depth=3
	s_mov_b32 s15, exec_lo
                                        ; implicit-def: $sgpr14
	v_cmpx_ne_u32_e64 s33, v14
	s_xor_b32 s15, exec_lo, s15
; %bb.17:                               ;   in Loop: Header=BB42_15 Depth=3
	v_add_nc_u32_e32 v8, 1, v8
	s_mov_b32 s14, -1
                                        ; implicit-def: $vgpr13
	s_delay_alu instid0(VALU_DEP_1)
	v_and_b32_e32 v8, 0x7fff, v8
; %bb.18:                               ;   in Loop: Header=BB42_15 Depth=3
	s_and_not1_saveexec_b32 s15, s15
	s_cbranch_execz .LBB42_24
; %bb.19:                               ;   in Loop: Header=BB42_15 Depth=3
	v_mov_b32_e32 v14, s33
	s_mov_b32 s40, -1
	s_mov_b32 s35, exec_lo
	ds_cmpstore_rtn_b32 v13, v13, v6, v14
	s_waitcnt lgkmcnt(0)
	v_cmpx_eq_u32_e64 s33, v13
	s_cbranch_execz .LBB42_23
; %bb.20:                               ;   in Loop: Header=BB42_15 Depth=3
	v_lshlrev_b32_e32 v13, 3, v8
	s_mov_b32 s40, 0
	s_delay_alu instid0(VALU_DEP_1)
	v_add3_u32 v21, 0, v13, 0x20000
	ds_load_b64 v[13:14], v21
.LBB42_21:                              ;   Parent Loop BB42_10 Depth=1
                                        ;     Parent Loop BB42_13 Depth=2
                                        ;       Parent Loop BB42_15 Depth=3
                                        ; =>      This Inner Loop Header: Depth=4
	s_waitcnt lgkmcnt(0)
	v_add_f64 v[22:23], v[13:14], v[11:12]
	ds_cmpstore_rtn_b64 v[22:23], v21, v[22:23], v[13:14]
	s_waitcnt lgkmcnt(0)
	v_cmp_eq_u64_e32 vcc_lo, v[22:23], v[13:14]
	v_dual_mov_b32 v13, v22 :: v_dual_mov_b32 v14, v23
	s_or_b32 s40, vcc_lo, s40
	s_delay_alu instid0(SALU_CYCLE_1)
	s_and_not1_b32 exec_lo, exec_lo, s40
	s_cbranch_execnz .LBB42_21
; %bb.22:                               ;   in Loop: Header=BB42_15 Depth=3
	s_or_b32 exec_lo, exec_lo, s40
	s_delay_alu instid0(SALU_CYCLE_1)
	s_xor_b32 s40, exec_lo, -1
.LBB42_23:                              ;   in Loop: Header=BB42_15 Depth=3
	s_or_b32 exec_lo, exec_lo, s35
	s_delay_alu instid0(SALU_CYCLE_1) | instskip(SKIP_1) | instid1(SALU_CYCLE_1)
	s_and_not1_b32 s14, s14, exec_lo
	s_and_b32 s35, s40, exec_lo
	s_or_b32 s14, s14, s35
.LBB42_24:                              ;   in Loop: Header=BB42_15 Depth=3
	s_or_b32 exec_lo, exec_lo, s15
	s_delay_alu instid0(SALU_CYCLE_1)
	s_and_b32 s14, s14, exec_lo
.LBB42_25:                              ;   in Loop: Header=BB42_15 Depth=3
	s_and_not1_saveexec_b32 s13, s13
	s_cbranch_execz .LBB42_14
; %bb.26:                               ;   in Loop: Header=BB42_15 Depth=3
	v_lshlrev_b32_e32 v13, 3, v8
	s_mov_b32 s15, 0
	s_delay_alu instid0(VALU_DEP_1)
	v_add3_u32 v21, 0, v13, 0x20000
	ds_load_b64 v[13:14], v21
.LBB42_27:                              ;   Parent Loop BB42_10 Depth=1
                                        ;     Parent Loop BB42_13 Depth=2
                                        ;       Parent Loop BB42_15 Depth=3
                                        ; =>      This Inner Loop Header: Depth=4
	s_waitcnt lgkmcnt(0)
	v_add_f64 v[22:23], v[13:14], v[11:12]
	ds_cmpstore_rtn_b64 v[22:23], v21, v[22:23], v[13:14]
	s_waitcnt lgkmcnt(0)
	v_cmp_eq_u64_e32 vcc_lo, v[22:23], v[13:14]
	v_dual_mov_b32 v13, v22 :: v_dual_mov_b32 v14, v23
	s_or_b32 s15, vcc_lo, s15
	s_delay_alu instid0(SALU_CYCLE_1)
	s_and_not1_b32 exec_lo, exec_lo, s15
	s_cbranch_execnz .LBB42_27
; %bb.28:                               ;   in Loop: Header=BB42_15 Depth=3
	s_or_b32 exec_lo, exec_lo, s15
	s_delay_alu instid0(SALU_CYCLE_1)
	s_and_not1_b32 s14, s14, exec_lo
	s_branch .LBB42_14
.LBB42_29:
	s_or_b32 exec_lo, exec_lo, s1
.LBB42_30:
	s_delay_alu instid0(SALU_CYCLE_1)
	s_and_not1_b32 vcc_lo, exec_lo, s12
	s_cbranch_vccnz .LBB42_51
; %bb.31:
	s_waitcnt lgkmcnt(0)
	s_ashr_i32 s35, s34, 31
	v_subrev_nc_u32_e32 v3, s27, v0
	s_lshl_b64 s[0:1], s[34:35], 2
	s_delay_alu instid0(SALU_CYCLE_1)
	s_add_u32 s0, s16, s0
	s_addc_u32 s1, s17, s1
	s_load_b64 s[0:1], s[0:1], 0x0
	s_waitcnt lgkmcnt(0)
	v_add_nc_u32_e32 v3, s0, v3
	s_sub_i32 s0, s1, s27
	s_mov_b32 s1, exec_lo
	s_delay_alu instid0(VALU_DEP_1)
	v_cmpx_gt_i32_e64 s0, v3
	s_cbranch_execz .LBB42_50
; %bb.32:
	s_mov_b32 s2, 0
	s_branch .LBB42_34
.LBB42_33:                              ;   in Loop: Header=BB42_34 Depth=1
	s_or_b32 exec_lo, exec_lo, s3
	v_add_nc_u32_e32 v3, 0x400, v3
	s_delay_alu instid0(VALU_DEP_1) | instskip(SKIP_1) | instid1(SALU_CYCLE_1)
	v_cmp_le_i32_e32 vcc_lo, s0, v3
	s_or_b32 s2, vcc_lo, s2
	s_and_not1_b32 exec_lo, exec_lo, s2
	s_cbranch_execz .LBB42_50
.LBB42_34:                              ; =>This Loop Header: Depth=1
                                        ;     Child Loop BB42_36 Depth 2
                                        ;       Child Loop BB42_42 Depth 3
                                        ;       Child Loop BB42_48 Depth 3
	v_ashrrev_i32_e32 v4, 31, v3
	s_mov_b32 s3, 0
	s_delay_alu instid0(VALU_DEP_1) | instskip(SKIP_1) | instid1(VALU_DEP_2)
	v_lshlrev_b64 v[5:6], 3, v[3:4]
	v_lshlrev_b64 v[7:8], 2, v[3:4]
	v_add_co_u32 v5, vcc_lo, s20, v5
	s_delay_alu instid0(VALU_DEP_3) | instskip(NEXT) | instid1(VALU_DEP_3)
	v_add_co_ci_u32_e32 v6, vcc_lo, s21, v6, vcc_lo
	v_add_co_u32 v7, vcc_lo, s18, v7
	s_delay_alu instid0(VALU_DEP_4)
	v_add_co_ci_u32_e32 v8, vcc_lo, s19, v8, vcc_lo
	global_load_b64 v[5:6], v[5:6], off
	global_load_b32 v7, v[7:8], off
	s_waitcnt vmcnt(1)
	v_mul_f64 v[4:5], v[1:2], v[5:6]
	s_waitcnt vmcnt(0)
	v_subrev_nc_u32_e32 v8, s27, v7
	s_delay_alu instid0(VALU_DEP_1) | instskip(NEXT) | instid1(VALU_DEP_1)
	v_mul_lo_u32 v6, 0x89, v8
	v_and_b32_e32 v9, 0x7fff, v6
	s_branch .LBB42_36
.LBB42_35:                              ;   in Loop: Header=BB42_36 Depth=2
	s_or_b32 exec_lo, exec_lo, s4
	s_xor_b32 s4, s5, -1
	s_delay_alu instid0(SALU_CYCLE_1) | instskip(NEXT) | instid1(SALU_CYCLE_1)
	s_and_b32 s4, exec_lo, s4
	s_or_b32 s3, s4, s3
	s_delay_alu instid0(SALU_CYCLE_1)
	s_and_not1_b32 exec_lo, exec_lo, s3
	s_cbranch_execz .LBB42_33
.LBB42_36:                              ;   Parent Loop BB42_34 Depth=1
                                        ; =>  This Loop Header: Depth=2
                                        ;       Child Loop BB42_42 Depth 3
                                        ;       Child Loop BB42_48 Depth 3
	s_delay_alu instid0(VALU_DEP_1)
	v_lshl_add_u32 v6, v9, 2, 0
	s_mov_b32 s4, exec_lo
                                        ; implicit-def: $sgpr5
	ds_load_b32 v7, v6
	s_waitcnt lgkmcnt(0)
	v_cmpx_ne_u32_e64 v7, v8
	s_xor_b32 s4, exec_lo, s4
	s_cbranch_execz .LBB42_46
; %bb.37:                               ;   in Loop: Header=BB42_36 Depth=2
	s_mov_b32 s6, exec_lo
                                        ; implicit-def: $sgpr5
	v_cmpx_ne_u32_e64 s33, v7
	s_xor_b32 s6, exec_lo, s6
; %bb.38:                               ;   in Loop: Header=BB42_36 Depth=2
	v_add_nc_u32_e32 v6, 1, v9
	s_mov_b32 s5, -1
	s_delay_alu instid0(VALU_DEP_1)
	v_and_b32_e32 v9, 0x7fff, v6
                                        ; implicit-def: $vgpr6
; %bb.39:                               ;   in Loop: Header=BB42_36 Depth=2
	s_and_not1_saveexec_b32 s6, s6
	s_cbranch_execz .LBB42_45
; %bb.40:                               ;   in Loop: Header=BB42_36 Depth=2
	v_mov_b32_e32 v7, s33
	s_mov_b32 s8, -1
	s_mov_b32 s7, exec_lo
	ds_cmpstore_rtn_b32 v6, v6, v8, v7
	s_waitcnt lgkmcnt(0)
	v_cmpx_eq_u32_e64 s33, v6
	s_cbranch_execz .LBB42_44
; %bb.41:                               ;   in Loop: Header=BB42_36 Depth=2
	v_lshlrev_b32_e32 v6, 3, v9
	s_mov_b32 s8, 0
	s_delay_alu instid0(VALU_DEP_1)
	v_add3_u32 v10, 0, v6, 0x20000
	ds_load_b64 v[6:7], v10
.LBB42_42:                              ;   Parent Loop BB42_34 Depth=1
                                        ;     Parent Loop BB42_36 Depth=2
                                        ; =>    This Inner Loop Header: Depth=3
	s_waitcnt lgkmcnt(0)
	v_add_f64 v[11:12], v[6:7], v[4:5]
	ds_cmpstore_rtn_b64 v[11:12], v10, v[11:12], v[6:7]
	s_waitcnt lgkmcnt(0)
	v_cmp_eq_u64_e32 vcc_lo, v[11:12], v[6:7]
	v_dual_mov_b32 v6, v11 :: v_dual_mov_b32 v7, v12
	s_or_b32 s8, vcc_lo, s8
	s_delay_alu instid0(SALU_CYCLE_1)
	s_and_not1_b32 exec_lo, exec_lo, s8
	s_cbranch_execnz .LBB42_42
; %bb.43:                               ;   in Loop: Header=BB42_36 Depth=2
	s_or_b32 exec_lo, exec_lo, s8
	s_delay_alu instid0(SALU_CYCLE_1)
	s_xor_b32 s8, exec_lo, -1
.LBB42_44:                              ;   in Loop: Header=BB42_36 Depth=2
	s_or_b32 exec_lo, exec_lo, s7
	s_delay_alu instid0(SALU_CYCLE_1) | instskip(SKIP_1) | instid1(SALU_CYCLE_1)
	s_and_not1_b32 s5, s5, exec_lo
	s_and_b32 s7, s8, exec_lo
	s_or_b32 s5, s5, s7
.LBB42_45:                              ;   in Loop: Header=BB42_36 Depth=2
	s_or_b32 exec_lo, exec_lo, s6
	s_delay_alu instid0(SALU_CYCLE_1)
	s_and_b32 s5, s5, exec_lo
.LBB42_46:                              ;   in Loop: Header=BB42_36 Depth=2
	s_and_not1_saveexec_b32 s4, s4
	s_cbranch_execz .LBB42_35
; %bb.47:                               ;   in Loop: Header=BB42_36 Depth=2
	v_lshlrev_b32_e32 v6, 3, v9
	s_mov_b32 s6, 0
	s_delay_alu instid0(VALU_DEP_1)
	v_add3_u32 v10, 0, v6, 0x20000
	ds_load_b64 v[6:7], v10
.LBB42_48:                              ;   Parent Loop BB42_34 Depth=1
                                        ;     Parent Loop BB42_36 Depth=2
                                        ; =>    This Inner Loop Header: Depth=3
	s_waitcnt lgkmcnt(0)
	v_add_f64 v[11:12], v[6:7], v[4:5]
	ds_cmpstore_rtn_b64 v[11:12], v10, v[11:12], v[6:7]
	s_waitcnt lgkmcnt(0)
	v_cmp_eq_u64_e32 vcc_lo, v[11:12], v[6:7]
	v_dual_mov_b32 v6, v11 :: v_dual_mov_b32 v7, v12
	s_or_b32 s6, vcc_lo, s6
	s_delay_alu instid0(SALU_CYCLE_1)
	s_and_not1_b32 exec_lo, exec_lo, s6
	s_cbranch_execnz .LBB42_48
; %bb.49:                               ;   in Loop: Header=BB42_36 Depth=2
	s_or_b32 exec_lo, exec_lo, s6
	s_delay_alu instid0(SALU_CYCLE_1)
	s_and_not1_b32 s5, s5, exec_lo
	s_branch .LBB42_35
.LBB42_50:
	s_or_b32 exec_lo, exec_lo, s1
.LBB42_51:
	v_mbcnt_lo_u32_b32 v1, -1, 0
	v_dual_mov_b32 v5, 0 :: v_dual_lshlrev_b32 v2, 2, v18
	s_add_i32 s38, 0, 0x6003c
	v_cmp_eq_u32_e32 vcc_lo, 0x3ff, v0
	s_delay_alu instid0(VALU_DEP_3) | instskip(NEXT) | instid1(VALU_DEP_3)
	v_xor_b32_e32 v1, 63, v1
	v_add3_u32 v4, 0, 0x60000, v2
	v_cmp_lt_u32_e64 s0, 63, v0
	v_cmp_lt_u32_e64 s1, 0x7f, v0
	v_cmp_lt_u32_e64 s2, 0xbf, v0
	v_lshrrev_b64 v[1:2], v1, -1
	v_cmp_lt_u32_e64 s3, 0xff, v0
	v_cmp_lt_u32_e64 s4, 0x13f, v0
	;; [unrolled: 1-line block ×12, first 2 shown]
	v_mov_b32_e32 v6, s38
	s_mov_b32 s16, 0
	s_add_i32 s17, 0, 0x60000
	s_add_i32 s18, 0, 0x60004
	;; [unrolled: 1-line block ×15, first 2 shown]
	s_waitcnt lgkmcnt(0)
	s_barrier
	buffer_gl0_inv
	s_branch .LBB42_53
.LBB42_52:                              ;   in Loop: Header=BB42_53 Depth=1
	s_or_b32 exec_lo, exec_lo, s15
	s_waitcnt lgkmcnt(0)
	s_barrier
	buffer_gl0_inv
	ds_load_b32 v2, v6
	v_add_nc_u32_e32 v17, 0x400, v17
	v_add_nc_u32_e32 v16, 0x2000, v16
	;; [unrolled: 1-line block ×3, first 2 shown]
	s_delay_alu instid0(VALU_DEP_3) | instskip(NEXT) | instid1(VALU_DEP_1)
	v_cmp_lt_u32_e64 s15, 0x7bff, v17
	s_or_b32 s16, s15, s16
	s_waitcnt lgkmcnt(0)
	v_add_nc_u32_e32 v5, v2, v5
	s_and_not1_b32 exec_lo, exec_lo, s16
	s_cbranch_execz .LBB42_87
.LBB42_53:                              ; =>This Inner Loop Header: Depth=1
	ds_load_b32 v7, v15
	ds_load_b64 v[2:3], v16
	s_waitcnt lgkmcnt(0)
	s_barrier
	buffer_gl0_inv
	v_cmp_gt_i32_e64 s15, s33, v7
	s_delay_alu instid0(VALU_DEP_1) | instskip(NEXT) | instid1(SALU_CYCLE_1)
	s_bcnt1_i32_b32 s43, s15
	v_dual_mov_b32 v9, s43 :: v_dual_and_b32 v8, s15, v1
	s_delay_alu instid0(VALU_DEP_1)
	v_bcnt_u32_b32 v8, v8, 0
	ds_store_b32 v4, v9
	s_waitcnt lgkmcnt(0)
	s_barrier
	buffer_gl0_inv
	s_and_saveexec_b32 s43, s0
	s_cbranch_execnz .LBB42_70
; %bb.54:                               ;   in Loop: Header=BB42_53 Depth=1
	s_or_b32 exec_lo, exec_lo, s43
	s_and_saveexec_b32 s43, s1
	s_cbranch_execnz .LBB42_71
.LBB42_55:                              ;   in Loop: Header=BB42_53 Depth=1
	s_or_b32 exec_lo, exec_lo, s43
	s_and_saveexec_b32 s43, s2
	s_cbranch_execnz .LBB42_72
.LBB42_56:                              ;   in Loop: Header=BB42_53 Depth=1
	s_or_b32 exec_lo, exec_lo, s43
	s_and_saveexec_b32 s43, s3
	s_cbranch_execnz .LBB42_73
.LBB42_57:                              ;   in Loop: Header=BB42_53 Depth=1
	s_or_b32 exec_lo, exec_lo, s43
	s_and_saveexec_b32 s43, s4
	s_cbranch_execnz .LBB42_74
.LBB42_58:                              ;   in Loop: Header=BB42_53 Depth=1
	s_or_b32 exec_lo, exec_lo, s43
	s_and_saveexec_b32 s43, s5
	s_cbranch_execnz .LBB42_75
.LBB42_59:                              ;   in Loop: Header=BB42_53 Depth=1
	s_or_b32 exec_lo, exec_lo, s43
	s_and_saveexec_b32 s43, s6
	s_cbranch_execnz .LBB42_76
.LBB42_60:                              ;   in Loop: Header=BB42_53 Depth=1
	s_or_b32 exec_lo, exec_lo, s43
	s_and_saveexec_b32 s43, s7
	s_cbranch_execnz .LBB42_77
.LBB42_61:                              ;   in Loop: Header=BB42_53 Depth=1
	s_or_b32 exec_lo, exec_lo, s43
	s_and_saveexec_b32 s43, s8
	s_cbranch_execnz .LBB42_78
.LBB42_62:                              ;   in Loop: Header=BB42_53 Depth=1
	s_or_b32 exec_lo, exec_lo, s43
	s_and_saveexec_b32 s43, s9
	s_cbranch_execnz .LBB42_79
.LBB42_63:                              ;   in Loop: Header=BB42_53 Depth=1
	s_or_b32 exec_lo, exec_lo, s43
	s_and_saveexec_b32 s43, s10
	s_cbranch_execnz .LBB42_80
.LBB42_64:                              ;   in Loop: Header=BB42_53 Depth=1
	s_or_b32 exec_lo, exec_lo, s43
	s_and_saveexec_b32 s43, s11
	s_cbranch_execnz .LBB42_81
.LBB42_65:                              ;   in Loop: Header=BB42_53 Depth=1
	s_or_b32 exec_lo, exec_lo, s43
	s_and_saveexec_b32 s43, s12
	s_cbranch_execnz .LBB42_82
.LBB42_66:                              ;   in Loop: Header=BB42_53 Depth=1
	s_or_b32 exec_lo, exec_lo, s43
	s_and_saveexec_b32 s43, s13
	s_cbranch_execnz .LBB42_83
.LBB42_67:                              ;   in Loop: Header=BB42_53 Depth=1
	s_or_b32 exec_lo, exec_lo, s43
	s_and_saveexec_b32 s43, s14
	s_cbranch_execnz .LBB42_84
.LBB42_68:                              ;   in Loop: Header=BB42_53 Depth=1
	s_or_b32 exec_lo, exec_lo, s43
	s_and_saveexec_b32 s43, s15
	s_cbranch_execnz .LBB42_85
.LBB42_69:                              ;   in Loop: Header=BB42_53 Depth=1
	s_or_b32 exec_lo, exec_lo, s43
	s_and_saveexec_b32 s15, vcc_lo
	s_cbranch_execz .LBB42_52
	s_branch .LBB42_86
.LBB42_70:                              ;   in Loop: Header=BB42_53 Depth=1
	v_mov_b32_e32 v9, s17
	ds_load_b32 v9, v9
	s_waitcnt lgkmcnt(0)
	v_add_nc_u32_e32 v8, v9, v8
	s_or_b32 exec_lo, exec_lo, s43
	s_and_saveexec_b32 s43, s1
	s_cbranch_execz .LBB42_55
.LBB42_71:                              ;   in Loop: Header=BB42_53 Depth=1
	v_mov_b32_e32 v9, s18
	ds_load_b32 v9, v9
	s_waitcnt lgkmcnt(0)
	v_add_nc_u32_e32 v8, v9, v8
	s_or_b32 exec_lo, exec_lo, s43
	s_and_saveexec_b32 s43, s2
	s_cbranch_execz .LBB42_56
.LBB42_72:                              ;   in Loop: Header=BB42_53 Depth=1
	v_mov_b32_e32 v9, s19
	ds_load_b32 v9, v9
	s_waitcnt lgkmcnt(0)
	v_add_nc_u32_e32 v8, v9, v8
	s_or_b32 exec_lo, exec_lo, s43
	s_and_saveexec_b32 s43, s3
	s_cbranch_execz .LBB42_57
.LBB42_73:                              ;   in Loop: Header=BB42_53 Depth=1
	v_mov_b32_e32 v9, s20
	ds_load_b32 v9, v9
	s_waitcnt lgkmcnt(0)
	v_add_nc_u32_e32 v8, v9, v8
	s_or_b32 exec_lo, exec_lo, s43
	s_and_saveexec_b32 s43, s4
	s_cbranch_execz .LBB42_58
.LBB42_74:                              ;   in Loop: Header=BB42_53 Depth=1
	v_mov_b32_e32 v9, s21
	ds_load_b32 v9, v9
	s_waitcnt lgkmcnt(0)
	v_add_nc_u32_e32 v8, v9, v8
	s_or_b32 exec_lo, exec_lo, s43
	s_and_saveexec_b32 s43, s5
	s_cbranch_execz .LBB42_59
.LBB42_75:                              ;   in Loop: Header=BB42_53 Depth=1
	v_mov_b32_e32 v9, s24
	ds_load_b32 v9, v9
	s_waitcnt lgkmcnt(0)
	v_add_nc_u32_e32 v8, v9, v8
	s_or_b32 exec_lo, exec_lo, s43
	s_and_saveexec_b32 s43, s6
	s_cbranch_execz .LBB42_60
.LBB42_76:                              ;   in Loop: Header=BB42_53 Depth=1
	v_mov_b32_e32 v9, s25
	ds_load_b32 v9, v9
	s_waitcnt lgkmcnt(0)
	v_add_nc_u32_e32 v8, v9, v8
	s_or_b32 exec_lo, exec_lo, s43
	s_and_saveexec_b32 s43, s7
	s_cbranch_execz .LBB42_61
.LBB42_77:                              ;   in Loop: Header=BB42_53 Depth=1
	v_mov_b32_e32 v9, s27
	ds_load_b32 v9, v9
	s_waitcnt lgkmcnt(0)
	v_add_nc_u32_e32 v8, v9, v8
	s_or_b32 exec_lo, exec_lo, s43
	s_and_saveexec_b32 s43, s8
	s_cbranch_execz .LBB42_62
.LBB42_78:                              ;   in Loop: Header=BB42_53 Depth=1
	v_mov_b32_e32 v9, s35
	ds_load_b32 v9, v9
	s_waitcnt lgkmcnt(0)
	v_add_nc_u32_e32 v8, v9, v8
	s_or_b32 exec_lo, exec_lo, s43
	s_and_saveexec_b32 s43, s9
	s_cbranch_execz .LBB42_63
.LBB42_79:                              ;   in Loop: Header=BB42_53 Depth=1
	v_mov_b32_e32 v9, s36
	ds_load_b32 v9, v9
	s_waitcnt lgkmcnt(0)
	v_add_nc_u32_e32 v8, v9, v8
	s_or_b32 exec_lo, exec_lo, s43
	s_and_saveexec_b32 s43, s10
	s_cbranch_execz .LBB42_64
.LBB42_80:                              ;   in Loop: Header=BB42_53 Depth=1
	v_mov_b32_e32 v9, s37
	ds_load_b32 v9, v9
	s_waitcnt lgkmcnt(0)
	v_add_nc_u32_e32 v8, v9, v8
	s_or_b32 exec_lo, exec_lo, s43
	s_and_saveexec_b32 s43, s11
	s_cbranch_execz .LBB42_65
.LBB42_81:                              ;   in Loop: Header=BB42_53 Depth=1
	v_mov_b32_e32 v9, s39
	ds_load_b32 v9, v9
	s_waitcnt lgkmcnt(0)
	v_add_nc_u32_e32 v8, v9, v8
	s_or_b32 exec_lo, exec_lo, s43
	s_and_saveexec_b32 s43, s12
	s_cbranch_execz .LBB42_66
.LBB42_82:                              ;   in Loop: Header=BB42_53 Depth=1
	v_mov_b32_e32 v9, s40
	ds_load_b32 v9, v9
	s_waitcnt lgkmcnt(0)
	v_add_nc_u32_e32 v8, v9, v8
	s_or_b32 exec_lo, exec_lo, s43
	s_and_saveexec_b32 s43, s13
	s_cbranch_execz .LBB42_67
.LBB42_83:                              ;   in Loop: Header=BB42_53 Depth=1
	v_mov_b32_e32 v9, s41
	ds_load_b32 v9, v9
	s_waitcnt lgkmcnt(0)
	v_add_nc_u32_e32 v8, v9, v8
	s_or_b32 exec_lo, exec_lo, s43
	s_and_saveexec_b32 s43, s14
	s_cbranch_execz .LBB42_68
.LBB42_84:                              ;   in Loop: Header=BB42_53 Depth=1
	v_mov_b32_e32 v9, s42
	ds_load_b32 v9, v9
	s_waitcnt lgkmcnt(0)
	v_add_nc_u32_e32 v8, v9, v8
	s_or_b32 exec_lo, exec_lo, s43
	s_and_saveexec_b32 s43, s15
	s_cbranch_execz .LBB42_69
.LBB42_85:                              ;   in Loop: Header=BB42_53 Depth=1
	s_delay_alu instid0(VALU_DEP_1) | instskip(NEXT) | instid1(VALU_DEP_1)
	v_add3_u32 v9, v5, -1, v8
	v_lshlrev_b32_e32 v10, 3, v9
	v_lshl_add_u32 v9, v9, 2, 0
	s_delay_alu instid0(VALU_DEP_2)
	v_add3_u32 v10, 0, v10, 0x20000
	ds_store_b32 v9, v7
	ds_store_b64 v10, v[2:3]
	s_or_b32 exec_lo, exec_lo, s43
	s_and_saveexec_b32 s15, vcc_lo
	s_cbranch_execz .LBB42_52
.LBB42_86:                              ;   in Loop: Header=BB42_53 Depth=1
	v_mov_b32_e32 v2, s38
	ds_store_b32 v2, v8
	s_branch .LBB42_52
.LBB42_87:
	s_or_b32 exec_lo, exec_lo, s16
	s_ashr_i32 s35, s34, 31
	s_mov_b32 s3, exec_lo
	s_lshl_b64 s[0:1], s[34:35], 2
	s_delay_alu instid0(SALU_CYCLE_1) | instskip(SKIP_4) | instid1(SALU_CYCLE_1)
	s_add_u32 s0, s22, s0
	s_addc_u32 s1, s23, s1
	s_load_b64 s[0:1], s[0:1], 0x0
	s_waitcnt lgkmcnt(0)
	s_sub_i32 s2, s1, s0
	v_cmpx_gt_i32_e64 s2, v0
	s_cbranch_execz .LBB42_97
; %bb.88:
	s_sub_i32 s3, s0, s26
	s_sub_i32 s0, s0, s1
	s_and_b32 s1, s2, 7
	s_cmp_lt_u32 s0, -7
	s_mov_b32 s7, 0
	s_cselect_b32 s4, -1, 0
	s_and_b32 s5, s2, -8
	s_cmp_lg_u32 s1, 0
	s_cselect_b32 s6, -1, 0
	s_branch .LBB42_90
.LBB42_89:                              ;   in Loop: Header=BB42_90 Depth=1
	s_delay_alu instid0(VALU_DEP_1) | instskip(SKIP_3) | instid1(VALU_DEP_3)
	v_ashrrev_i32_e32 v4, 31, v3
	v_add_nc_u32_e32 v0, 0x400, v0
	s_waitcnt lgkmcnt(1)
	v_add_nc_u32_e32 v8, s26, v5
	v_lshlrev_b64 v[6:7], 2, v[3:4]
	v_lshlrev_b64 v[3:4], 3, v[3:4]
	v_cmp_le_i32_e32 vcc_lo, s2, v0
	s_delay_alu instid0(VALU_DEP_3) | instskip(NEXT) | instid1(VALU_DEP_1)
	v_add_co_u32 v5, s0, s28, v6
	v_add_co_ci_u32_e64 v6, s0, s29, v7, s0
	s_delay_alu instid0(VALU_DEP_4) | instskip(NEXT) | instid1(VALU_DEP_1)
	v_add_co_u32 v3, s0, s30, v3
	v_add_co_ci_u32_e64 v4, s0, s31, v4, s0
	s_or_b32 s7, vcc_lo, s7
	global_store_b32 v[5:6], v8, off
	s_waitcnt lgkmcnt(0)
	global_store_b64 v[3:4], v[1:2], off
	s_and_not1_b32 exec_lo, exec_lo, s7
	s_cbranch_execz .LBB42_97
.LBB42_90:                              ; =>This Loop Header: Depth=1
                                        ;     Child Loop BB42_92 Depth 2
                                        ;     Child Loop BB42_96 Depth 2
	v_lshlrev_b32_e32 v1, 3, v0
	v_lshl_add_u32 v2, v0, 2, 0
	v_mov_b32_e32 v3, s3
	s_and_not1_b32 vcc_lo, exec_lo, s4
	s_mov_b32 s0, 0
	v_add3_u32 v1, 0, v1, 0x20000
	ds_load_b32 v5, v2
	ds_load_b64 v[1:2], v1
	s_cbranch_vccnz .LBB42_94
; %bb.91:                               ;   in Loop: Header=BB42_90 Depth=1
	v_mov_b32_e32 v3, s3
	s_mov_b32 s8, 0
	s_set_inst_prefetch_distance 0x1
	.p2align	6
.LBB42_92:                              ;   Parent Loop BB42_90 Depth=1
                                        ; =>  This Inner Loop Header: Depth=2
	v_mov_b32_e32 v4, s8
	s_add_i32 s0, s0, 8
	s_add_i32 s8, s8, 32
	s_cmp_eq_u32 s5, s0
	ds_load_2addr_b32 v[6:7], v4 offset1:1
	ds_load_2addr_b32 v[8:9], v4 offset0:2 offset1:3
	ds_load_2addr_b32 v[10:11], v4 offset0:4 offset1:5
	;; [unrolled: 1-line block ×3, first 2 shown]
	s_waitcnt lgkmcnt(3)
	v_cmp_gt_i32_e32 vcc_lo, v5, v6
	v_cndmask_b32_e64 v4, 0, 1, vcc_lo
	s_waitcnt lgkmcnt(2)
	v_cmp_gt_i32_e32 vcc_lo, v5, v8
	v_cndmask_b32_e64 v6, 0, 1, vcc_lo
	v_cmp_gt_i32_e32 vcc_lo, v5, v7
	v_add_co_ci_u32_e32 v3, vcc_lo, v3, v4, vcc_lo
	s_waitcnt lgkmcnt(1)
	v_cmp_gt_i32_e32 vcc_lo, v5, v10
	v_cndmask_b32_e64 v4, 0, 1, vcc_lo
	v_cmp_gt_i32_e32 vcc_lo, v5, v9
	v_add_co_ci_u32_e32 v3, vcc_lo, v3, v6, vcc_lo
	;; [unrolled: 5-line block ×3, first 2 shown]
	v_cmp_gt_i32_e32 vcc_lo, v5, v13
	s_delay_alu instid0(VALU_DEP_2)
	v_add_co_ci_u32_e32 v3, vcc_lo, v3, v6, vcc_lo
	s_cbranch_scc0 .LBB42_92
; %bb.93:                               ;   in Loop: Header=BB42_90 Depth=1
	s_set_inst_prefetch_distance 0x2
	s_mov_b32 s0, s5
.LBB42_94:                              ;   in Loop: Header=BB42_90 Depth=1
	s_and_not1_b32 vcc_lo, exec_lo, s6
	s_cbranch_vccnz .LBB42_89
; %bb.95:                               ;   in Loop: Header=BB42_90 Depth=1
	s_lshl_b32 s0, s0, 2
	s_mov_b32 s8, s1
	s_add_i32 s0, s0, 0
.LBB42_96:                              ;   Parent Loop BB42_90 Depth=1
                                        ; =>  This Inner Loop Header: Depth=2
	s_delay_alu instid0(SALU_CYCLE_1)
	v_mov_b32_e32 v4, s0
	s_add_i32 s8, s8, -1
	s_add_i32 s0, s0, 4
	s_cmp_lg_u32 s8, 0
	ds_load_b32 v4, v4
	s_waitcnt lgkmcnt(0)
	v_cmp_gt_i32_e32 vcc_lo, v5, v4
	v_add_co_ci_u32_e32 v3, vcc_lo, 0, v3, vcc_lo
	s_cbranch_scc1 .LBB42_96
	s_branch .LBB42_89
.LBB42_97:
	s_nop 0
	s_sendmsg sendmsg(MSG_DEALLOC_VGPRS)
	s_endpgm
	.section	.rodata,"a",@progbits
	.p2align	6, 0x0
	.amdhsa_kernel _ZN9rocsparseL26csrgemm_fill_block_per_rowILj1024ELj64ELj32768ELj137ELj64EiidEEvT5_PKS1_S3_NS_24const_host_device_scalarIT6_EEPKT4_S3_PKS5_S9_S3_SB_S6_S9_S3_SB_S9_PS1_PS5_21rocsparse_index_base_SE_SE_SE_bbb
		.amdhsa_group_segment_fixed_size 0
		.amdhsa_private_segment_fixed_size 0
		.amdhsa_kernarg_size 156
		.amdhsa_user_sgpr_count 15
		.amdhsa_user_sgpr_dispatch_ptr 0
		.amdhsa_user_sgpr_queue_ptr 0
		.amdhsa_user_sgpr_kernarg_segment_ptr 1
		.amdhsa_user_sgpr_dispatch_id 0
		.amdhsa_user_sgpr_private_segment_size 0
		.amdhsa_wavefront_size32 1
		.amdhsa_uses_dynamic_stack 0
		.amdhsa_enable_private_segment 0
		.amdhsa_system_sgpr_workgroup_id_x 1
		.amdhsa_system_sgpr_workgroup_id_y 0
		.amdhsa_system_sgpr_workgroup_id_z 0
		.amdhsa_system_sgpr_workgroup_info 0
		.amdhsa_system_vgpr_workitem_id 0
		.amdhsa_next_free_vgpr 24
		.amdhsa_next_free_sgpr 44
		.amdhsa_reserve_vcc 1
		.amdhsa_float_round_mode_32 0
		.amdhsa_float_round_mode_16_64 0
		.amdhsa_float_denorm_mode_32 3
		.amdhsa_float_denorm_mode_16_64 3
		.amdhsa_dx10_clamp 1
		.amdhsa_ieee_mode 1
		.amdhsa_fp16_overflow 0
		.amdhsa_workgroup_processor_mode 1
		.amdhsa_memory_ordered 1
		.amdhsa_forward_progress 0
		.amdhsa_shared_vgpr_count 0
		.amdhsa_exception_fp_ieee_invalid_op 0
		.amdhsa_exception_fp_denorm_src 0
		.amdhsa_exception_fp_ieee_div_zero 0
		.amdhsa_exception_fp_ieee_overflow 0
		.amdhsa_exception_fp_ieee_underflow 0
		.amdhsa_exception_fp_ieee_inexact 0
		.amdhsa_exception_int_div_zero 0
	.end_amdhsa_kernel
	.section	.text._ZN9rocsparseL26csrgemm_fill_block_per_rowILj1024ELj64ELj32768ELj137ELj64EiidEEvT5_PKS1_S3_NS_24const_host_device_scalarIT6_EEPKT4_S3_PKS5_S9_S3_SB_S6_S9_S3_SB_S9_PS1_PS5_21rocsparse_index_base_SE_SE_SE_bbb,"axG",@progbits,_ZN9rocsparseL26csrgemm_fill_block_per_rowILj1024ELj64ELj32768ELj137ELj64EiidEEvT5_PKS1_S3_NS_24const_host_device_scalarIT6_EEPKT4_S3_PKS5_S9_S3_SB_S6_S9_S3_SB_S9_PS1_PS5_21rocsparse_index_base_SE_SE_SE_bbb,comdat
.Lfunc_end42:
	.size	_ZN9rocsparseL26csrgemm_fill_block_per_rowILj1024ELj64ELj32768ELj137ELj64EiidEEvT5_PKS1_S3_NS_24const_host_device_scalarIT6_EEPKT4_S3_PKS5_S9_S3_SB_S6_S9_S3_SB_S9_PS1_PS5_21rocsparse_index_base_SE_SE_SE_bbb, .Lfunc_end42-_ZN9rocsparseL26csrgemm_fill_block_per_rowILj1024ELj64ELj32768ELj137ELj64EiidEEvT5_PKS1_S3_NS_24const_host_device_scalarIT6_EEPKT4_S3_PKS5_S9_S3_SB_S6_S9_S3_SB_S9_PS1_PS5_21rocsparse_index_base_SE_SE_SE_bbb
                                        ; -- End function
	.section	.AMDGPU.csdata,"",@progbits
; Kernel info:
; codeLenInByte = 3780
; NumSgprs: 46
; NumVgprs: 24
; ScratchSize: 0
; MemoryBound: 0
; FloatMode: 240
; IeeeMode: 1
; LDSByteSize: 0 bytes/workgroup (compile time only)
; SGPRBlocks: 5
; VGPRBlocks: 2
; NumSGPRsForWavesPerEU: 46
; NumVGPRsForWavesPerEU: 24
; Occupancy: 16
; WaveLimiterHint : 1
; COMPUTE_PGM_RSRC2:SCRATCH_EN: 0
; COMPUTE_PGM_RSRC2:USER_SGPR: 15
; COMPUTE_PGM_RSRC2:TRAP_HANDLER: 0
; COMPUTE_PGM_RSRC2:TGID_X_EN: 1
; COMPUTE_PGM_RSRC2:TGID_Y_EN: 0
; COMPUTE_PGM_RSRC2:TGID_Z_EN: 0
; COMPUTE_PGM_RSRC2:TIDIG_COMP_CNT: 0
	.section	.text._ZN9rocsparseL36csrgemm_fill_block_per_row_multipassILj512ELj16ELj2048ELj32EiidEEvT4_PKS1_S3_NS_24const_host_device_scalarIT5_EEPKT3_S3_PKS5_S9_S3_SB_S6_S9_S3_SB_S9_PS1_PS5_PS7_21rocsparse_index_base_SF_SF_SF_bbb,"axG",@progbits,_ZN9rocsparseL36csrgemm_fill_block_per_row_multipassILj512ELj16ELj2048ELj32EiidEEvT4_PKS1_S3_NS_24const_host_device_scalarIT5_EEPKT3_S3_PKS5_S9_S3_SB_S6_S9_S3_SB_S9_PS1_PS5_PS7_21rocsparse_index_base_SF_SF_SF_bbb,comdat
	.globl	_ZN9rocsparseL36csrgemm_fill_block_per_row_multipassILj512ELj16ELj2048ELj32EiidEEvT4_PKS1_S3_NS_24const_host_device_scalarIT5_EEPKT3_S3_PKS5_S9_S3_SB_S6_S9_S3_SB_S9_PS1_PS5_PS7_21rocsparse_index_base_SF_SF_SF_bbb ; -- Begin function _ZN9rocsparseL36csrgemm_fill_block_per_row_multipassILj512ELj16ELj2048ELj32EiidEEvT4_PKS1_S3_NS_24const_host_device_scalarIT5_EEPKT3_S3_PKS5_S9_S3_SB_S6_S9_S3_SB_S9_PS1_PS5_PS7_21rocsparse_index_base_SF_SF_SF_bbb
	.p2align	8
	.type	_ZN9rocsparseL36csrgemm_fill_block_per_row_multipassILj512ELj16ELj2048ELj32EiidEEvT4_PKS1_S3_NS_24const_host_device_scalarIT5_EEPKT3_S3_PKS5_S9_S3_SB_S6_S9_S3_SB_S9_PS1_PS5_PS7_21rocsparse_index_base_SF_SF_SF_bbb,@function
_ZN9rocsparseL36csrgemm_fill_block_per_row_multipassILj512ELj16ELj2048ELj32EiidEEvT4_PKS1_S3_NS_24const_host_device_scalarIT5_EEPKT3_S3_PKS5_S9_S3_SB_S6_S9_S3_SB_S9_PS1_PS5_PS7_21rocsparse_index_base_SF_SF_SF_bbb: ; @_ZN9rocsparseL36csrgemm_fill_block_per_row_multipassILj512ELj16ELj2048ELj32EiidEEvT4_PKS1_S3_NS_24const_host_device_scalarIT5_EEPKT3_S3_PKS5_S9_S3_SB_S6_S9_S3_SB_S9_PS1_PS5_PS7_21rocsparse_index_base_SF_SF_SF_bbb
; %bb.0:
	s_clause 0x4
	s_load_b32 s10, s[0:1], 0xa0
	s_load_b64 s[2:3], s[0:1], 0x18
	s_load_b128 s[4:7], s[0:1], 0x8
	s_load_b128 s[28:31], s[0:1], 0x90
	s_load_b64 s[8:9], s[0:1], 0x50
	s_waitcnt lgkmcnt(0)
	s_and_b32 s12, 1, s10
	s_bitcmp1_b32 s10, 16
	s_cselect_b32 s11, -1, 0
	s_cmp_eq_u32 s12, 1
	s_cselect_b32 s18, -1, 0
	s_delay_alu instid0(SALU_CYCLE_1)
	s_and_b32 s12, s18, exec_lo
	s_cselect_b32 s13, s3, 0
	s_cselect_b32 s12, s2, 0
	s_xor_b32 s14, s18, -1
	v_dual_mov_b32 v1, s12 :: v_dual_mov_b32 v2, s13
	s_or_b32 s14, s14, s11
	s_delay_alu instid0(SALU_CYCLE_1)
	s_and_b32 vcc_lo, exec_lo, s14
	s_cbranch_vccnz .LBB43_2
; %bb.1:
	v_dual_mov_b32 v1, s2 :: v_dual_mov_b32 v2, s3
	flat_load_b64 v[1:2], v[1:2]
.LBB43_2:
	s_load_b64 s[2:3], s[0:1], 0x20
	s_bitcmp1_b32 s10, 8
	s_cselect_b32 s33, -1, 0
	s_delay_alu instid0(SALU_CYCLE_1)
	s_and_b32 s10, s33, exec_lo
	s_cselect_b32 s13, s9, 0
	s_cselect_b32 s12, s8, 0
	s_xor_b32 s10, s33, -1
	v_dual_mov_b32 v3, s12 :: v_dual_mov_b32 v4, s13
	s_or_b32 s10, s10, s11
	s_delay_alu instid0(SALU_CYCLE_1)
	s_and_b32 vcc_lo, exec_lo, s10
	s_cbranch_vccnz .LBB43_4
; %bb.3:
	v_dual_mov_b32 v3, s8 :: v_dual_mov_b32 v4, s9
	flat_load_b64 v[3:4], v[3:4]
.LBB43_4:
	s_load_b32 s4, s[4:5], 0x0
	s_mov_b32 s35, 0
	s_mov_b32 s8, 0
	s_waitcnt lgkmcnt(0)
	s_add_i32 s34, s4, s15
	s_delay_alu instid0(SALU_CYCLE_1) | instskip(NEXT) | instid1(SALU_CYCLE_1)
	s_lshl_b64 s[4:5], s[34:35], 2
	s_add_u32 s4, s6, s4
	s_addc_u32 s5, s7, s5
	s_and_not1_b32 vcc_lo, exec_lo, s18
	s_load_b32 s6, s[4:5], 0x0
	s_cbranch_vccz .LBB43_7
; %bb.5:
	s_and_not1_b32 vcc_lo, exec_lo, s18
	s_cbranch_vccz .LBB43_8
.LBB43_6:
	s_load_b32 s34, s[0:1], 0x0
	s_waitcnt lgkmcnt(0)
	s_cmp_lt_i32 s34, 1
	s_cbranch_scc0 .LBB43_9
	s_branch .LBB43_66
.LBB43_7:
	s_waitcnt lgkmcnt(0)
	s_ashr_i32 s7, s6, 31
	s_delay_alu instid0(SALU_CYCLE_1) | instskip(NEXT) | instid1(SALU_CYCLE_1)
	s_lshl_b64 s[4:5], s[6:7], 2
	s_add_u32 s4, s2, s4
	s_addc_u32 s5, s3, s5
	s_load_b32 s4, s[4:5], 0x0
	s_waitcnt lgkmcnt(0)
	s_sub_i32 s8, s4, s28
	s_and_not1_b32 vcc_lo, exec_lo, s18
	s_cbranch_vccnz .LBB43_6
.LBB43_8:
	s_waitcnt lgkmcnt(0)
	s_ashr_i32 s7, s6, 31
	s_delay_alu instid0(SALU_CYCLE_1) | instskip(NEXT) | instid1(SALU_CYCLE_1)
	s_lshl_b64 s[4:5], s[6:7], 2
	s_add_u32 s2, s2, s4
	s_addc_u32 s3, s3, s5
	s_load_b32 s2, s[2:3], 0x4
	s_waitcnt lgkmcnt(0)
	s_sub_i32 s35, s2, s28
	s_load_b32 s34, s[0:1], 0x0
	s_waitcnt lgkmcnt(0)
	s_cmp_lt_i32 s34, 1
	s_cbranch_scc1 .LBB43_66
.LBB43_9:
	s_clause 0x4
	s_load_b256 s[20:27], s[0:1], 0x58
	s_load_b64 s[48:49], s[0:1], 0x88
	s_load_b128 s[44:47], s[0:1], 0x78
	s_load_b64 s[50:51], s[0:1], 0x48
	s_load_b256 s[36:43], s[0:1], 0x28
	v_lshrrev_b32_e32 v5, 4, v0
	s_ashr_i32 s7, s6, 31
	v_mbcnt_lo_u32_b32 v6, -1, 0
	s_lshl_b64 s[10:11], s[6:7], 2
	v_lshrrev_b32_e32 v7, 3, v0
	v_dual_mov_b32 v32, 0x800 :: v_dual_add_nc_u32 v21, s8, v5
	s_delay_alu instid0(VALU_DEP_3)
	v_xor_b32_e32 v5, 8, v6
	v_xor_b32_e32 v8, 4, v6
	;; [unrolled: 1-line block ×5, first 2 shown]
	v_cmp_gt_i32_e64 s7, 32, v5
	v_and_b32_e32 v19, 15, v0
	v_cmp_gt_i32_e32 vcc_lo, s35, v21
	s_waitcnt lgkmcnt(0)
	s_add_u32 s8, s26, s10
	s_addc_u32 s9, s27, s11
	v_cmp_eq_u32_e64 s0, 0, v0
	s_load_b32 s8, s[8:9], 0x0
	v_subrev_nc_u32_e32 v20, s31, v0
	v_cmp_eq_u32_e64 s1, 0x1ff, v0
	v_cmp_gt_u32_e64 s2, 32, v0
	v_cmp_gt_u32_e64 s3, 64, v0
	;; [unrolled: 1-line block ×11, first 2 shown]
	v_or_b32_e32 v27, 0xfffffe00, v0
	v_lshlrev_b32_e32 v28, 3, v0
	v_mov_b32_e32 v30, 1
	s_waitcnt lgkmcnt(0)
	s_sub_i32 s19, s8, s30
	s_delay_alu instid0(SALU_CYCLE_1)
	v_dual_mov_b32 v29, s19 :: v_dual_and_b32 v22, 60, v7
	v_cndmask_b32_e64 v7, v6, v5, s7
	v_cmp_gt_i32_e64 s7, 32, v8
	s_add_u32 s26, s20, s10
	s_addc_u32 s27, s21, s11
	v_cmp_gt_u32_e64 s8, 0xc0, v0
	v_lshlrev_b32_e32 v23, 2, v7
	v_cndmask_b32_e64 v8, v6, v8, s7
	v_cmp_gt_i32_e64 s7, 32, v9
	v_cmp_gt_u32_e64 s10, 0x100, v0
	v_cmp_gt_u32_e64 s11, 0x120, v0
	s_and_b32 s21, s18, vcc_lo
	s_add_u32 s52, s40, 4
	v_cndmask_b32_e64 v9, v6, v9, s7
	v_cmp_gt_i32_e64 s7, 32, v10
	s_addc_u32 s53, s41, 0
	s_delay_alu instid0(VALU_DEP_2) | instskip(NEXT) | instid1(VALU_DEP_2)
	v_lshlrev_b32_e32 v25, 2, v9
	v_cndmask_b32_e64 v10, v6, v10, s7
	v_lshrrev_b64 v[5:6], v11, -1
	v_mov_b32_e32 v6, 0
	v_cmp_eq_u32_e64 s6, 15, v19
	v_lshlrev_b32_e32 v24, 2, v8
	v_lshlrev_b32_e32 v26, 2, v10
	v_cmp_gt_u32_e64 s7, 0xa0, v0
	v_mov_b32_e32 v31, v6
	v_mov_b32_e32 v7, v6
	s_branch .LBB43_11
.LBB43_10:                              ;   in Loop: Header=BB43_11 Depth=1
	s_or_b32 exec_lo, exec_lo, s18
	ds_load_b32 v31, v6 offset:18432
	s_waitcnt lgkmcnt(0)
	s_barrier
	buffer_gl0_inv
	v_cmp_le_i32_e32 vcc_lo, s34, v31
	v_add_nc_u32_e32 v32, 0x800, v31
	s_cbranch_vccnz .LBB43_66
.LBB43_11:                              ; =>This Loop Header: Depth=1
                                        ;     Child Loop BB43_12 Depth 2
                                        ;     Child Loop BB43_18 Depth 2
                                        ;       Child Loop BB43_24 Depth 3
                                        ;         Child Loop BB43_28 Depth 4
                                        ;     Child Loop BB43_43 Depth 2
                                        ;       Child Loop BB43_47 Depth 3
                                        ;     Child Loop BB43_57 Depth 2
                                        ;     Child Loop BB43_62 Depth 2
	v_dual_mov_b32 v8, v28 :: v_dual_mov_b32 v9, v27
	s_mov_b32 s18, 0
.LBB43_12:                              ;   Parent Loop BB43_11 Depth=1
                                        ; =>  This Inner Loop Header: Depth=2
	ds_store_b8 v9, v6 offset:16896
	v_add_nc_u32_e32 v9, 0x200, v9
	ds_store_b64 v8, v[6:7]
	v_add_nc_u32_e32 v8, 0x1000, v8
	v_cmp_lt_u32_e32 vcc_lo, 0x5ff, v9
	s_or_b32 s18, vcc_lo, s18
	s_delay_alu instid0(SALU_CYCLE_1)
	s_and_not1_b32 exec_lo, exec_lo, s18
	s_cbranch_execnz .LBB43_12
; %bb.13:                               ;   in Loop: Header=BB43_11 Depth=1
	s_or_b32 exec_lo, exec_lo, s18
	s_and_saveexec_b32 s18, s0
	s_cbranch_execz .LBB43_15
; %bb.14:                               ;   in Loop: Header=BB43_11 Depth=1
	v_mov_b32_e32 v8, s34
	ds_store_b32 v6, v8 offset:18432
.LBB43_15:                              ;   in Loop: Header=BB43_11 Depth=1
	s_or_b32 exec_lo, exec_lo, s18
	v_mov_b32_e32 v33, s34
	s_waitcnt vmcnt(0) lgkmcnt(0)
	s_barrier
	buffer_gl0_inv
	s_and_saveexec_b32 s54, s21
	s_cbranch_execz .LBB43_39
; %bb.16:                               ;   in Loop: Header=BB43_11 Depth=1
	v_cmp_ne_u32_e64 s18, 0, v31
	v_dual_mov_b32 v33, s34 :: v_dual_mov_b32 v8, v21
	s_mov_b32 s55, 0
	s_branch .LBB43_18
.LBB43_17:                              ;   in Loop: Header=BB43_18 Depth=2
	s_or_b32 exec_lo, exec_lo, s19
	v_add_nc_u32_e32 v8, 32, v8
	s_delay_alu instid0(VALU_DEP_1) | instskip(SKIP_1) | instid1(SALU_CYCLE_1)
	v_cmp_le_i32_e32 vcc_lo, s35, v8
	s_or_b32 s55, vcc_lo, s55
	s_and_not1_b32 exec_lo, exec_lo, s55
	s_cbranch_execz .LBB43_38
.LBB43_18:                              ;   Parent Loop BB43_11 Depth=1
                                        ; =>  This Loop Header: Depth=2
                                        ;       Child Loop BB43_24 Depth 3
                                        ;         Child Loop BB43_28 Depth 4
	s_delay_alu instid0(VALU_DEP_1) | instskip(NEXT) | instid1(VALU_DEP_1)
	v_ashrrev_i32_e32 v9, 31, v8
	v_lshlrev_b64 v[10:11], 2, v[8:9]
	v_lshlrev_b64 v[14:15], 3, v[8:9]
	s_waitcnt lgkmcnt(0)
	s_delay_alu instid0(VALU_DEP_2) | instskip(NEXT) | instid1(VALU_DEP_3)
	v_add_co_u32 v12, vcc_lo, s36, v10
	v_add_co_ci_u32_e32 v13, vcc_lo, s37, v11, vcc_lo
	global_load_b32 v9, v[12:13], off
	v_add_co_u32 v12, vcc_lo, s38, v14
	v_add_co_ci_u32_e32 v13, vcc_lo, s39, v15, vcc_lo
	s_and_b32 vcc_lo, exec_lo, s18
	global_load_b64 v[12:13], v[12:13], off
	s_waitcnt vmcnt(1)
	v_subrev_nc_u32_e32 v14, s28, v9
	s_delay_alu instid0(VALU_DEP_1)
	v_ashrrev_i32_e32 v15, 31, v14
	s_cbranch_vccz .LBB43_37
; %bb.19:                               ;   in Loop: Header=BB43_18 Depth=2
	v_add_co_u32 v16, vcc_lo, s48, v10
	v_add_co_ci_u32_e32 v17, vcc_lo, s49, v11, vcc_lo
	global_load_b32 v9, v[16:17], off
	s_cbranch_execnz .LBB43_21
.LBB43_20:                              ;   in Loop: Header=BB43_18 Depth=2
	s_delay_alu instid0(VALU_DEP_1) | instskip(NEXT) | instid1(VALU_DEP_1)
	v_lshlrev_b64 v[16:17], 2, v[14:15]
	v_add_co_u32 v16, vcc_lo, s40, v16
	s_delay_alu instid0(VALU_DEP_2)
	v_add_co_ci_u32_e32 v17, vcc_lo, s41, v17, vcc_lo
	global_load_b32 v9, v[16:17], off
	s_waitcnt vmcnt(0)
	v_subrev_nc_u32_e32 v9, s29, v9
.LBB43_21:                              ;   in Loop: Header=BB43_18 Depth=2
	v_lshlrev_b64 v[14:15], 2, v[14:15]
	s_waitcnt vmcnt(0)
	s_delay_alu instid0(VALU_DEP_2) | instskip(SKIP_1) | instid1(VALU_DEP_2)
	v_add_nc_u32_e32 v9, v9, v19
	s_mov_b32 s56, exec_lo
	v_add_co_u32 v14, vcc_lo, s52, v14
	s_delay_alu instid0(VALU_DEP_3) | instskip(SKIP_3) | instid1(VALU_DEP_1)
	v_add_co_ci_u32_e32 v15, vcc_lo, s53, v15, vcc_lo
	global_load_b32 v14, v[14:15], off
	s_waitcnt vmcnt(0)
	v_subrev_nc_u32_e32 v34, s29, v14
	v_cmpx_lt_i32_e64 v9, v34
	s_cbranch_execz .LBB43_35
; %bb.22:                               ;   in Loop: Header=BB43_18 Depth=2
	v_mul_f64 v[12:13], v[1:2], v[12:13]
	v_mov_b32_e32 v14, v9
	s_mov_b32 s58, 0
                                        ; implicit-def: $sgpr57
                                        ; implicit-def: $sgpr59
	s_branch .LBB43_24
.LBB43_23:                              ;   in Loop: Header=BB43_24 Depth=3
	s_or_b32 exec_lo, exec_lo, s20
	s_delay_alu instid0(SALU_CYCLE_1) | instskip(SKIP_4) | instid1(SALU_CYCLE_1)
	s_and_b32 s19, exec_lo, s60
	v_mov_b32_e32 v14, v16
	s_or_b32 s58, s19, s58
	s_and_not1_b32 s19, s57, exec_lo
	s_and_b32 s20, s59, exec_lo
	s_or_b32 s57, s19, s20
	s_and_not1_b32 exec_lo, exec_lo, s58
	s_cbranch_execz .LBB43_32
.LBB43_24:                              ;   Parent Loop BB43_11 Depth=1
                                        ;     Parent Loop BB43_18 Depth=2
                                        ; =>    This Loop Header: Depth=3
                                        ;         Child Loop BB43_28 Depth 4
	s_delay_alu instid0(VALU_DEP_1) | instskip(NEXT) | instid1(VALU_DEP_1)
	v_ashrrev_i32_e32 v15, 31, v14
	v_lshlrev_b64 v[16:17], 2, v[14:15]
	s_delay_alu instid0(VALU_DEP_1) | instskip(NEXT) | instid1(VALU_DEP_2)
	v_add_co_u32 v16, vcc_lo, s42, v16
	v_add_co_ci_u32_e32 v17, vcc_lo, s43, v17, vcc_lo
	global_load_b32 v16, v[16:17], off
	s_waitcnt vmcnt(0)
	v_subrev_nc_u32_e32 v35, s29, v16
	s_delay_alu instid0(VALU_DEP_1) | instskip(SKIP_2) | instid1(VALU_DEP_2)
	v_cmp_lt_i32_e64 s19, v35, v31
	v_cmp_ge_i32_e64 s20, v35, v32
	v_cmp_lt_i32_e32 vcc_lo, v35, v32
	s_or_b32 s60, s19, s20
	s_mov_b32 s19, 0
                                        ; implicit-def: $sgpr20
	s_and_saveexec_b32 s61, s60
	s_delay_alu instid0(SALU_CYCLE_1)
	s_xor_b32 s60, exec_lo, s61
; %bb.25:                               ;   in Loop: Header=BB43_24 Depth=3
	s_mov_b32 s20, -1
	s_and_b32 s19, vcc_lo, exec_lo
; %bb.26:                               ;   in Loop: Header=BB43_24 Depth=3
	s_and_not1_saveexec_b32 s60, s60
	s_cbranch_execz .LBB43_30
; %bb.27:                               ;   in Loop: Header=BB43_24 Depth=3
	v_lshlrev_b64 v[15:16], 3, v[14:15]
	v_sub_nc_u32_e32 v17, v35, v31
	s_mov_b32 s61, 0
	s_delay_alu instid0(VALU_DEP_1) | instskip(NEXT) | instid1(VALU_DEP_3)
	v_lshlrev_b32_e32 v36, 3, v17
	v_add_co_u32 v15, vcc_lo, s50, v15
	s_delay_alu instid0(VALU_DEP_4)
	v_add_co_ci_u32_e32 v16, vcc_lo, s51, v16, vcc_lo
	ds_store_b8 v17, v30 offset:16384
	ds_load_b64 v[17:18], v36
	global_load_b64 v[15:16], v[15:16], off
	s_waitcnt vmcnt(0)
	v_mul_f64 v[15:16], v[12:13], v[15:16]
.LBB43_28:                              ;   Parent Loop BB43_11 Depth=1
                                        ;     Parent Loop BB43_18 Depth=2
                                        ;       Parent Loop BB43_24 Depth=3
                                        ; =>      This Inner Loop Header: Depth=4
	s_waitcnt lgkmcnt(0)
	s_delay_alu instid0(VALU_DEP_1)
	v_add_f64 v[37:38], v[17:18], v[15:16]
	ds_cmpstore_rtn_b64 v[37:38], v36, v[37:38], v[17:18]
	s_waitcnt lgkmcnt(0)
	v_cmp_eq_u64_e32 vcc_lo, v[37:38], v[17:18]
	v_dual_mov_b32 v17, v37 :: v_dual_mov_b32 v18, v38
	s_or_b32 s61, vcc_lo, s61
	s_delay_alu instid0(SALU_CYCLE_1)
	s_and_not1_b32 exec_lo, exec_lo, s61
	s_cbranch_execnz .LBB43_28
; %bb.29:                               ;   in Loop: Header=BB43_24 Depth=3
	s_or_b32 exec_lo, exec_lo, s61
	s_delay_alu instid0(SALU_CYCLE_1)
	s_or_b32 s19, s19, exec_lo
.LBB43_30:                              ;   in Loop: Header=BB43_24 Depth=3
	s_or_b32 exec_lo, exec_lo, s60
	v_mov_b32_e32 v15, v14
	s_and_not1_b32 s59, s59, exec_lo
	s_and_b32 s20, s20, exec_lo
	s_mov_b32 s60, -1
	s_or_b32 s59, s59, s20
                                        ; implicit-def: $vgpr16
	s_and_saveexec_b32 s20, s19
	s_cbranch_execz .LBB43_23
; %bb.31:                               ;   in Loop: Header=BB43_24 Depth=3
	v_dual_mov_b32 v15, v14 :: v_dual_add_nc_u32 v16, 16, v14
	s_and_not1_b32 s59, s59, exec_lo
	s_delay_alu instid0(VALU_DEP_1)
	v_cmp_ge_i32_e32 vcc_lo, v16, v34
	s_or_not1_b32 s60, vcc_lo, exec_lo
	s_branch .LBB43_23
.LBB43_32:                              ;   in Loop: Header=BB43_18 Depth=2
	s_or_b32 exec_lo, exec_lo, s58
	s_and_saveexec_b32 s19, s57
	s_delay_alu instid0(SALU_CYCLE_1)
	s_xor_b32 s19, exec_lo, s19
; %bb.33:                               ;   in Loop: Header=BB43_18 Depth=2
	v_min_i32_e32 v33, v35, v33
	v_mov_b32_e32 v9, v15
; %bb.34:                               ;   in Loop: Header=BB43_18 Depth=2
	s_or_b32 exec_lo, exec_lo, s19
.LBB43_35:                              ;   in Loop: Header=BB43_18 Depth=2
	s_delay_alu instid0(SALU_CYCLE_1)
	s_or_b32 exec_lo, exec_lo, s56
	ds_bpermute_b32 v12, v23, v9
	s_waitcnt lgkmcnt(0)
	v_min_i32_e32 v9, v12, v9
	ds_bpermute_b32 v12, v24, v9
	s_waitcnt lgkmcnt(0)
	v_min_i32_e32 v9, v12, v9
	;; [unrolled: 3-line block ×3, first 2 shown]
	ds_bpermute_b32 v12, v26, v9
	s_and_saveexec_b32 s19, s6
	s_cbranch_execz .LBB43_17
; %bb.36:                               ;   in Loop: Header=BB43_18 Depth=2
	s_waitcnt lgkmcnt(0)
	v_min_i32_e32 v12, v12, v9
	v_add_co_u32 v9, vcc_lo, s48, v10
	v_add_co_ci_u32_e32 v10, vcc_lo, s49, v11, vcc_lo
	global_store_b32 v[9:10], v12, off
	s_branch .LBB43_17
.LBB43_37:                              ;   in Loop: Header=BB43_18 Depth=2
                                        ; implicit-def: $vgpr9
	s_branch .LBB43_20
.LBB43_38:                              ;   in Loop: Header=BB43_11 Depth=1
	s_or_b32 exec_lo, exec_lo, s55
.LBB43_39:                              ;   in Loop: Header=BB43_11 Depth=1
	s_delay_alu instid0(SALU_CYCLE_1) | instskip(NEXT) | instid1(SALU_CYCLE_1)
	s_or_b32 exec_lo, exec_lo, s54
	s_and_not1_b32 vcc_lo, exec_lo, s33
	s_cbranch_vccnz .LBB43_55
; %bb.40:                               ;   in Loop: Header=BB43_11 Depth=1
	s_load_b64 s[18:19], s[26:27], 0x0
	s_mov_b32 s20, exec_lo
	s_waitcnt lgkmcnt(0)
	v_add_nc_u32_e32 v8, s18, v20
	s_sub_i32 s54, s19, s31
	s_delay_alu instid0(VALU_DEP_1) | instid1(SALU_CYCLE_1)
	v_cmpx_gt_i32_e64 s54, v8
	s_cbranch_execz .LBB43_54
; %bb.41:                               ;   in Loop: Header=BB43_11 Depth=1
	s_mov_b32 s55, 0
                                        ; implicit-def: $sgpr56
                                        ; implicit-def: $sgpr57
	s_branch .LBB43_43
.LBB43_42:                              ;   in Loop: Header=BB43_43 Depth=2
	s_or_b32 exec_lo, exec_lo, s58
	s_delay_alu instid0(SALU_CYCLE_1) | instskip(NEXT) | instid1(SALU_CYCLE_1)
	s_and_b32 s18, exec_lo, s19
	s_or_b32 s55, s18, s55
	s_and_not1_b32 s18, s56, exec_lo
	s_and_b32 s19, s57, exec_lo
	s_delay_alu instid0(SALU_CYCLE_1)
	s_or_b32 s56, s18, s19
	s_and_not1_b32 exec_lo, exec_lo, s55
	s_cbranch_execz .LBB43_51
.LBB43_43:                              ;   Parent Loop BB43_11 Depth=1
                                        ; =>  This Loop Header: Depth=2
                                        ;       Child Loop BB43_47 Depth 3
	v_ashrrev_i32_e32 v9, 31, v8
	s_delay_alu instid0(VALU_DEP_1) | instskip(NEXT) | instid1(VALU_DEP_1)
	v_lshlrev_b64 v[10:11], 2, v[8:9]
	v_add_co_u32 v10, vcc_lo, s22, v10
	s_delay_alu instid0(VALU_DEP_2) | instskip(SKIP_3) | instid1(VALU_DEP_1)
	v_add_co_ci_u32_e32 v11, vcc_lo, s23, v11, vcc_lo
	global_load_b32 v10, v[10:11], off
	s_waitcnt vmcnt(0)
	v_subrev_nc_u32_e32 v13, s31, v10
	v_cmp_lt_i32_e64 s18, v13, v31
	v_cmp_ge_i32_e64 s19, v13, v32
	v_cmp_lt_i32_e32 vcc_lo, v13, v32
	s_delay_alu instid0(VALU_DEP_2) | instskip(SKIP_2) | instid1(SALU_CYCLE_1)
	s_or_b32 s58, s18, s19
	s_mov_b32 s18, 0
                                        ; implicit-def: $sgpr19
	s_and_saveexec_b32 s59, s58
	s_xor_b32 s58, exec_lo, s59
; %bb.44:                               ;   in Loop: Header=BB43_43 Depth=2
	s_mov_b32 s19, -1
	s_and_b32 s18, vcc_lo, exec_lo
; %bb.45:                               ;   in Loop: Header=BB43_43 Depth=2
	s_and_not1_saveexec_b32 s58, s58
	s_cbranch_execz .LBB43_49
; %bb.46:                               ;   in Loop: Header=BB43_43 Depth=2
	v_lshlrev_b64 v[9:10], 3, v[8:9]
	v_sub_nc_u32_e32 v11, v13, v31
	s_mov_b32 s59, 0
	s_delay_alu instid0(VALU_DEP_1) | instskip(NEXT) | instid1(VALU_DEP_3)
	v_lshlrev_b32_e32 v14, 3, v11
	v_add_co_u32 v9, vcc_lo, s24, v9
	s_delay_alu instid0(VALU_DEP_4)
	v_add_co_ci_u32_e32 v10, vcc_lo, s25, v10, vcc_lo
	ds_store_b8 v11, v30 offset:16384
	ds_load_b64 v[11:12], v14
	global_load_b64 v[9:10], v[9:10], off
	s_waitcnt vmcnt(0)
	v_mul_f64 v[9:10], v[3:4], v[9:10]
.LBB43_47:                              ;   Parent Loop BB43_11 Depth=1
                                        ;     Parent Loop BB43_43 Depth=2
                                        ; =>    This Inner Loop Header: Depth=3
	s_waitcnt lgkmcnt(0)
	s_delay_alu instid0(VALU_DEP_1)
	v_add_f64 v[15:16], v[11:12], v[9:10]
	ds_cmpstore_rtn_b64 v[15:16], v14, v[15:16], v[11:12]
	s_waitcnt lgkmcnt(0)
	v_cmp_eq_u64_e32 vcc_lo, v[15:16], v[11:12]
	v_dual_mov_b32 v11, v15 :: v_dual_mov_b32 v12, v16
	s_or_b32 s59, vcc_lo, s59
	s_delay_alu instid0(SALU_CYCLE_1)
	s_and_not1_b32 exec_lo, exec_lo, s59
	s_cbranch_execnz .LBB43_47
; %bb.48:                               ;   in Loop: Header=BB43_43 Depth=2
	s_or_b32 exec_lo, exec_lo, s59
	s_delay_alu instid0(SALU_CYCLE_1)
	s_or_b32 s18, s18, exec_lo
.LBB43_49:                              ;   in Loop: Header=BB43_43 Depth=2
	s_or_b32 exec_lo, exec_lo, s58
	s_delay_alu instid0(SALU_CYCLE_1)
	s_and_not1_b32 s57, s57, exec_lo
	s_and_b32 s58, s19, exec_lo
	s_mov_b32 s19, -1
	s_or_b32 s57, s57, s58
	s_and_saveexec_b32 s58, s18
	s_cbranch_execz .LBB43_42
; %bb.50:                               ;   in Loop: Header=BB43_43 Depth=2
	v_add_nc_u32_e32 v8, 0x200, v8
	s_and_not1_b32 s57, s57, exec_lo
	s_delay_alu instid0(VALU_DEP_1)
	v_cmp_le_i32_e32 vcc_lo, s54, v8
	s_or_not1_b32 s19, vcc_lo, exec_lo
	s_branch .LBB43_42
.LBB43_51:                              ;   in Loop: Header=BB43_11 Depth=1
	s_or_b32 exec_lo, exec_lo, s55
	s_and_saveexec_b32 s18, s56
	s_delay_alu instid0(SALU_CYCLE_1)
	s_xor_b32 s18, exec_lo, s18
; %bb.52:                               ;   in Loop: Header=BB43_11 Depth=1
	v_min_i32_e32 v33, v13, v33
; %bb.53:                               ;   in Loop: Header=BB43_11 Depth=1
	s_or_b32 exec_lo, exec_lo, s18
.LBB43_54:                              ;   in Loop: Header=BB43_11 Depth=1
	s_delay_alu instid0(SALU_CYCLE_1)
	s_or_b32 exec_lo, exec_lo, s20
.LBB43_55:                              ;   in Loop: Header=BB43_11 Depth=1
	ds_bpermute_b32 v8, v23, v33
	s_waitcnt lgkmcnt(0)
	v_min_i32_e32 v8, v8, v33
	ds_bpermute_b32 v9, v24, v8
	s_waitcnt lgkmcnt(0)
	v_min_i32_e32 v8, v9, v8
	;; [unrolled: 3-line block ×3, first 2 shown]
	ds_bpermute_b32 v9, v26, v8
	s_and_saveexec_b32 s18, s6
	s_cbranch_execz .LBB43_60
; %bb.56:                               ;   in Loop: Header=BB43_11 Depth=1
	s_waitcnt lgkmcnt(0)
	v_min_i32_e32 v8, v9, v8
	s_mov_b32 s20, exec_lo
	s_brev_b32 s19, -2
.LBB43_57:                              ;   Parent Loop BB43_11 Depth=1
                                        ; =>  This Inner Loop Header: Depth=2
	s_ctz_i32_b32 s54, s20
	s_delay_alu instid0(VALU_DEP_1) | instid1(SALU_CYCLE_1)
	v_readlane_b32 s55, v8, s54
	s_lshl_b32 s54, 1, s54
	s_delay_alu instid0(SALU_CYCLE_1) | instskip(NEXT) | instid1(VALU_DEP_1)
	s_and_not1_b32 s20, s20, s54
	s_min_i32 s19, s19, s55
	s_cmp_lg_u32 s20, 0
	s_cbranch_scc1 .LBB43_57
; %bb.58:                               ;   in Loop: Header=BB43_11 Depth=1
	v_mbcnt_lo_u32_b32 v8, exec_lo, 0
	s_mov_b32 s20, exec_lo
	s_delay_alu instid0(VALU_DEP_1)
	v_cmpx_eq_u32_e32 0, v8
	s_xor_b32 s20, exec_lo, s20
	s_cbranch_execz .LBB43_60
; %bb.59:                               ;   in Loop: Header=BB43_11 Depth=1
	v_mov_b32_e32 v8, s19
	ds_min_i32 v6, v8 offset:18432
.LBB43_60:                              ;   in Loop: Header=BB43_11 Depth=1
	s_or_b32 exec_lo, exec_lo, s18
	v_dual_mov_b32 v11, v28 :: v_dual_add_nc_u32 v10, s30, v31
	v_mov_b32_e32 v12, v0
	s_mov_b32 s18, 0
	s_waitcnt lgkmcnt(0)
	s_waitcnt_vscnt null, 0x0
	s_barrier
	buffer_gl0_inv
	s_branch .LBB43_62
.LBB43_61:                              ;   in Loop: Header=BB43_62 Depth=2
	s_or_b32 exec_lo, exec_lo, s19
	s_waitcnt lgkmcnt(0)
	s_waitcnt_vscnt null, 0x0
	s_barrier
	buffer_gl0_inv
	ds_load_b32 v8, v6 offset:60
	v_add_nc_u32_e32 v9, 0x200, v12
	v_cmp_lt_u32_e32 vcc_lo, 0x5ff, v12
	s_delay_alu instid0(VALU_DEP_2)
	v_dual_mov_b32 v12, v9 :: v_dual_add_nc_u32 v11, 0x1000, v11
	s_or_b32 s18, vcc_lo, s18
	s_waitcnt lgkmcnt(0)
	v_add_nc_u32_e32 v29, v8, v29
	s_and_not1_b32 exec_lo, exec_lo, s18
	s_cbranch_execz .LBB43_10
.LBB43_62:                              ;   Parent Loop BB43_11 Depth=1
                                        ; =>  This Inner Loop Header: Depth=2
	ds_load_u8 v17, v12 offset:16384
	ds_load_b64 v[8:9], v11
	s_waitcnt lgkmcnt(0)
	s_barrier
	buffer_gl0_inv
	v_cmp_ne_u16_e32 vcc_lo, 0, v17
	s_bcnt1_i32_b32 s19, vcc_lo
	s_delay_alu instid0(SALU_CYCLE_1)
	v_dual_mov_b32 v13, s19 :: v_dual_and_b32 v18, vcc_lo, v5
	s_mov_b32 s19, exec_lo
	ds_store_b32 v22, v13
	s_waitcnt lgkmcnt(0)
	s_barrier
	buffer_gl0_inv
	ds_load_b128 v[13:16], v6
	ds_load_b128 v[31:34], v6 offset:16
	ds_load_b128 v[35:38], v6 offset:32
	s_waitcnt lgkmcnt(2)
	v_cndmask_b32_e64 v13, v13, 0, s2
	v_cndmask_b32_e64 v39, v14, 0, s3
	;; [unrolled: 1-line block ×4, first 2 shown]
	s_waitcnt lgkmcnt(1)
	v_cndmask_b32_e64 v31, v31, 0, s7
	v_bcnt_u32_b32 v18, v18, v13
	ds_load_b96 v[13:15], v6 offset:48
	v_cndmask_b32_e64 v32, v32, 0, s8
	v_cndmask_b32_e64 v33, v33, 0, s9
	v_add3_u32 v18, v18, v39, v40
	s_delay_alu instid0(VALU_DEP_1) | instskip(SKIP_3) | instid1(VALU_DEP_3)
	v_add3_u32 v16, v18, v16, v31
	v_cndmask_b32_e64 v18, v34, 0, s10
	s_waitcnt lgkmcnt(1)
	v_cndmask_b32_e64 v31, v35, 0, s11
	v_add3_u32 v16, v16, v32, v33
	v_cndmask_b32_e64 v32, v36, 0, s12
	v_cndmask_b32_e64 v33, v37, 0, s13
	s_delay_alu instid0(VALU_DEP_3)
	v_add3_u32 v16, v16, v18, v31
	v_cndmask_b32_e64 v18, v38, 0, s14
	s_waitcnt lgkmcnt(0)
	v_cndmask_b32_e64 v13, v13, 0, s15
	v_cndmask_b32_e64 v14, v14, 0, s16
	;; [unrolled: 1-line block ×3, first 2 shown]
	v_add3_u32 v16, v16, v32, v33
	s_delay_alu instid0(VALU_DEP_1) | instskip(SKIP_1) | instid1(VALU_DEP_2)
	v_add3_u32 v13, v16, v18, v13
	v_and_b32_e32 v16, 1, v17
	v_add3_u32 v13, v13, v14, v15
	s_delay_alu instid0(VALU_DEP_2)
	v_cmpx_eq_u32_e32 1, v16
	s_cbranch_execz .LBB43_64
; %bb.63:                               ;   in Loop: Header=BB43_62 Depth=2
	s_delay_alu instid0(VALU_DEP_2) | instskip(SKIP_1) | instid1(VALU_DEP_2)
	v_add3_u32 v14, v29, v13, -1
	v_add_nc_u32_e32 v18, v10, v12
	v_ashrrev_i32_e32 v15, 31, v14
	s_delay_alu instid0(VALU_DEP_1) | instskip(SKIP_1) | instid1(VALU_DEP_2)
	v_lshlrev_b64 v[16:17], 2, v[14:15]
	v_lshlrev_b64 v[14:15], 3, v[14:15]
	v_add_co_u32 v16, vcc_lo, s44, v16
	s_delay_alu instid0(VALU_DEP_3) | instskip(NEXT) | instid1(VALU_DEP_3)
	v_add_co_ci_u32_e32 v17, vcc_lo, s45, v17, vcc_lo
	v_add_co_u32 v14, vcc_lo, s46, v14
	s_delay_alu instid0(VALU_DEP_4)
	v_add_co_ci_u32_e32 v15, vcc_lo, s47, v15, vcc_lo
	global_store_b32 v[16:17], v18, off
	global_store_b64 v[14:15], v[8:9], off
.LBB43_64:                              ;   in Loop: Header=BB43_62 Depth=2
	s_or_b32 exec_lo, exec_lo, s19
	s_and_saveexec_b32 s19, s1
	s_cbranch_execz .LBB43_61
; %bb.65:                               ;   in Loop: Header=BB43_62 Depth=2
	ds_store_b32 v6, v13 offset:60
	s_branch .LBB43_61
.LBB43_66:
	s_endpgm
	.section	.rodata,"a",@progbits
	.p2align	6, 0x0
	.amdhsa_kernel _ZN9rocsparseL36csrgemm_fill_block_per_row_multipassILj512ELj16ELj2048ELj32EiidEEvT4_PKS1_S3_NS_24const_host_device_scalarIT5_EEPKT3_S3_PKS5_S9_S3_SB_S6_S9_S3_SB_S9_PS1_PS5_PS7_21rocsparse_index_base_SF_SF_SF_bbb
		.amdhsa_group_segment_fixed_size 18440
		.amdhsa_private_segment_fixed_size 0
		.amdhsa_kernarg_size 164
		.amdhsa_user_sgpr_count 15
		.amdhsa_user_sgpr_dispatch_ptr 0
		.amdhsa_user_sgpr_queue_ptr 0
		.amdhsa_user_sgpr_kernarg_segment_ptr 1
		.amdhsa_user_sgpr_dispatch_id 0
		.amdhsa_user_sgpr_private_segment_size 0
		.amdhsa_wavefront_size32 1
		.amdhsa_uses_dynamic_stack 0
		.amdhsa_enable_private_segment 0
		.amdhsa_system_sgpr_workgroup_id_x 1
		.amdhsa_system_sgpr_workgroup_id_y 0
		.amdhsa_system_sgpr_workgroup_id_z 0
		.amdhsa_system_sgpr_workgroup_info 0
		.amdhsa_system_vgpr_workitem_id 0
		.amdhsa_next_free_vgpr 41
		.amdhsa_next_free_sgpr 62
		.amdhsa_reserve_vcc 1
		.amdhsa_float_round_mode_32 0
		.amdhsa_float_round_mode_16_64 0
		.amdhsa_float_denorm_mode_32 3
		.amdhsa_float_denorm_mode_16_64 3
		.amdhsa_dx10_clamp 1
		.amdhsa_ieee_mode 1
		.amdhsa_fp16_overflow 0
		.amdhsa_workgroup_processor_mode 1
		.amdhsa_memory_ordered 1
		.amdhsa_forward_progress 0
		.amdhsa_shared_vgpr_count 0
		.amdhsa_exception_fp_ieee_invalid_op 0
		.amdhsa_exception_fp_denorm_src 0
		.amdhsa_exception_fp_ieee_div_zero 0
		.amdhsa_exception_fp_ieee_overflow 0
		.amdhsa_exception_fp_ieee_underflow 0
		.amdhsa_exception_fp_ieee_inexact 0
		.amdhsa_exception_int_div_zero 0
	.end_amdhsa_kernel
	.section	.text._ZN9rocsparseL36csrgemm_fill_block_per_row_multipassILj512ELj16ELj2048ELj32EiidEEvT4_PKS1_S3_NS_24const_host_device_scalarIT5_EEPKT3_S3_PKS5_S9_S3_SB_S6_S9_S3_SB_S9_PS1_PS5_PS7_21rocsparse_index_base_SF_SF_SF_bbb,"axG",@progbits,_ZN9rocsparseL36csrgemm_fill_block_per_row_multipassILj512ELj16ELj2048ELj32EiidEEvT4_PKS1_S3_NS_24const_host_device_scalarIT5_EEPKT3_S3_PKS5_S9_S3_SB_S6_S9_S3_SB_S9_PS1_PS5_PS7_21rocsparse_index_base_SF_SF_SF_bbb,comdat
.Lfunc_end43:
	.size	_ZN9rocsparseL36csrgemm_fill_block_per_row_multipassILj512ELj16ELj2048ELj32EiidEEvT4_PKS1_S3_NS_24const_host_device_scalarIT5_EEPKT3_S3_PKS5_S9_S3_SB_S6_S9_S3_SB_S9_PS1_PS5_PS7_21rocsparse_index_base_SF_SF_SF_bbb, .Lfunc_end43-_ZN9rocsparseL36csrgemm_fill_block_per_row_multipassILj512ELj16ELj2048ELj32EiidEEvT4_PKS1_S3_NS_24const_host_device_scalarIT5_EEPKT3_S3_PKS5_S9_S3_SB_S6_S9_S3_SB_S9_PS1_PS5_PS7_21rocsparse_index_base_SF_SF_SF_bbb
                                        ; -- End function
	.section	.AMDGPU.csdata,"",@progbits
; Kernel info:
; codeLenInByte = 3052
; NumSgprs: 64
; NumVgprs: 41
; ScratchSize: 0
; MemoryBound: 0
; FloatMode: 240
; IeeeMode: 1
; LDSByteSize: 18440 bytes/workgroup (compile time only)
; SGPRBlocks: 7
; VGPRBlocks: 5
; NumSGPRsForWavesPerEU: 64
; NumVGPRsForWavesPerEU: 41
; Occupancy: 16
; WaveLimiterHint : 1
; COMPUTE_PGM_RSRC2:SCRATCH_EN: 0
; COMPUTE_PGM_RSRC2:USER_SGPR: 15
; COMPUTE_PGM_RSRC2:TRAP_HANDLER: 0
; COMPUTE_PGM_RSRC2:TGID_X_EN: 1
; COMPUTE_PGM_RSRC2:TGID_Y_EN: 0
; COMPUTE_PGM_RSRC2:TGID_Z_EN: 0
; COMPUTE_PGM_RSRC2:TIDIG_COMP_CNT: 0
	.section	.text._ZN9rocsparseL36csrgemm_fill_block_per_row_multipassILj512ELj16ELj2048ELj64EiidEEvT4_PKS1_S3_NS_24const_host_device_scalarIT5_EEPKT3_S3_PKS5_S9_S3_SB_S6_S9_S3_SB_S9_PS1_PS5_PS7_21rocsparse_index_base_SF_SF_SF_bbb,"axG",@progbits,_ZN9rocsparseL36csrgemm_fill_block_per_row_multipassILj512ELj16ELj2048ELj64EiidEEvT4_PKS1_S3_NS_24const_host_device_scalarIT5_EEPKT3_S3_PKS5_S9_S3_SB_S6_S9_S3_SB_S9_PS1_PS5_PS7_21rocsparse_index_base_SF_SF_SF_bbb,comdat
	.globl	_ZN9rocsparseL36csrgemm_fill_block_per_row_multipassILj512ELj16ELj2048ELj64EiidEEvT4_PKS1_S3_NS_24const_host_device_scalarIT5_EEPKT3_S3_PKS5_S9_S3_SB_S6_S9_S3_SB_S9_PS1_PS5_PS7_21rocsparse_index_base_SF_SF_SF_bbb ; -- Begin function _ZN9rocsparseL36csrgemm_fill_block_per_row_multipassILj512ELj16ELj2048ELj64EiidEEvT4_PKS1_S3_NS_24const_host_device_scalarIT5_EEPKT3_S3_PKS5_S9_S3_SB_S6_S9_S3_SB_S9_PS1_PS5_PS7_21rocsparse_index_base_SF_SF_SF_bbb
	.p2align	8
	.type	_ZN9rocsparseL36csrgemm_fill_block_per_row_multipassILj512ELj16ELj2048ELj64EiidEEvT4_PKS1_S3_NS_24const_host_device_scalarIT5_EEPKT3_S3_PKS5_S9_S3_SB_S6_S9_S3_SB_S9_PS1_PS5_PS7_21rocsparse_index_base_SF_SF_SF_bbb,@function
_ZN9rocsparseL36csrgemm_fill_block_per_row_multipassILj512ELj16ELj2048ELj64EiidEEvT4_PKS1_S3_NS_24const_host_device_scalarIT5_EEPKT3_S3_PKS5_S9_S3_SB_S6_S9_S3_SB_S9_PS1_PS5_PS7_21rocsparse_index_base_SF_SF_SF_bbb: ; @_ZN9rocsparseL36csrgemm_fill_block_per_row_multipassILj512ELj16ELj2048ELj64EiidEEvT4_PKS1_S3_NS_24const_host_device_scalarIT5_EEPKT3_S3_PKS5_S9_S3_SB_S6_S9_S3_SB_S9_PS1_PS5_PS7_21rocsparse_index_base_SF_SF_SF_bbb
; %bb.0:
	s_clause 0x4
	s_load_b32 s11, s[0:1], 0xa0
	s_load_b64 s[2:3], s[0:1], 0x18
	s_load_b128 s[4:7], s[0:1], 0x8
	s_load_b128 s[28:31], s[0:1], 0x90
	s_load_b64 s[8:9], s[0:1], 0x50
	s_waitcnt lgkmcnt(0)
	s_and_b32 s10, 1, s11
	s_bitcmp1_b32 s11, 16
	s_cselect_b32 s12, -1, 0
	s_cmp_eq_u32 s10, 1
	s_cselect_b32 s10, -1, 0
	s_delay_alu instid0(SALU_CYCLE_1)
	s_and_b32 s13, s10, exec_lo
	s_cselect_b32 s17, s3, 0
	s_cselect_b32 s16, s2, 0
	s_xor_b32 s13, s10, -1
	v_dual_mov_b32 v1, s16 :: v_dual_mov_b32 v2, s17
	s_or_b32 s13, s13, s12
	s_delay_alu instid0(SALU_CYCLE_1)
	s_and_b32 vcc_lo, exec_lo, s13
	s_cbranch_vccnz .LBB44_2
; %bb.1:
	v_dual_mov_b32 v1, s2 :: v_dual_mov_b32 v2, s3
	flat_load_b64 v[1:2], v[1:2]
.LBB44_2:
	s_load_b64 s[2:3], s[0:1], 0x20
	s_bitcmp1_b32 s11, 8
	s_cselect_b32 s33, -1, 0
	s_delay_alu instid0(SALU_CYCLE_1)
	s_and_b32 s11, s33, exec_lo
	s_cselect_b32 s17, s9, 0
	s_cselect_b32 s16, s8, 0
	s_xor_b32 s11, s33, -1
	v_dual_mov_b32 v3, s16 :: v_dual_mov_b32 v4, s17
	s_or_b32 s11, s11, s12
	s_delay_alu instid0(SALU_CYCLE_1)
	s_and_b32 vcc_lo, exec_lo, s11
	s_cbranch_vccnz .LBB44_4
; %bb.3:
	v_dual_mov_b32 v3, s8 :: v_dual_mov_b32 v4, s9
	flat_load_b64 v[3:4], v[3:4]
.LBB44_4:
	s_load_b32 s4, s[4:5], 0x0
	s_mov_b32 s35, 0
	s_waitcnt lgkmcnt(0)
	s_add_i32 s34, s4, s15
	s_delay_alu instid0(SALU_CYCLE_1) | instskip(NEXT) | instid1(SALU_CYCLE_1)
	s_lshl_b64 s[4:5], s[34:35], 2
	s_add_u32 s4, s6, s4
	s_addc_u32 s5, s7, s5
	s_and_not1_b32 vcc_lo, exec_lo, s10
	s_load_b32 s8, s[4:5], 0x0
	s_mov_b32 s7, 0
	s_cbranch_vccz .LBB44_7
; %bb.5:
	s_and_not1_b32 vcc_lo, exec_lo, s10
	s_cbranch_vccz .LBB44_8
.LBB44_6:
	s_load_b32 s34, s[0:1], 0x0
	s_waitcnt lgkmcnt(0)
	s_cmp_lt_i32 s34, 1
	s_cbranch_scc0 .LBB44_9
	s_branch .LBB44_66
.LBB44_7:
	s_waitcnt lgkmcnt(0)
	s_ashr_i32 s9, s8, 31
	s_delay_alu instid0(SALU_CYCLE_1) | instskip(NEXT) | instid1(SALU_CYCLE_1)
	s_lshl_b64 s[4:5], s[8:9], 2
	s_add_u32 s4, s2, s4
	s_addc_u32 s5, s3, s5
	s_load_b32 s4, s[4:5], 0x0
	s_waitcnt lgkmcnt(0)
	s_sub_i32 s7, s4, s28
	s_and_not1_b32 vcc_lo, exec_lo, s10
	s_cbranch_vccnz .LBB44_6
.LBB44_8:
	s_waitcnt lgkmcnt(0)
	s_ashr_i32 s9, s8, 31
	s_delay_alu instid0(SALU_CYCLE_1) | instskip(NEXT) | instid1(SALU_CYCLE_1)
	s_lshl_b64 s[4:5], s[8:9], 2
	s_add_u32 s2, s2, s4
	s_addc_u32 s3, s3, s5
	s_load_b32 s2, s[2:3], 0x4
	s_waitcnt lgkmcnt(0)
	s_sub_i32 s35, s2, s28
	s_load_b32 s34, s[0:1], 0x0
	s_waitcnt lgkmcnt(0)
	s_cmp_lt_i32 s34, 1
	s_cbranch_scc1 .LBB44_66
.LBB44_9:
	s_clause 0x4
	s_load_b256 s[12:19], s[0:1], 0x58
	s_load_b64 s[40:41], s[0:1], 0x88
	s_load_b128 s[36:39], s[0:1], 0x78
	s_load_b64 s[42:43], s[0:1], 0x48
	s_load_b256 s[20:27], s[0:1], 0x28
	v_mbcnt_lo_u32_b32 v6, -1, 0
	s_ashr_i32 s9, s8, 31
	v_lshrrev_b32_e32 v5, 4, v0
	s_lshl_b64 s[44:45], s[8:9], 2
	v_and_b32_e32 v19, 15, v0
	v_xor_b32_e32 v7, 8, v6
	v_xor_b32_e32 v8, 4, v6
	;; [unrolled: 1-line block ×5, first 2 shown]
	v_dual_mov_b32 v32, 0x800 :: v_dual_add_nc_u32 v21, s7, v5
	v_cmp_eq_u32_e64 s0, 0, v0
	v_subrev_nc_u32_e32 v20, s31, v0
	v_cmp_eq_u32_e64 s1, 0x1ff, v0
	s_waitcnt lgkmcnt(0)
	s_add_u32 s8, s18, s44
	s_addc_u32 s9, s19, s45
	v_cmp_gt_i32_e32 vcc_lo, s35, v21
	s_load_b32 s9, s[8:9], 0x0
	v_cmp_gt_i32_e64 s8, 32, v7
	v_cmp_gt_u32_e64 s2, 64, v0
	v_cmp_gt_u32_e64 s3, 0x80, v0
	;; [unrolled: 1-line block ×4, first 2 shown]
	v_cndmask_b32_e64 v7, v6, v7, s8
	v_cmp_gt_i32_e64 s8, 32, v8
	v_cmp_gt_u32_e64 s6, 0x140, v0
	v_or_b32_e32 v27, 0xfffffe00, v0
	v_lshlrev_b32_e32 v28, 3, v0
	v_dual_mov_b32 v30, 1 :: v_dual_lshlrev_b32 v23, 2, v7
	v_cndmask_b32_e64 v8, v6, v8, s8
	v_cmp_gt_i32_e64 s8, 32, v9
	s_delay_alu instid0(VALU_DEP_1) | instskip(SKIP_3) | instid1(SALU_CYCLE_1)
	v_cndmask_b32_e64 v9, v6, v9, s8
	v_cmp_gt_i32_e64 s8, 32, v10
	s_waitcnt lgkmcnt(0)
	s_sub_i32 s11, s9, s30
	v_dual_mov_b32 v29, s11 :: v_dual_and_b32 v22, 28, v5
	v_lshlrev_b32_e32 v25, 2, v9
	v_cndmask_b32_e64 v10, v6, v10, s8
	v_lshrrev_b64 v[5:6], v11, -1
	v_mov_b32_e32 v6, 0
	v_cmp_eq_u32_e64 s7, 15, v19
	v_lshlrev_b32_e32 v24, 2, v8
	v_lshlrev_b32_e32 v26, 2, v10
	s_add_u32 s18, s12, s44
	v_mov_b32_e32 v31, v6
	v_cmp_gt_u32_e64 s8, 0x180, v0
	v_cmp_gt_u32_e64 s9, 0x1c0, v0
	v_mov_b32_e32 v7, v6
	s_addc_u32 s19, s13, s45
	s_and_b32 s13, s10, vcc_lo
	s_add_u32 s44, s24, 4
	s_addc_u32 s45, s25, 0
	s_branch .LBB44_11
.LBB44_10:                              ;   in Loop: Header=BB44_11 Depth=1
	s_or_b32 exec_lo, exec_lo, s10
	ds_load_b32 v31, v6 offset:18432
	s_waitcnt lgkmcnt(0)
	s_barrier
	buffer_gl0_inv
	v_cmp_le_i32_e32 vcc_lo, s34, v31
	v_add_nc_u32_e32 v32, 0x800, v31
	s_cbranch_vccnz .LBB44_66
.LBB44_11:                              ; =>This Loop Header: Depth=1
                                        ;     Child Loop BB44_12 Depth 2
                                        ;     Child Loop BB44_18 Depth 2
                                        ;       Child Loop BB44_24 Depth 3
                                        ;         Child Loop BB44_28 Depth 4
                                        ;     Child Loop BB44_43 Depth 2
                                        ;       Child Loop BB44_47 Depth 3
                                        ;     Child Loop BB44_57 Depth 2
                                        ;     Child Loop BB44_62 Depth 2
	v_dual_mov_b32 v8, v28 :: v_dual_mov_b32 v9, v27
	s_mov_b32 s10, 0
.LBB44_12:                              ;   Parent Loop BB44_11 Depth=1
                                        ; =>  This Inner Loop Header: Depth=2
	ds_store_b8 v9, v6 offset:16896
	v_add_nc_u32_e32 v9, 0x200, v9
	ds_store_b64 v8, v[6:7]
	v_add_nc_u32_e32 v8, 0x1000, v8
	v_cmp_lt_u32_e32 vcc_lo, 0x5ff, v9
	s_or_b32 s10, vcc_lo, s10
	s_delay_alu instid0(SALU_CYCLE_1)
	s_and_not1_b32 exec_lo, exec_lo, s10
	s_cbranch_execnz .LBB44_12
; %bb.13:                               ;   in Loop: Header=BB44_11 Depth=1
	s_or_b32 exec_lo, exec_lo, s10
	s_and_saveexec_b32 s10, s0
	s_cbranch_execz .LBB44_15
; %bb.14:                               ;   in Loop: Header=BB44_11 Depth=1
	v_mov_b32_e32 v8, s34
	ds_store_b32 v6, v8 offset:18432
.LBB44_15:                              ;   in Loop: Header=BB44_11 Depth=1
	s_or_b32 exec_lo, exec_lo, s10
	v_mov_b32_e32 v33, s34
	s_waitcnt vmcnt(0) lgkmcnt(0)
	s_barrier
	buffer_gl0_inv
	s_and_saveexec_b32 s46, s13
	s_cbranch_execz .LBB44_39
; %bb.16:                               ;   in Loop: Header=BB44_11 Depth=1
	v_cmp_ne_u32_e64 s10, 0, v31
	v_dual_mov_b32 v33, s34 :: v_dual_mov_b32 v8, v21
	s_mov_b32 s47, 0
	s_branch .LBB44_18
.LBB44_17:                              ;   in Loop: Header=BB44_18 Depth=2
	s_or_b32 exec_lo, exec_lo, s11
	v_add_nc_u32_e32 v8, 32, v8
	s_delay_alu instid0(VALU_DEP_1) | instskip(SKIP_1) | instid1(SALU_CYCLE_1)
	v_cmp_le_i32_e32 vcc_lo, s35, v8
	s_or_b32 s47, vcc_lo, s47
	s_and_not1_b32 exec_lo, exec_lo, s47
	s_cbranch_execz .LBB44_38
.LBB44_18:                              ;   Parent Loop BB44_11 Depth=1
                                        ; =>  This Loop Header: Depth=2
                                        ;       Child Loop BB44_24 Depth 3
                                        ;         Child Loop BB44_28 Depth 4
	s_delay_alu instid0(VALU_DEP_1) | instskip(NEXT) | instid1(VALU_DEP_1)
	v_ashrrev_i32_e32 v9, 31, v8
	v_lshlrev_b64 v[10:11], 2, v[8:9]
	v_lshlrev_b64 v[14:15], 3, v[8:9]
	s_waitcnt lgkmcnt(0)
	s_delay_alu instid0(VALU_DEP_2) | instskip(NEXT) | instid1(VALU_DEP_3)
	v_add_co_u32 v12, vcc_lo, s20, v10
	v_add_co_ci_u32_e32 v13, vcc_lo, s21, v11, vcc_lo
	global_load_b32 v9, v[12:13], off
	v_add_co_u32 v12, vcc_lo, s22, v14
	v_add_co_ci_u32_e32 v13, vcc_lo, s23, v15, vcc_lo
	s_and_b32 vcc_lo, exec_lo, s10
	global_load_b64 v[12:13], v[12:13], off
	s_waitcnt vmcnt(1)
	v_subrev_nc_u32_e32 v14, s28, v9
	s_delay_alu instid0(VALU_DEP_1)
	v_ashrrev_i32_e32 v15, 31, v14
	s_cbranch_vccz .LBB44_37
; %bb.19:                               ;   in Loop: Header=BB44_18 Depth=2
	v_add_co_u32 v16, vcc_lo, s40, v10
	v_add_co_ci_u32_e32 v17, vcc_lo, s41, v11, vcc_lo
	global_load_b32 v9, v[16:17], off
	s_cbranch_execnz .LBB44_21
.LBB44_20:                              ;   in Loop: Header=BB44_18 Depth=2
	s_delay_alu instid0(VALU_DEP_1) | instskip(NEXT) | instid1(VALU_DEP_1)
	v_lshlrev_b64 v[16:17], 2, v[14:15]
	v_add_co_u32 v16, vcc_lo, s24, v16
	s_delay_alu instid0(VALU_DEP_2)
	v_add_co_ci_u32_e32 v17, vcc_lo, s25, v17, vcc_lo
	global_load_b32 v9, v[16:17], off
	s_waitcnt vmcnt(0)
	v_subrev_nc_u32_e32 v9, s29, v9
.LBB44_21:                              ;   in Loop: Header=BB44_18 Depth=2
	v_lshlrev_b64 v[14:15], 2, v[14:15]
	s_waitcnt vmcnt(0)
	s_delay_alu instid0(VALU_DEP_2) | instskip(SKIP_1) | instid1(VALU_DEP_2)
	v_add_nc_u32_e32 v9, v9, v19
	s_mov_b32 s48, exec_lo
	v_add_co_u32 v14, vcc_lo, s44, v14
	s_delay_alu instid0(VALU_DEP_3) | instskip(SKIP_3) | instid1(VALU_DEP_1)
	v_add_co_ci_u32_e32 v15, vcc_lo, s45, v15, vcc_lo
	global_load_b32 v14, v[14:15], off
	s_waitcnt vmcnt(0)
	v_subrev_nc_u32_e32 v34, s29, v14
	v_cmpx_lt_i32_e64 v9, v34
	s_cbranch_execz .LBB44_35
; %bb.22:                               ;   in Loop: Header=BB44_18 Depth=2
	v_mul_f64 v[12:13], v[1:2], v[12:13]
	v_mov_b32_e32 v14, v9
	s_mov_b32 s50, 0
                                        ; implicit-def: $sgpr49
                                        ; implicit-def: $sgpr51
	s_branch .LBB44_24
.LBB44_23:                              ;   in Loop: Header=BB44_24 Depth=3
	s_or_b32 exec_lo, exec_lo, s12
	s_delay_alu instid0(SALU_CYCLE_1) | instskip(SKIP_4) | instid1(SALU_CYCLE_1)
	s_and_b32 s11, exec_lo, s52
	v_mov_b32_e32 v14, v16
	s_or_b32 s50, s11, s50
	s_and_not1_b32 s11, s49, exec_lo
	s_and_b32 s12, s51, exec_lo
	s_or_b32 s49, s11, s12
	s_and_not1_b32 exec_lo, exec_lo, s50
	s_cbranch_execz .LBB44_32
.LBB44_24:                              ;   Parent Loop BB44_11 Depth=1
                                        ;     Parent Loop BB44_18 Depth=2
                                        ; =>    This Loop Header: Depth=3
                                        ;         Child Loop BB44_28 Depth 4
	s_delay_alu instid0(VALU_DEP_1) | instskip(NEXT) | instid1(VALU_DEP_1)
	v_ashrrev_i32_e32 v15, 31, v14
	v_lshlrev_b64 v[16:17], 2, v[14:15]
	s_delay_alu instid0(VALU_DEP_1) | instskip(NEXT) | instid1(VALU_DEP_2)
	v_add_co_u32 v16, vcc_lo, s26, v16
	v_add_co_ci_u32_e32 v17, vcc_lo, s27, v17, vcc_lo
	global_load_b32 v16, v[16:17], off
	s_waitcnt vmcnt(0)
	v_subrev_nc_u32_e32 v35, s29, v16
	s_delay_alu instid0(VALU_DEP_1) | instskip(SKIP_2) | instid1(VALU_DEP_2)
	v_cmp_lt_i32_e64 s11, v35, v31
	v_cmp_ge_i32_e64 s12, v35, v32
	v_cmp_lt_i32_e32 vcc_lo, v35, v32
	s_or_b32 s52, s11, s12
	s_mov_b32 s11, 0
                                        ; implicit-def: $sgpr12
	s_and_saveexec_b32 s53, s52
	s_delay_alu instid0(SALU_CYCLE_1)
	s_xor_b32 s52, exec_lo, s53
; %bb.25:                               ;   in Loop: Header=BB44_24 Depth=3
	s_mov_b32 s12, -1
	s_and_b32 s11, vcc_lo, exec_lo
; %bb.26:                               ;   in Loop: Header=BB44_24 Depth=3
	s_and_not1_saveexec_b32 s52, s52
	s_cbranch_execz .LBB44_30
; %bb.27:                               ;   in Loop: Header=BB44_24 Depth=3
	v_lshlrev_b64 v[15:16], 3, v[14:15]
	v_sub_nc_u32_e32 v17, v35, v31
	s_mov_b32 s53, 0
	s_delay_alu instid0(VALU_DEP_1) | instskip(NEXT) | instid1(VALU_DEP_3)
	v_lshlrev_b32_e32 v36, 3, v17
	v_add_co_u32 v15, vcc_lo, s42, v15
	s_delay_alu instid0(VALU_DEP_4)
	v_add_co_ci_u32_e32 v16, vcc_lo, s43, v16, vcc_lo
	ds_store_b8 v17, v30 offset:16384
	ds_load_b64 v[17:18], v36
	global_load_b64 v[15:16], v[15:16], off
	s_waitcnt vmcnt(0)
	v_mul_f64 v[15:16], v[12:13], v[15:16]
.LBB44_28:                              ;   Parent Loop BB44_11 Depth=1
                                        ;     Parent Loop BB44_18 Depth=2
                                        ;       Parent Loop BB44_24 Depth=3
                                        ; =>      This Inner Loop Header: Depth=4
	s_waitcnt lgkmcnt(0)
	s_delay_alu instid0(VALU_DEP_1)
	v_add_f64 v[37:38], v[17:18], v[15:16]
	ds_cmpstore_rtn_b64 v[37:38], v36, v[37:38], v[17:18]
	s_waitcnt lgkmcnt(0)
	v_cmp_eq_u64_e32 vcc_lo, v[37:38], v[17:18]
	v_dual_mov_b32 v17, v37 :: v_dual_mov_b32 v18, v38
	s_or_b32 s53, vcc_lo, s53
	s_delay_alu instid0(SALU_CYCLE_1)
	s_and_not1_b32 exec_lo, exec_lo, s53
	s_cbranch_execnz .LBB44_28
; %bb.29:                               ;   in Loop: Header=BB44_24 Depth=3
	s_or_b32 exec_lo, exec_lo, s53
	s_delay_alu instid0(SALU_CYCLE_1)
	s_or_b32 s11, s11, exec_lo
.LBB44_30:                              ;   in Loop: Header=BB44_24 Depth=3
	s_or_b32 exec_lo, exec_lo, s52
	v_mov_b32_e32 v15, v14
	s_and_not1_b32 s51, s51, exec_lo
	s_and_b32 s12, s12, exec_lo
	s_mov_b32 s52, -1
	s_or_b32 s51, s51, s12
                                        ; implicit-def: $vgpr16
	s_and_saveexec_b32 s12, s11
	s_cbranch_execz .LBB44_23
; %bb.31:                               ;   in Loop: Header=BB44_24 Depth=3
	v_dual_mov_b32 v15, v14 :: v_dual_add_nc_u32 v16, 16, v14
	s_and_not1_b32 s51, s51, exec_lo
	s_delay_alu instid0(VALU_DEP_1)
	v_cmp_ge_i32_e32 vcc_lo, v16, v34
	s_or_not1_b32 s52, vcc_lo, exec_lo
	s_branch .LBB44_23
.LBB44_32:                              ;   in Loop: Header=BB44_18 Depth=2
	s_or_b32 exec_lo, exec_lo, s50
	s_and_saveexec_b32 s11, s49
	s_delay_alu instid0(SALU_CYCLE_1)
	s_xor_b32 s11, exec_lo, s11
; %bb.33:                               ;   in Loop: Header=BB44_18 Depth=2
	v_min_i32_e32 v33, v35, v33
	v_mov_b32_e32 v9, v15
; %bb.34:                               ;   in Loop: Header=BB44_18 Depth=2
	s_or_b32 exec_lo, exec_lo, s11
.LBB44_35:                              ;   in Loop: Header=BB44_18 Depth=2
	s_delay_alu instid0(SALU_CYCLE_1)
	s_or_b32 exec_lo, exec_lo, s48
	ds_bpermute_b32 v12, v23, v9
	s_waitcnt lgkmcnt(0)
	v_min_i32_e32 v9, v12, v9
	ds_bpermute_b32 v12, v24, v9
	s_waitcnt lgkmcnt(0)
	v_min_i32_e32 v9, v12, v9
	;; [unrolled: 3-line block ×3, first 2 shown]
	ds_bpermute_b32 v12, v26, v9
	s_and_saveexec_b32 s11, s7
	s_cbranch_execz .LBB44_17
; %bb.36:                               ;   in Loop: Header=BB44_18 Depth=2
	s_waitcnt lgkmcnt(0)
	v_min_i32_e32 v12, v12, v9
	v_add_co_u32 v9, vcc_lo, s40, v10
	v_add_co_ci_u32_e32 v10, vcc_lo, s41, v11, vcc_lo
	global_store_b32 v[9:10], v12, off
	s_branch .LBB44_17
.LBB44_37:                              ;   in Loop: Header=BB44_18 Depth=2
                                        ; implicit-def: $vgpr9
	s_branch .LBB44_20
.LBB44_38:                              ;   in Loop: Header=BB44_11 Depth=1
	s_or_b32 exec_lo, exec_lo, s47
.LBB44_39:                              ;   in Loop: Header=BB44_11 Depth=1
	s_delay_alu instid0(SALU_CYCLE_1) | instskip(NEXT) | instid1(SALU_CYCLE_1)
	s_or_b32 exec_lo, exec_lo, s46
	s_and_not1_b32 vcc_lo, exec_lo, s33
	s_cbranch_vccnz .LBB44_55
; %bb.40:                               ;   in Loop: Header=BB44_11 Depth=1
	s_load_b64 s[10:11], s[18:19], 0x0
	s_mov_b32 s12, exec_lo
	s_waitcnt lgkmcnt(0)
	v_add_nc_u32_e32 v8, s10, v20
	s_sub_i32 s46, s11, s31
	s_delay_alu instid0(VALU_DEP_1) | instid1(SALU_CYCLE_1)
	v_cmpx_gt_i32_e64 s46, v8
	s_cbranch_execz .LBB44_54
; %bb.41:                               ;   in Loop: Header=BB44_11 Depth=1
	s_mov_b32 s47, 0
                                        ; implicit-def: $sgpr48
                                        ; implicit-def: $sgpr49
	s_branch .LBB44_43
.LBB44_42:                              ;   in Loop: Header=BB44_43 Depth=2
	s_or_b32 exec_lo, exec_lo, s50
	s_delay_alu instid0(SALU_CYCLE_1) | instskip(NEXT) | instid1(SALU_CYCLE_1)
	s_and_b32 s10, exec_lo, s11
	s_or_b32 s47, s10, s47
	s_and_not1_b32 s10, s48, exec_lo
	s_and_b32 s11, s49, exec_lo
	s_delay_alu instid0(SALU_CYCLE_1)
	s_or_b32 s48, s10, s11
	s_and_not1_b32 exec_lo, exec_lo, s47
	s_cbranch_execz .LBB44_51
.LBB44_43:                              ;   Parent Loop BB44_11 Depth=1
                                        ; =>  This Loop Header: Depth=2
                                        ;       Child Loop BB44_47 Depth 3
	v_ashrrev_i32_e32 v9, 31, v8
	s_delay_alu instid0(VALU_DEP_1) | instskip(NEXT) | instid1(VALU_DEP_1)
	v_lshlrev_b64 v[10:11], 2, v[8:9]
	v_add_co_u32 v10, vcc_lo, s14, v10
	s_delay_alu instid0(VALU_DEP_2) | instskip(SKIP_3) | instid1(VALU_DEP_1)
	v_add_co_ci_u32_e32 v11, vcc_lo, s15, v11, vcc_lo
	global_load_b32 v10, v[10:11], off
	s_waitcnt vmcnt(0)
	v_subrev_nc_u32_e32 v13, s31, v10
	v_cmp_lt_i32_e64 s10, v13, v31
	v_cmp_ge_i32_e64 s11, v13, v32
	v_cmp_lt_i32_e32 vcc_lo, v13, v32
	s_delay_alu instid0(VALU_DEP_2) | instskip(SKIP_2) | instid1(SALU_CYCLE_1)
	s_or_b32 s50, s10, s11
	s_mov_b32 s10, 0
                                        ; implicit-def: $sgpr11
	s_and_saveexec_b32 s51, s50
	s_xor_b32 s50, exec_lo, s51
; %bb.44:                               ;   in Loop: Header=BB44_43 Depth=2
	s_mov_b32 s11, -1
	s_and_b32 s10, vcc_lo, exec_lo
; %bb.45:                               ;   in Loop: Header=BB44_43 Depth=2
	s_and_not1_saveexec_b32 s50, s50
	s_cbranch_execz .LBB44_49
; %bb.46:                               ;   in Loop: Header=BB44_43 Depth=2
	v_lshlrev_b64 v[9:10], 3, v[8:9]
	v_sub_nc_u32_e32 v11, v13, v31
	s_mov_b32 s51, 0
	s_delay_alu instid0(VALU_DEP_1) | instskip(NEXT) | instid1(VALU_DEP_3)
	v_lshlrev_b32_e32 v14, 3, v11
	v_add_co_u32 v9, vcc_lo, s16, v9
	s_delay_alu instid0(VALU_DEP_4)
	v_add_co_ci_u32_e32 v10, vcc_lo, s17, v10, vcc_lo
	ds_store_b8 v11, v30 offset:16384
	ds_load_b64 v[11:12], v14
	global_load_b64 v[9:10], v[9:10], off
	s_waitcnt vmcnt(0)
	v_mul_f64 v[9:10], v[3:4], v[9:10]
.LBB44_47:                              ;   Parent Loop BB44_11 Depth=1
                                        ;     Parent Loop BB44_43 Depth=2
                                        ; =>    This Inner Loop Header: Depth=3
	s_waitcnt lgkmcnt(0)
	s_delay_alu instid0(VALU_DEP_1)
	v_add_f64 v[15:16], v[11:12], v[9:10]
	ds_cmpstore_rtn_b64 v[15:16], v14, v[15:16], v[11:12]
	s_waitcnt lgkmcnt(0)
	v_cmp_eq_u64_e32 vcc_lo, v[15:16], v[11:12]
	v_dual_mov_b32 v11, v15 :: v_dual_mov_b32 v12, v16
	s_or_b32 s51, vcc_lo, s51
	s_delay_alu instid0(SALU_CYCLE_1)
	s_and_not1_b32 exec_lo, exec_lo, s51
	s_cbranch_execnz .LBB44_47
; %bb.48:                               ;   in Loop: Header=BB44_43 Depth=2
	s_or_b32 exec_lo, exec_lo, s51
	s_delay_alu instid0(SALU_CYCLE_1)
	s_or_b32 s10, s10, exec_lo
.LBB44_49:                              ;   in Loop: Header=BB44_43 Depth=2
	s_or_b32 exec_lo, exec_lo, s50
	s_delay_alu instid0(SALU_CYCLE_1)
	s_and_not1_b32 s49, s49, exec_lo
	s_and_b32 s50, s11, exec_lo
	s_mov_b32 s11, -1
	s_or_b32 s49, s49, s50
	s_and_saveexec_b32 s50, s10
	s_cbranch_execz .LBB44_42
; %bb.50:                               ;   in Loop: Header=BB44_43 Depth=2
	v_add_nc_u32_e32 v8, 0x200, v8
	s_and_not1_b32 s49, s49, exec_lo
	s_delay_alu instid0(VALU_DEP_1)
	v_cmp_le_i32_e32 vcc_lo, s46, v8
	s_or_not1_b32 s11, vcc_lo, exec_lo
	s_branch .LBB44_42
.LBB44_51:                              ;   in Loop: Header=BB44_11 Depth=1
	s_or_b32 exec_lo, exec_lo, s47
	s_and_saveexec_b32 s10, s48
	s_delay_alu instid0(SALU_CYCLE_1)
	s_xor_b32 s10, exec_lo, s10
; %bb.52:                               ;   in Loop: Header=BB44_11 Depth=1
	v_min_i32_e32 v33, v13, v33
; %bb.53:                               ;   in Loop: Header=BB44_11 Depth=1
	s_or_b32 exec_lo, exec_lo, s10
.LBB44_54:                              ;   in Loop: Header=BB44_11 Depth=1
	s_delay_alu instid0(SALU_CYCLE_1)
	s_or_b32 exec_lo, exec_lo, s12
.LBB44_55:                              ;   in Loop: Header=BB44_11 Depth=1
	ds_bpermute_b32 v8, v23, v33
	s_waitcnt lgkmcnt(0)
	v_min_i32_e32 v8, v8, v33
	ds_bpermute_b32 v9, v24, v8
	s_waitcnt lgkmcnt(0)
	v_min_i32_e32 v8, v9, v8
	;; [unrolled: 3-line block ×3, first 2 shown]
	ds_bpermute_b32 v9, v26, v8
	s_and_saveexec_b32 s10, s7
	s_cbranch_execz .LBB44_60
; %bb.56:                               ;   in Loop: Header=BB44_11 Depth=1
	s_waitcnt lgkmcnt(0)
	v_min_i32_e32 v8, v9, v8
	s_mov_b32 s12, exec_lo
	s_brev_b32 s11, -2
.LBB44_57:                              ;   Parent Loop BB44_11 Depth=1
                                        ; =>  This Inner Loop Header: Depth=2
	s_ctz_i32_b32 s46, s12
	s_delay_alu instid0(VALU_DEP_1) | instid1(SALU_CYCLE_1)
	v_readlane_b32 s47, v8, s46
	s_lshl_b32 s46, 1, s46
	s_delay_alu instid0(SALU_CYCLE_1) | instskip(NEXT) | instid1(VALU_DEP_1)
	s_and_not1_b32 s12, s12, s46
	s_min_i32 s11, s11, s47
	s_cmp_lg_u32 s12, 0
	s_cbranch_scc1 .LBB44_57
; %bb.58:                               ;   in Loop: Header=BB44_11 Depth=1
	v_mbcnt_lo_u32_b32 v8, exec_lo, 0
	s_mov_b32 s12, exec_lo
	s_delay_alu instid0(VALU_DEP_1)
	v_cmpx_eq_u32_e32 0, v8
	s_xor_b32 s12, exec_lo, s12
	s_cbranch_execz .LBB44_60
; %bb.59:                               ;   in Loop: Header=BB44_11 Depth=1
	v_mov_b32_e32 v8, s11
	ds_min_i32 v6, v8 offset:18432
.LBB44_60:                              ;   in Loop: Header=BB44_11 Depth=1
	s_or_b32 exec_lo, exec_lo, s10
	v_dual_mov_b32 v11, v28 :: v_dual_add_nc_u32 v10, s30, v31
	v_mov_b32_e32 v12, v0
	s_mov_b32 s10, 0
	s_waitcnt lgkmcnt(0)
	s_waitcnt_vscnt null, 0x0
	s_barrier
	buffer_gl0_inv
	s_branch .LBB44_62
.LBB44_61:                              ;   in Loop: Header=BB44_62 Depth=2
	s_or_b32 exec_lo, exec_lo, s11
	s_waitcnt lgkmcnt(0)
	s_waitcnt_vscnt null, 0x0
	s_barrier
	buffer_gl0_inv
	ds_load_b32 v8, v6 offset:28
	v_add_nc_u32_e32 v9, 0x200, v12
	v_cmp_lt_u32_e32 vcc_lo, 0x5ff, v12
	s_delay_alu instid0(VALU_DEP_2)
	v_dual_mov_b32 v12, v9 :: v_dual_add_nc_u32 v11, 0x1000, v11
	s_or_b32 s10, vcc_lo, s10
	s_waitcnt lgkmcnt(0)
	v_add_nc_u32_e32 v29, v8, v29
	s_and_not1_b32 exec_lo, exec_lo, s10
	s_cbranch_execz .LBB44_10
.LBB44_62:                              ;   Parent Loop BB44_11 Depth=1
                                        ; =>  This Inner Loop Header: Depth=2
	ds_load_u8 v17, v12 offset:16384
	ds_load_b64 v[8:9], v11
	s_waitcnt lgkmcnt(0)
	s_barrier
	buffer_gl0_inv
	v_cmp_ne_u16_e32 vcc_lo, 0, v17
	s_bcnt1_i32_b32 s11, vcc_lo
	s_delay_alu instid0(SALU_CYCLE_1)
	v_dual_mov_b32 v13, s11 :: v_dual_and_b32 v18, vcc_lo, v5
	s_mov_b32 s11, exec_lo
	ds_store_b32 v22, v13
	s_waitcnt lgkmcnt(0)
	s_barrier
	buffer_gl0_inv
	ds_load_b128 v[13:16], v6
	ds_load_b96 v[31:33], v6 offset:16
	s_waitcnt lgkmcnt(1)
	v_cndmask_b32_e64 v13, v13, 0, s2
	v_cndmask_b32_e64 v14, v14, 0, s3
	;; [unrolled: 1-line block ×4, first 2 shown]
	s_delay_alu instid0(VALU_DEP_4) | instskip(SKIP_2) | instid1(VALU_DEP_2)
	v_bcnt_u32_b32 v13, v18, v13
	s_waitcnt lgkmcnt(0)
	v_cndmask_b32_e64 v18, v31, 0, s6
	v_add3_u32 v13, v13, v14, v15
	v_cndmask_b32_e64 v14, v32, 0, s8
	v_cndmask_b32_e64 v15, v33, 0, s9
	s_delay_alu instid0(VALU_DEP_3) | instskip(SKIP_1) | instid1(VALU_DEP_2)
	v_add3_u32 v13, v13, v16, v18
	v_and_b32_e32 v16, 1, v17
	v_add3_u32 v13, v13, v14, v15
	s_delay_alu instid0(VALU_DEP_2)
	v_cmpx_eq_u32_e32 1, v16
	s_cbranch_execz .LBB44_64
; %bb.63:                               ;   in Loop: Header=BB44_62 Depth=2
	s_delay_alu instid0(VALU_DEP_2) | instskip(SKIP_1) | instid1(VALU_DEP_2)
	v_add3_u32 v14, v29, v13, -1
	v_add_nc_u32_e32 v18, v10, v12
	v_ashrrev_i32_e32 v15, 31, v14
	s_delay_alu instid0(VALU_DEP_1) | instskip(SKIP_1) | instid1(VALU_DEP_2)
	v_lshlrev_b64 v[16:17], 2, v[14:15]
	v_lshlrev_b64 v[14:15], 3, v[14:15]
	v_add_co_u32 v16, vcc_lo, s36, v16
	s_delay_alu instid0(VALU_DEP_3) | instskip(NEXT) | instid1(VALU_DEP_3)
	v_add_co_ci_u32_e32 v17, vcc_lo, s37, v17, vcc_lo
	v_add_co_u32 v14, vcc_lo, s38, v14
	s_delay_alu instid0(VALU_DEP_4)
	v_add_co_ci_u32_e32 v15, vcc_lo, s39, v15, vcc_lo
	global_store_b32 v[16:17], v18, off
	global_store_b64 v[14:15], v[8:9], off
.LBB44_64:                              ;   in Loop: Header=BB44_62 Depth=2
	s_or_b32 exec_lo, exec_lo, s11
	s_and_saveexec_b32 s11, s1
	s_cbranch_execz .LBB44_61
; %bb.65:                               ;   in Loop: Header=BB44_62 Depth=2
	ds_store_b32 v6, v13 offset:28
	s_branch .LBB44_61
.LBB44_66:
	s_endpgm
	.section	.rodata,"a",@progbits
	.p2align	6, 0x0
	.amdhsa_kernel _ZN9rocsparseL36csrgemm_fill_block_per_row_multipassILj512ELj16ELj2048ELj64EiidEEvT4_PKS1_S3_NS_24const_host_device_scalarIT5_EEPKT3_S3_PKS5_S9_S3_SB_S6_S9_S3_SB_S9_PS1_PS5_PS7_21rocsparse_index_base_SF_SF_SF_bbb
		.amdhsa_group_segment_fixed_size 18440
		.amdhsa_private_segment_fixed_size 0
		.amdhsa_kernarg_size 164
		.amdhsa_user_sgpr_count 15
		.amdhsa_user_sgpr_dispatch_ptr 0
		.amdhsa_user_sgpr_queue_ptr 0
		.amdhsa_user_sgpr_kernarg_segment_ptr 1
		.amdhsa_user_sgpr_dispatch_id 0
		.amdhsa_user_sgpr_private_segment_size 0
		.amdhsa_wavefront_size32 1
		.amdhsa_uses_dynamic_stack 0
		.amdhsa_enable_private_segment 0
		.amdhsa_system_sgpr_workgroup_id_x 1
		.amdhsa_system_sgpr_workgroup_id_y 0
		.amdhsa_system_sgpr_workgroup_id_z 0
		.amdhsa_system_sgpr_workgroup_info 0
		.amdhsa_system_vgpr_workitem_id 0
		.amdhsa_next_free_vgpr 39
		.amdhsa_next_free_sgpr 54
		.amdhsa_reserve_vcc 1
		.amdhsa_float_round_mode_32 0
		.amdhsa_float_round_mode_16_64 0
		.amdhsa_float_denorm_mode_32 3
		.amdhsa_float_denorm_mode_16_64 3
		.amdhsa_dx10_clamp 1
		.amdhsa_ieee_mode 1
		.amdhsa_fp16_overflow 0
		.amdhsa_workgroup_processor_mode 1
		.amdhsa_memory_ordered 1
		.amdhsa_forward_progress 0
		.amdhsa_shared_vgpr_count 0
		.amdhsa_exception_fp_ieee_invalid_op 0
		.amdhsa_exception_fp_denorm_src 0
		.amdhsa_exception_fp_ieee_div_zero 0
		.amdhsa_exception_fp_ieee_overflow 0
		.amdhsa_exception_fp_ieee_underflow 0
		.amdhsa_exception_fp_ieee_inexact 0
		.amdhsa_exception_int_div_zero 0
	.end_amdhsa_kernel
	.section	.text._ZN9rocsparseL36csrgemm_fill_block_per_row_multipassILj512ELj16ELj2048ELj64EiidEEvT4_PKS1_S3_NS_24const_host_device_scalarIT5_EEPKT3_S3_PKS5_S9_S3_SB_S6_S9_S3_SB_S9_PS1_PS5_PS7_21rocsparse_index_base_SF_SF_SF_bbb,"axG",@progbits,_ZN9rocsparseL36csrgemm_fill_block_per_row_multipassILj512ELj16ELj2048ELj64EiidEEvT4_PKS1_S3_NS_24const_host_device_scalarIT5_EEPKT3_S3_PKS5_S9_S3_SB_S6_S9_S3_SB_S9_PS1_PS5_PS7_21rocsparse_index_base_SF_SF_SF_bbb,comdat
.Lfunc_end44:
	.size	_ZN9rocsparseL36csrgemm_fill_block_per_row_multipassILj512ELj16ELj2048ELj64EiidEEvT4_PKS1_S3_NS_24const_host_device_scalarIT5_EEPKT3_S3_PKS5_S9_S3_SB_S6_S9_S3_SB_S9_PS1_PS5_PS7_21rocsparse_index_base_SF_SF_SF_bbb, .Lfunc_end44-_ZN9rocsparseL36csrgemm_fill_block_per_row_multipassILj512ELj16ELj2048ELj64EiidEEvT4_PKS1_S3_NS_24const_host_device_scalarIT5_EEPKT3_S3_PKS5_S9_S3_SB_S6_S9_S3_SB_S9_PS1_PS5_PS7_21rocsparse_index_base_SF_SF_SF_bbb
                                        ; -- End function
	.section	.AMDGPU.csdata,"",@progbits
; Kernel info:
; codeLenInByte = 2824
; NumSgprs: 56
; NumVgprs: 39
; ScratchSize: 0
; MemoryBound: 0
; FloatMode: 240
; IeeeMode: 1
; LDSByteSize: 18440 bytes/workgroup (compile time only)
; SGPRBlocks: 6
; VGPRBlocks: 4
; NumSGPRsForWavesPerEU: 56
; NumVGPRsForWavesPerEU: 39
; Occupancy: 16
; WaveLimiterHint : 1
; COMPUTE_PGM_RSRC2:SCRATCH_EN: 0
; COMPUTE_PGM_RSRC2:USER_SGPR: 15
; COMPUTE_PGM_RSRC2:TRAP_HANDLER: 0
; COMPUTE_PGM_RSRC2:TGID_X_EN: 1
; COMPUTE_PGM_RSRC2:TGID_Y_EN: 0
; COMPUTE_PGM_RSRC2:TGID_Z_EN: 0
; COMPUTE_PGM_RSRC2:TIDIG_COMP_CNT: 0
	.section	.text._ZN9rocsparseL26csrgemm_group_reduce_part2ILj256ELj11E21rocsparse_complex_numIfEiiEEvT3_PKT2_PS3_Pij,"axG",@progbits,_ZN9rocsparseL26csrgemm_group_reduce_part2ILj256ELj11E21rocsparse_complex_numIfEiiEEvT3_PKT2_PS3_Pij,comdat
	.globl	_ZN9rocsparseL26csrgemm_group_reduce_part2ILj256ELj11E21rocsparse_complex_numIfEiiEEvT3_PKT2_PS3_Pij ; -- Begin function _ZN9rocsparseL26csrgemm_group_reduce_part2ILj256ELj11E21rocsparse_complex_numIfEiiEEvT3_PKT2_PS3_Pij
	.p2align	8
	.type	_ZN9rocsparseL26csrgemm_group_reduce_part2ILj256ELj11E21rocsparse_complex_numIfEiiEEvT3_PKT2_PS3_Pij,@function
_ZN9rocsparseL26csrgemm_group_reduce_part2ILj256ELj11E21rocsparse_complex_numIfEiiEEvT3_PKT2_PS3_Pij: ; @_ZN9rocsparseL26csrgemm_group_reduce_part2ILj256ELj11E21rocsparse_complex_numIfEiiEEvT3_PKT2_PS3_Pij
; %bb.0:
	s_clause 0x1
	s_load_b32 s8, s[0:1], 0x0
	s_load_b64 s[2:3], s[0:1], 0x10
	v_mul_u32_u24_e32 v2, 11, v0
	v_mov_b32_e32 v5, 0
	v_lshl_or_b32 v1, s15, 8, v0
	s_mov_b32 s9, 0
	s_mov_b32 s10, exec_lo
	v_lshlrev_b32_e32 v4, 2, v2
	ds_store_2addr_b32 v4, v5, v5 offset1:1
	ds_store_2addr_b32 v4, v5, v5 offset0:2 offset1:3
	ds_store_2addr_b32 v4, v5, v5 offset0:4 offset1:5
	;; [unrolled: 1-line block ×4, first 2 shown]
	ds_store_b32 v4, v5 offset:40
	s_waitcnt lgkmcnt(0)
	buffer_gl0_inv
	v_cmpx_gt_i32_e64 s8, v1
	s_cbranch_execz .LBB45_43
; %bb.1:
	s_clause 0x3
	s_load_b32 s11, s[0:1], 0x20
	s_load_b32 s12, s[0:1], 0x28
	s_load_b64 s[4:5], s[0:1], 0x8
	s_load_b64 s[6:7], s[0:1], 0x18
	v_dual_mov_b32 v6, 6 :: v_dual_mov_b32 v7, 7
	v_dual_mov_b32 v8, 8 :: v_dual_mov_b32 v9, 9
	;; [unrolled: 1-line block ×5, first 2 shown]
	s_waitcnt lgkmcnt(0)
	s_cmpk_lt_u32 s11, 0xc084
	s_cselect_b32 s0, -1, 0
	s_cmp_lt_u32 s11, 0x18084
	s_cselect_b32 s13, -1, 0
	s_cmp_lt_u32 s11, 0x30084
	;; [unrolled: 2-line block ×3, first 2 shown]
	s_cselect_b32 s16, -1, 0
	s_lshl_b32 s1, s12, 8
	s_xor_b32 s11, s0, -1
	s_xor_b32 s12, s13, -1
	;; [unrolled: 1-line block ×4, first 2 shown]
	s_branch .LBB45_3
.LBB45_2:                               ;   in Loop: Header=BB45_3 Depth=1
	s_or_b32 exec_lo, exec_lo, s0
	v_add_nc_u32_e32 v1, s1, v1
	s_delay_alu instid0(VALU_DEP_1) | instskip(SKIP_1) | instid1(SALU_CYCLE_1)
	v_cmp_le_i32_e32 vcc_lo, s8, v1
	s_or_b32 s9, vcc_lo, s9
	s_and_not1_b32 exec_lo, exec_lo, s9
	s_cbranch_execz .LBB45_43
.LBB45_3:                               ; =>This Inner Loop Header: Depth=1
	v_ashrrev_i32_e32 v2, 31, v1
	s_mov_b32 s0, exec_lo
	s_delay_alu instid0(VALU_DEP_1) | instskip(NEXT) | instid1(VALU_DEP_1)
	v_lshlrev_b64 v[2:3], 2, v[1:2]
	v_add_co_u32 v16, vcc_lo, s4, v2
	s_delay_alu instid0(VALU_DEP_2) | instskip(SKIP_3) | instid1(VALU_DEP_1)
	v_add_co_ci_u32_e32 v17, vcc_lo, s5, v3, vcc_lo
	global_load_b64 v[16:17], v[16:17], off
	s_waitcnt vmcnt(0)
	v_sub_nc_u32_e32 v16, v17, v16
	v_cmpx_lt_i32_e32 16, v16
	s_xor_b32 s16, exec_lo, s0
	s_cbranch_execz .LBB45_41
; %bb.4:                                ;   in Loop: Header=BB45_3 Depth=1
	s_mov_b32 s0, exec_lo
	v_cmpx_lt_u32_e32 32, v16
	s_xor_b32 s17, exec_lo, s0
	s_cbranch_execz .LBB45_38
; %bb.5:                                ;   in Loop: Header=BB45_3 Depth=1
	s_mov_b32 s0, exec_lo
	v_cmpx_lt_u32_e32 0x100, v16
	;; [unrolled: 5-line block ×5, first 2 shown]
	s_xor_b32 s21, exec_lo, s0
	s_cbranch_execz .LBB45_26
; %bb.9:                                ;   in Loop: Header=BB45_3 Depth=1
	v_cmp_gt_u32_e32 vcc_lo, 0x1001, v16
	s_and_b32 s0, s11, vcc_lo
	s_delay_alu instid0(SALU_CYCLE_1) | instskip(NEXT) | instid1(SALU_CYCLE_1)
	s_and_saveexec_b32 s22, s0
	s_xor_b32 s0, exec_lo, s22
	s_cbranch_execz .LBB45_11
; %bb.10:                               ;   in Loop: Header=BB45_3 Depth=1
	ds_load_b32 v16, v4 offset:24
	v_add_co_u32 v2, vcc_lo, s6, v2
	v_add_co_ci_u32_e32 v3, vcc_lo, s7, v3, vcc_lo
	global_store_b32 v[2:3], v6, off
                                        ; implicit-def: $vgpr2_vgpr3
	s_waitcnt lgkmcnt(0)
	v_add_nc_u32_e32 v16, 1, v16
	ds_store_b32 v4, v16 offset:24
                                        ; implicit-def: $vgpr16
.LBB45_11:                              ;   in Loop: Header=BB45_3 Depth=1
	s_and_not1_saveexec_b32 s22, s0
	s_cbranch_execz .LBB45_25
; %bb.12:                               ;   in Loop: Header=BB45_3 Depth=1
	v_cmp_gt_u32_e32 vcc_lo, 0x2001, v16
	s_and_b32 s0, s12, vcc_lo
	s_delay_alu instid0(SALU_CYCLE_1) | instskip(NEXT) | instid1(SALU_CYCLE_1)
	s_and_saveexec_b32 s23, s0
	s_xor_b32 s0, exec_lo, s23
	s_cbranch_execz .LBB45_14
; %bb.13:                               ;   in Loop: Header=BB45_3 Depth=1
	ds_load_b32 v16, v4 offset:28
	v_add_co_u32 v2, vcc_lo, s6, v2
	v_add_co_ci_u32_e32 v3, vcc_lo, s7, v3, vcc_lo
	global_store_b32 v[2:3], v7, off
                                        ; implicit-def: $vgpr2_vgpr3
	s_waitcnt lgkmcnt(0)
	v_add_nc_u32_e32 v16, 1, v16
	ds_store_b32 v4, v16 offset:28
                                        ; implicit-def: $vgpr16
.LBB45_14:                              ;   in Loop: Header=BB45_3 Depth=1
	s_and_not1_saveexec_b32 s23, s0
	s_cbranch_execz .LBB45_24
; %bb.15:                               ;   in Loop: Header=BB45_3 Depth=1
	;; [unrolled: 20-line block ×3, first 2 shown]
	v_cmp_gt_u32_e32 vcc_lo, 0x8001, v16
	v_add_co_u32 v2, s0, s6, v2
	s_delay_alu instid0(VALU_DEP_1) | instskip(SKIP_1) | instid1(SALU_CYCLE_1)
	v_add_co_ci_u32_e64 v3, s0, s7, v3, s0
	s_and_b32 s0, s14, vcc_lo
	s_and_saveexec_b32 s25, s0
	s_delay_alu instid0(SALU_CYCLE_1)
	s_xor_b32 s0, exec_lo, s25
	s_cbranch_execz .LBB45_20
; %bb.19:                               ;   in Loop: Header=BB45_3 Depth=1
	ds_load_b32 v16, v4 offset:36
	global_store_b32 v[2:3], v9, off
                                        ; implicit-def: $vgpr2_vgpr3
	s_waitcnt lgkmcnt(0)
	v_add_nc_u32_e32 v16, 1, v16
	ds_store_b32 v4, v16 offset:36
.LBB45_20:                              ;   in Loop: Header=BB45_3 Depth=1
	s_and_not1_saveexec_b32 s0, s0
	s_cbranch_execz .LBB45_22
; %bb.21:                               ;   in Loop: Header=BB45_3 Depth=1
	ds_load_b32 v16, v4 offset:40
	global_store_b32 v[2:3], v10, off
	s_waitcnt lgkmcnt(0)
	v_add_nc_u32_e32 v16, 1, v16
	ds_store_b32 v4, v16 offset:40
.LBB45_22:                              ;   in Loop: Header=BB45_3 Depth=1
	s_or_b32 exec_lo, exec_lo, s0
.LBB45_23:                              ;   in Loop: Header=BB45_3 Depth=1
	s_delay_alu instid0(SALU_CYCLE_1)
	s_or_b32 exec_lo, exec_lo, s24
.LBB45_24:                              ;   in Loop: Header=BB45_3 Depth=1
	s_delay_alu instid0(SALU_CYCLE_1)
	s_or_b32 exec_lo, exec_lo, s23
.LBB45_25:                              ;   in Loop: Header=BB45_3 Depth=1
	s_delay_alu instid0(SALU_CYCLE_1)
	s_or_b32 exec_lo, exec_lo, s22
                                        ; implicit-def: $vgpr2_vgpr3
.LBB45_26:                              ;   in Loop: Header=BB45_3 Depth=1
	s_and_not1_saveexec_b32 s0, s21
	s_cbranch_execz .LBB45_28
; %bb.27:                               ;   in Loop: Header=BB45_3 Depth=1
	ds_load_b32 v16, v4 offset:20
	v_add_co_u32 v2, vcc_lo, s6, v2
	v_add_co_ci_u32_e32 v3, vcc_lo, s7, v3, vcc_lo
	global_store_b32 v[2:3], v11, off
	s_waitcnt lgkmcnt(0)
	v_add_nc_u32_e32 v16, 1, v16
	ds_store_b32 v4, v16 offset:20
.LBB45_28:                              ;   in Loop: Header=BB45_3 Depth=1
	s_or_b32 exec_lo, exec_lo, s0
                                        ; implicit-def: $vgpr2_vgpr3
.LBB45_29:                              ;   in Loop: Header=BB45_3 Depth=1
	s_and_not1_saveexec_b32 s0, s20
	s_cbranch_execz .LBB45_31
; %bb.30:                               ;   in Loop: Header=BB45_3 Depth=1
	ds_load_b32 v16, v4 offset:16
	v_add_co_u32 v2, vcc_lo, s6, v2
	v_add_co_ci_u32_e32 v3, vcc_lo, s7, v3, vcc_lo
	global_store_b32 v[2:3], v12, off
	s_waitcnt lgkmcnt(0)
	v_add_nc_u32_e32 v16, 1, v16
	ds_store_b32 v4, v16 offset:16
.LBB45_31:                              ;   in Loop: Header=BB45_3 Depth=1
	s_or_b32 exec_lo, exec_lo, s0
                                        ; implicit-def: $vgpr2_vgpr3
.LBB45_32:                              ;   in Loop: Header=BB45_3 Depth=1
	s_and_not1_saveexec_b32 s0, s19
	s_cbranch_execz .LBB45_34
; %bb.33:                               ;   in Loop: Header=BB45_3 Depth=1
	ds_load_b32 v16, v4 offset:12
	v_add_co_u32 v2, vcc_lo, s6, v2
	v_add_co_ci_u32_e32 v3, vcc_lo, s7, v3, vcc_lo
	global_store_b32 v[2:3], v13, off
	s_waitcnt lgkmcnt(0)
	v_add_nc_u32_e32 v16, 1, v16
	ds_store_b32 v4, v16 offset:12
.LBB45_34:                              ;   in Loop: Header=BB45_3 Depth=1
	s_or_b32 exec_lo, exec_lo, s0
                                        ; implicit-def: $vgpr2_vgpr3
.LBB45_35:                              ;   in Loop: Header=BB45_3 Depth=1
	s_and_not1_saveexec_b32 s0, s18
	s_cbranch_execz .LBB45_37
; %bb.36:                               ;   in Loop: Header=BB45_3 Depth=1
	ds_load_b32 v16, v4 offset:8
	v_add_co_u32 v2, vcc_lo, s6, v2
	v_add_co_ci_u32_e32 v3, vcc_lo, s7, v3, vcc_lo
	global_store_b32 v[2:3], v14, off
	s_waitcnt lgkmcnt(0)
	v_add_nc_u32_e32 v16, 1, v16
	ds_store_b32 v4, v16 offset:8
.LBB45_37:                              ;   in Loop: Header=BB45_3 Depth=1
	s_or_b32 exec_lo, exec_lo, s0
                                        ; implicit-def: $vgpr2_vgpr3
.LBB45_38:                              ;   in Loop: Header=BB45_3 Depth=1
	s_and_not1_saveexec_b32 s0, s17
	s_cbranch_execz .LBB45_40
; %bb.39:                               ;   in Loop: Header=BB45_3 Depth=1
	ds_load_b32 v16, v4 offset:4
	v_add_co_u32 v2, vcc_lo, s6, v2
	v_add_co_ci_u32_e32 v3, vcc_lo, s7, v3, vcc_lo
	global_store_b32 v[2:3], v15, off
	s_waitcnt lgkmcnt(0)
	v_add_nc_u32_e32 v16, 1, v16
	ds_store_b32 v4, v16 offset:4
.LBB45_40:                              ;   in Loop: Header=BB45_3 Depth=1
	s_or_b32 exec_lo, exec_lo, s0
                                        ; implicit-def: $vgpr2_vgpr3
.LBB45_41:                              ;   in Loop: Header=BB45_3 Depth=1
	s_and_not1_saveexec_b32 s0, s16
	s_cbranch_execz .LBB45_2
; %bb.42:                               ;   in Loop: Header=BB45_3 Depth=1
	ds_load_b32 v16, v4
	v_add_co_u32 v2, vcc_lo, s6, v2
	v_add_co_ci_u32_e32 v3, vcc_lo, s7, v3, vcc_lo
	global_store_b32 v[2:3], v5, off
	s_waitcnt lgkmcnt(0)
	v_add_nc_u32_e32 v16, 1, v16
	ds_store_b32 v4, v16
	s_branch .LBB45_2
.LBB45_43:
	s_or_b32 exec_lo, exec_lo, s10
	s_delay_alu instid0(SALU_CYCLE_1)
	s_mov_b32 s0, exec_lo
	s_waitcnt lgkmcnt(0)
	s_waitcnt_vscnt null, 0x0
	s_barrier
	buffer_gl0_inv
	s_barrier
	buffer_gl0_inv
	s_barrier
	buffer_gl0_inv
	v_cmpx_gt_u32_e32 0x80, v0
	s_cbranch_execz .LBB45_45
; %bb.44:
	v_add_nc_u32_e32 v1, 0x1600, v4
	v_add_nc_u32_e32 v3, 0x1608, v4
	;; [unrolled: 1-line block ×5, first 2 shown]
	ds_load_2addr_b32 v[1:2], v1 offset1:1
	ds_load_2addr_b32 v[5:6], v3 offset1:1
	;; [unrolled: 1-line block ×3, first 2 shown]
	v_add_nc_u32_e32 v3, 0x1618, v4
	ds_load_2addr_b32 v[9:10], v4 offset1:1
	ds_load_2addr_b32 v[11:12], v4 offset0:2 offset1:3
	ds_load_2addr_b32 v[13:14], v4 offset0:4 offset1:5
	ds_load_2addr_b32 v[15:16], v4 offset0:6 offset1:7
	ds_load_2addr_b32 v[17:18], v3 offset1:1
	ds_load_2addr_b32 v[19:20], v19 offset1:1
	ds_load_2addr_b32 v[21:22], v4 offset0:8 offset1:9
	ds_load_2addr_stride64_b32 v[23:24], v23 offset1:22
	s_waitcnt lgkmcnt(6)
	v_add_nc_u32_e32 v3, v11, v5
	v_add_nc_u32_e32 v1, v9, v1
	;; [unrolled: 1-line block ×4, first 2 shown]
	s_waitcnt lgkmcnt(5)
	v_add_nc_u32_e32 v6, v13, v7
	v_add_nc_u32_e32 v7, v14, v8
	s_waitcnt lgkmcnt(3)
	v_add_nc_u32_e32 v8, v15, v17
	v_add_nc_u32_e32 v9, v16, v18
	;; [unrolled: 3-line block ×3, first 2 shown]
	s_waitcnt lgkmcnt(0)
	v_add_nc_u32_e32 v12, v23, v24
	ds_store_2addr_b32 v4, v1, v2 offset1:1
	ds_store_2addr_b32 v4, v3, v5 offset0:2 offset1:3
	ds_store_2addr_b32 v4, v6, v7 offset0:4 offset1:5
	;; [unrolled: 1-line block ×4, first 2 shown]
	ds_store_b32 v4, v12 offset:40
.LBB45_45:
	s_or_b32 exec_lo, exec_lo, s0
	s_delay_alu instid0(SALU_CYCLE_1)
	s_mov_b32 s0, exec_lo
	s_waitcnt lgkmcnt(0)
	s_barrier
	buffer_gl0_inv
	v_cmpx_gt_u32_e32 64, v0
	s_cbranch_execz .LBB45_47
; %bb.46:
	v_add_nc_u32_e32 v1, 0xb00, v4
	v_add_nc_u32_e32 v3, 0xb08, v4
	;; [unrolled: 1-line block ×5, first 2 shown]
	ds_load_2addr_b32 v[1:2], v1 offset1:1
	ds_load_2addr_b32 v[5:6], v3 offset1:1
	;; [unrolled: 1-line block ×3, first 2 shown]
	v_add_nc_u32_e32 v3, 0xb18, v4
	ds_load_2addr_b32 v[9:10], v4 offset1:1
	ds_load_2addr_b32 v[11:12], v4 offset0:2 offset1:3
	ds_load_2addr_b32 v[13:14], v4 offset0:4 offset1:5
	;; [unrolled: 1-line block ×3, first 2 shown]
	ds_load_2addr_b32 v[17:18], v3 offset1:1
	ds_load_2addr_b32 v[19:20], v19 offset1:1
	ds_load_2addr_b32 v[21:22], v4 offset0:8 offset1:9
	ds_load_2addr_stride64_b32 v[23:24], v23 offset1:11
	s_waitcnt lgkmcnt(6)
	v_add_nc_u32_e32 v3, v11, v5
	v_add_nc_u32_e32 v1, v9, v1
	;; [unrolled: 1-line block ×4, first 2 shown]
	s_waitcnt lgkmcnt(5)
	v_add_nc_u32_e32 v6, v13, v7
	v_add_nc_u32_e32 v7, v14, v8
	s_waitcnt lgkmcnt(3)
	v_add_nc_u32_e32 v8, v15, v17
	v_add_nc_u32_e32 v9, v16, v18
	;; [unrolled: 3-line block ×3, first 2 shown]
	s_waitcnt lgkmcnt(0)
	v_add_nc_u32_e32 v12, v23, v24
	ds_store_2addr_b32 v4, v1, v2 offset1:1
	ds_store_2addr_b32 v4, v3, v5 offset0:2 offset1:3
	ds_store_2addr_b32 v4, v6, v7 offset0:4 offset1:5
	;; [unrolled: 1-line block ×4, first 2 shown]
	ds_store_b32 v4, v12 offset:40
.LBB45_47:
	s_or_b32 exec_lo, exec_lo, s0
	s_delay_alu instid0(SALU_CYCLE_1)
	s_mov_b32 s0, exec_lo
	s_waitcnt lgkmcnt(0)
	s_barrier
	buffer_gl0_inv
	v_cmpx_gt_u32_e32 32, v0
	s_cbranch_execz .LBB45_49
; %bb.48:
	v_add_nc_u32_e32 v3, 0x580, v4
	v_add_nc_u32_e32 v9, 0x588, v4
	ds_load_2addr_b32 v[1:2], v4 offset1:1
	ds_load_2addr_b32 v[5:6], v4 offset0:2 offset1:3
	v_add_nc_u32_e32 v11, 0x590, v4
	v_add_nc_u32_e32 v19, 0x5a0, v4
	ds_load_2addr_b32 v[7:8], v3 offset1:1
	v_add_nc_u32_e32 v3, 0x598, v4
	ds_load_2addr_b32 v[9:10], v9 offset1:1
	ds_load_2addr_b32 v[11:12], v11 offset1:1
	ds_load_2addr_b32 v[13:14], v4 offset0:4 offset1:5
	ds_load_2addr_b32 v[15:16], v4 offset0:6 offset1:7
	ds_load_2addr_b32 v[17:18], v3 offset1:1
	ds_load_2addr_b32 v[19:20], v19 offset1:1
	ds_load_2addr_b32 v[21:22], v4 offset0:8 offset1:9
	ds_load_b32 v3, v4 offset:1448
	ds_load_b32 v23, v4 offset:40
	s_waitcnt lgkmcnt(8)
	v_add_nc_u32_e32 v5, v5, v9
	v_add_nc_u32_e32 v6, v6, v10
	s_waitcnt lgkmcnt(4)
	v_add_nc_u32_e32 v9, v15, v17
	v_add_nc_u32_e32 v1, v1, v7
	;; [unrolled: 1-line block ×6, first 2 shown]
	s_waitcnt lgkmcnt(2)
	v_add_nc_u32_e32 v11, v21, v19
	v_add_nc_u32_e32 v12, v22, v20
	s_waitcnt lgkmcnt(0)
	v_add_nc_u32_e32 v3, v23, v3
	ds_store_2addr_b32 v4, v1, v2 offset1:1
	ds_store_2addr_b32 v4, v5, v6 offset0:2 offset1:3
	ds_store_2addr_b32 v4, v7, v8 offset0:4 offset1:5
	;; [unrolled: 1-line block ×4, first 2 shown]
	ds_store_b32 v4, v3 offset:40
.LBB45_49:
	s_or_b32 exec_lo, exec_lo, s0
	s_delay_alu instid0(SALU_CYCLE_1)
	s_mov_b32 s0, exec_lo
	s_waitcnt lgkmcnt(0)
	s_barrier
	buffer_gl0_inv
	v_cmpx_gt_u32_e32 16, v0
	s_cbranch_execz .LBB45_51
; %bb.50:
	ds_load_2addr_b32 v[1:2], v4 offset0:176 offset1:177
	ds_load_2addr_b32 v[5:6], v4 offset1:1
	ds_load_2addr_b32 v[7:8], v4 offset0:2 offset1:3
	ds_load_2addr_b32 v[9:10], v4 offset0:178 offset1:179
	ds_load_2addr_b32 v[11:12], v4 offset0:180 offset1:181
	ds_load_2addr_b32 v[13:14], v4 offset0:4 offset1:5
	ds_load_2addr_b32 v[15:16], v4 offset0:6 offset1:7
	ds_load_2addr_b32 v[17:18], v4 offset0:182 offset1:183
	ds_load_2addr_b32 v[19:20], v4 offset0:184 offset1:185
	ds_load_2addr_b32 v[21:22], v4 offset0:8 offset1:9
	ds_load_2addr_b32 v[23:24], v4 offset0:10 offset1:186
	s_waitcnt lgkmcnt(9)
	v_add_nc_u32_e32 v1, v5, v1
	v_add_nc_u32_e32 v2, v6, v2
	s_waitcnt lgkmcnt(7)
	v_add_nc_u32_e32 v3, v7, v9
	v_add_nc_u32_e32 v5, v8, v10
	s_waitcnt lgkmcnt(5)
	v_add_nc_u32_e32 v6, v13, v11
	v_add_nc_u32_e32 v7, v14, v12
	s_waitcnt lgkmcnt(3)
	v_add_nc_u32_e32 v8, v15, v17
	v_add_nc_u32_e32 v9, v16, v18
	s_waitcnt lgkmcnt(1)
	v_add_nc_u32_e32 v10, v21, v19
	v_add_nc_u32_e32 v11, v22, v20
	s_waitcnt lgkmcnt(0)
	v_add_nc_u32_e32 v12, v23, v24
	ds_store_2addr_b32 v4, v1, v2 offset1:1
	ds_store_2addr_b32 v4, v3, v5 offset0:2 offset1:3
	ds_store_2addr_b32 v4, v6, v7 offset0:4 offset1:5
	ds_store_2addr_b32 v4, v8, v9 offset0:6 offset1:7
	ds_store_2addr_b32 v4, v10, v11 offset0:8 offset1:9
	ds_store_b32 v4, v12 offset:40
.LBB45_51:
	s_or_b32 exec_lo, exec_lo, s0
	s_delay_alu instid0(SALU_CYCLE_1)
	s_mov_b32 s0, exec_lo
	s_waitcnt lgkmcnt(0)
	s_barrier
	buffer_gl0_inv
	v_cmpx_gt_u32_e32 8, v0
	s_cbranch_execz .LBB45_53
; %bb.52:
	ds_load_2addr_b32 v[1:2], v4 offset0:88 offset1:89
	ds_load_2addr_b32 v[5:6], v4 offset1:1
	ds_load_2addr_b32 v[7:8], v4 offset0:2 offset1:3
	ds_load_2addr_b32 v[9:10], v4 offset0:90 offset1:91
	ds_load_2addr_b32 v[11:12], v4 offset0:92 offset1:93
	ds_load_2addr_b32 v[13:14], v4 offset0:4 offset1:5
	ds_load_2addr_b32 v[15:16], v4 offset0:6 offset1:7
	ds_load_2addr_b32 v[17:18], v4 offset0:94 offset1:95
	ds_load_2addr_b32 v[19:20], v4 offset0:96 offset1:97
	ds_load_2addr_b32 v[21:22], v4 offset0:8 offset1:9
	ds_load_2addr_b32 v[23:24], v4 offset0:10 offset1:98
	s_waitcnt lgkmcnt(9)
	v_add_nc_u32_e32 v1, v5, v1
	v_add_nc_u32_e32 v2, v6, v2
	s_waitcnt lgkmcnt(7)
	v_add_nc_u32_e32 v3, v7, v9
	v_add_nc_u32_e32 v5, v8, v10
	s_waitcnt lgkmcnt(5)
	v_add_nc_u32_e32 v6, v13, v11
	v_add_nc_u32_e32 v7, v14, v12
	s_waitcnt lgkmcnt(3)
	v_add_nc_u32_e32 v8, v15, v17
	v_add_nc_u32_e32 v9, v16, v18
	s_waitcnt lgkmcnt(1)
	v_add_nc_u32_e32 v10, v21, v19
	v_add_nc_u32_e32 v11, v22, v20
	s_waitcnt lgkmcnt(0)
	v_add_nc_u32_e32 v12, v23, v24
	ds_store_2addr_b32 v4, v1, v2 offset1:1
	ds_store_2addr_b32 v4, v3, v5 offset0:2 offset1:3
	ds_store_2addr_b32 v4, v6, v7 offset0:4 offset1:5
	ds_store_2addr_b32 v4, v8, v9 offset0:6 offset1:7
	ds_store_2addr_b32 v4, v10, v11 offset0:8 offset1:9
	ds_store_b32 v4, v12 offset:40
.LBB45_53:
	;; [unrolled: 44-line block ×4, first 2 shown]
	s_or_b32 exec_lo, exec_lo, s0
	s_delay_alu instid0(SALU_CYCLE_1)
	s_mov_b32 s0, exec_lo
	s_waitcnt lgkmcnt(0)
	s_barrier
	buffer_gl0_inv
	v_cmpx_eq_u32_e32 0, v0
	s_cbranch_execz .LBB45_59
; %bb.58:
	v_mov_b32_e32 v23, 0
	ds_load_b128 v[1:4], v23
	ds_load_b128 v[5:8], v23 offset:32
	ds_load_b128 v[9:12], v23 offset:48
	;; [unrolled: 1-line block ×4, first 2 shown]
	ds_load_b64 v[21:22], v23 offset:80
	s_waitcnt lgkmcnt(4)
	v_add_nc_u32_e32 v1, v1, v8
	s_waitcnt lgkmcnt(3)
	v_add_nc_u32_e32 v2, v2, v9
	v_add_nc_u32_e32 v3, v3, v10
	;; [unrolled: 1-line block ×3, first 2 shown]
	s_waitcnt lgkmcnt(2)
	v_add_nc_u32_e32 v8, v13, v12
	s_waitcnt lgkmcnt(1)
	v_add_nc_u32_e32 v9, v14, v17
	v_add_nc_u32_e32 v10, v15, v18
	;; [unrolled: 1-line block ×4, first 2 shown]
	s_waitcnt lgkmcnt(0)
	v_add_nc_u32_e32 v6, v6, v21
	v_add_nc_u32_e32 v7, v7, v22
	ds_store_b128 v23, v[1:4]
	ds_store_b128 v23, v[8:11] offset:16
	ds_store_b96 v23, v[5:7] offset:32
.LBB45_59:
	s_or_b32 exec_lo, exec_lo, s0
	s_waitcnt lgkmcnt(0)
	s_barrier
	buffer_gl0_inv
	s_mov_b32 s0, exec_lo
	v_cmpx_gt_u32_e32 11, v0
	s_cbranch_execz .LBB45_61
; %bb.60:
	v_lshlrev_b32_e32 v3, 2, v0
	v_mad_u64_u32 v[1:2], null, s15, 11, v[0:1]
	v_mov_b32_e32 v2, 0
	ds_load_b32 v3, v3
	v_lshlrev_b64 v[0:1], 2, v[1:2]
	s_delay_alu instid0(VALU_DEP_1) | instskip(NEXT) | instid1(VALU_DEP_2)
	v_add_co_u32 v0, vcc_lo, s2, v0
	v_add_co_ci_u32_e32 v1, vcc_lo, s3, v1, vcc_lo
	s_waitcnt lgkmcnt(0)
	global_store_b32 v[0:1], v3, off
.LBB45_61:
	s_nop 0
	s_sendmsg sendmsg(MSG_DEALLOC_VGPRS)
	s_endpgm
	.section	.rodata,"a",@progbits
	.p2align	6, 0x0
	.amdhsa_kernel _ZN9rocsparseL26csrgemm_group_reduce_part2ILj256ELj11E21rocsparse_complex_numIfEiiEEvT3_PKT2_PS3_Pij
		.amdhsa_group_segment_fixed_size 11264
		.amdhsa_private_segment_fixed_size 0
		.amdhsa_kernarg_size 296
		.amdhsa_user_sgpr_count 15
		.amdhsa_user_sgpr_dispatch_ptr 0
		.amdhsa_user_sgpr_queue_ptr 0
		.amdhsa_user_sgpr_kernarg_segment_ptr 1
		.amdhsa_user_sgpr_dispatch_id 0
		.amdhsa_user_sgpr_private_segment_size 0
		.amdhsa_wavefront_size32 1
		.amdhsa_uses_dynamic_stack 0
		.amdhsa_enable_private_segment 0
		.amdhsa_system_sgpr_workgroup_id_x 1
		.amdhsa_system_sgpr_workgroup_id_y 0
		.amdhsa_system_sgpr_workgroup_id_z 0
		.amdhsa_system_sgpr_workgroup_info 0
		.amdhsa_system_vgpr_workitem_id 0
		.amdhsa_next_free_vgpr 25
		.amdhsa_next_free_sgpr 26
		.amdhsa_reserve_vcc 1
		.amdhsa_float_round_mode_32 0
		.amdhsa_float_round_mode_16_64 0
		.amdhsa_float_denorm_mode_32 3
		.amdhsa_float_denorm_mode_16_64 3
		.amdhsa_dx10_clamp 1
		.amdhsa_ieee_mode 1
		.amdhsa_fp16_overflow 0
		.amdhsa_workgroup_processor_mode 1
		.amdhsa_memory_ordered 1
		.amdhsa_forward_progress 0
		.amdhsa_shared_vgpr_count 0
		.amdhsa_exception_fp_ieee_invalid_op 0
		.amdhsa_exception_fp_denorm_src 0
		.amdhsa_exception_fp_ieee_div_zero 0
		.amdhsa_exception_fp_ieee_overflow 0
		.amdhsa_exception_fp_ieee_underflow 0
		.amdhsa_exception_fp_ieee_inexact 0
		.amdhsa_exception_int_div_zero 0
	.end_amdhsa_kernel
	.section	.text._ZN9rocsparseL26csrgemm_group_reduce_part2ILj256ELj11E21rocsparse_complex_numIfEiiEEvT3_PKT2_PS3_Pij,"axG",@progbits,_ZN9rocsparseL26csrgemm_group_reduce_part2ILj256ELj11E21rocsparse_complex_numIfEiiEEvT3_PKT2_PS3_Pij,comdat
.Lfunc_end45:
	.size	_ZN9rocsparseL26csrgemm_group_reduce_part2ILj256ELj11E21rocsparse_complex_numIfEiiEEvT3_PKT2_PS3_Pij, .Lfunc_end45-_ZN9rocsparseL26csrgemm_group_reduce_part2ILj256ELj11E21rocsparse_complex_numIfEiiEEvT3_PKT2_PS3_Pij
                                        ; -- End function
	.section	.AMDGPU.csdata,"",@progbits
; Kernel info:
; codeLenInByte = 3292
; NumSgprs: 28
; NumVgprs: 25
; ScratchSize: 0
; MemoryBound: 0
; FloatMode: 240
; IeeeMode: 1
; LDSByteSize: 11264 bytes/workgroup (compile time only)
; SGPRBlocks: 3
; VGPRBlocks: 3
; NumSGPRsForWavesPerEU: 28
; NumVGPRsForWavesPerEU: 25
; Occupancy: 16
; WaveLimiterHint : 0
; COMPUTE_PGM_RSRC2:SCRATCH_EN: 0
; COMPUTE_PGM_RSRC2:USER_SGPR: 15
; COMPUTE_PGM_RSRC2:TRAP_HANDLER: 0
; COMPUTE_PGM_RSRC2:TGID_X_EN: 1
; COMPUTE_PGM_RSRC2:TGID_Y_EN: 0
; COMPUTE_PGM_RSRC2:TGID_Z_EN: 0
; COMPUTE_PGM_RSRC2:TIDIG_COMP_CNT: 0
	.section	.text._ZN9rocsparseL23csrgemm_fill_wf_per_rowILj256ELj8ELj16ELj137Eii21rocsparse_complex_numIfEEEvT4_S3_PKS3_S5_NS_24const_host_device_scalarIT5_EEPKT3_S5_PKS7_SB_S5_SD_S8_SB_S5_SD_SB_PS3_PS7_21rocsparse_index_base_SG_SG_SG_bbb,"axG",@progbits,_ZN9rocsparseL23csrgemm_fill_wf_per_rowILj256ELj8ELj16ELj137Eii21rocsparse_complex_numIfEEEvT4_S3_PKS3_S5_NS_24const_host_device_scalarIT5_EEPKT3_S5_PKS7_SB_S5_SD_S8_SB_S5_SD_SB_PS3_PS7_21rocsparse_index_base_SG_SG_SG_bbb,comdat
	.globl	_ZN9rocsparseL23csrgemm_fill_wf_per_rowILj256ELj8ELj16ELj137Eii21rocsparse_complex_numIfEEEvT4_S3_PKS3_S5_NS_24const_host_device_scalarIT5_EEPKT3_S5_PKS7_SB_S5_SD_S8_SB_S5_SD_SB_PS3_PS7_21rocsparse_index_base_SG_SG_SG_bbb ; -- Begin function _ZN9rocsparseL23csrgemm_fill_wf_per_rowILj256ELj8ELj16ELj137Eii21rocsparse_complex_numIfEEEvT4_S3_PKS3_S5_NS_24const_host_device_scalarIT5_EEPKT3_S5_PKS7_SB_S5_SD_S8_SB_S5_SD_SB_PS3_PS7_21rocsparse_index_base_SG_SG_SG_bbb
	.p2align	8
	.type	_ZN9rocsparseL23csrgemm_fill_wf_per_rowILj256ELj8ELj16ELj137Eii21rocsparse_complex_numIfEEEvT4_S3_PKS3_S5_NS_24const_host_device_scalarIT5_EEPKT3_S5_PKS7_SB_S5_SD_S8_SB_S5_SD_SB_PS3_PS7_21rocsparse_index_base_SG_SG_SG_bbb,@function
_ZN9rocsparseL23csrgemm_fill_wf_per_rowILj256ELj8ELj16ELj137Eii21rocsparse_complex_numIfEEEvT4_S3_PKS3_S5_NS_24const_host_device_scalarIT5_EEPKT3_S5_PKS7_SB_S5_SD_S8_SB_S5_SD_SB_PS3_PS7_21rocsparse_index_base_SG_SG_SG_bbb: ; @_ZN9rocsparseL23csrgemm_fill_wf_per_rowILj256ELj8ELj16ELj137Eii21rocsparse_complex_numIfEEEvT4_S3_PKS3_S5_NS_24const_host_device_scalarIT5_EEPKT3_S5_PKS7_SB_S5_SD_S8_SB_S5_SD_SB_PS3_PS7_21rocsparse_index_base_SG_SG_SG_bbb
; %bb.0:
	s_clause 0x6
	s_load_b32 s14, s[0:1], 0x98
	s_load_b256 s[4:11], s[0:1], 0x60
	s_load_b256 s[16:23], s[0:1], 0x40
	s_load_b128 s[40:43], s[0:1], 0x8
	s_load_b256 s[24:31], s[0:1], 0x20
	s_load_b64 s[2:3], s[0:1], 0x80
	s_load_b128 s[36:39], s[0:1], 0x88
	s_mov_b32 s13, 0
	s_mov_b32 s33, 0
	s_waitcnt lgkmcnt(0)
	s_bitcmp1_b32 s14, 0
	s_cselect_b32 s35, -1, 0
	s_bitcmp1_b32 s14, 16
	s_cselect_b32 s12, -1, 0
	s_delay_alu instid0(SALU_CYCLE_1) | instskip(SKIP_2) | instid1(VALU_DEP_1)
	s_xor_b32 s34, s12, -1
	s_bitcmp0_b32 s14, 0
	v_cndmask_b32_e64 v1, 0, 1, s34
	v_cmp_ne_u32_e32 vcc_lo, 1, v1
	s_cbranch_scc1 .LBB46_5
; %bb.1:
	s_load_b64 s[12:13], s[0:1], 0x18
	s_and_b32 vcc_lo, exec_lo, vcc_lo
	s_waitcnt lgkmcnt(0)
	s_mov_b32 s33, s12
	s_cbranch_vccnz .LBB46_3
; %bb.2:
	s_load_b32 s33, s[12:13], 0x0
.LBB46_3:
	s_and_not1_b32 vcc_lo, exec_lo, s34
	s_cbranch_vccnz .LBB46_5
; %bb.4:
	s_load_b32 s13, s[12:13], 0x4
.LBB46_5:
	s_bitcmp1_b32 s14, 8
	s_cselect_b32 s34, -1, 0
	s_bfe_u32 s12, s14, 0x10008
	s_mov_b32 s14, 0
	s_cmp_eq_u32 s12, 0
	s_mov_b32 s12, 0
	s_cbranch_scc1 .LBB46_11
; %bb.6:
	v_cmp_ne_u32_e32 vcc_lo, 1, v1
	s_mov_b32 s12, s20
	s_cbranch_vccnz .LBB46_8
; %bb.7:
	s_load_b32 s12, s[20:21], 0x0
.LBB46_8:
	v_cmp_ne_u32_e32 vcc_lo, 1, v1
	s_cbranch_vccnz .LBB46_10
; %bb.9:
	s_load_b32 s21, s[20:21], 0x4
.LBB46_10:
	s_waitcnt lgkmcnt(0)
	s_mov_b32 s14, s21
.LBB46_11:
	s_load_b64 s[0:1], s[0:1], 0x0
	v_and_b32_e32 v11, 7, v0
	v_lshrrev_b32_e32 v2, 3, v0
	v_mov_b32_e32 v0, 0
	s_mov_b32 s20, 0
	s_delay_alu instid0(VALU_DEP_3) | instskip(SKIP_2) | instid1(VALU_DEP_3)
	v_lshlrev_b32_e32 v4, 3, v11
	v_lshlrev_b32_e32 v3, 2, v11
	v_or_b32_e32 v8, -8, v11
	v_lshl_or_b32 v7, v2, 7, v4
	v_lshlrev_b32_e32 v1, 6, v2
	s_delay_alu instid0(VALU_DEP_2) | instskip(NEXT) | instid1(VALU_DEP_2)
	v_dual_mov_b32 v9, v8 :: v_dual_mov_b32 v4, v7
	v_or3_b32 v6, v1, v3, 0x1000
	v_mov_b32_e32 v1, v0
	s_waitcnt lgkmcnt(0)
	v_mov_b32_e32 v5, s1
	s_delay_alu instid0(VALU_DEP_3)
	v_mov_b32_e32 v3, v6
.LBB46_12:                              ; =>This Inner Loop Header: Depth=1
	v_add_co_u32 v9, s21, v9, 8
	s_delay_alu instid0(VALU_DEP_1)
	s_xor_b32 s21, s21, -1
	ds_store_b32 v3, v5
	ds_store_b64 v4, v[0:1]
	v_add_nc_u32_e32 v4, 64, v4
	v_add_nc_u32_e32 v3, 32, v3
	s_and_b32 s21, exec_lo, s21
	s_delay_alu instid0(SALU_CYCLE_1) | instskip(NEXT) | instid1(SALU_CYCLE_1)
	s_or_b32 s20, s21, s20
	s_and_not1_b32 exec_lo, exec_lo, s20
	s_cbranch_execnz .LBB46_12
; %bb.13:
	s_or_b32 exec_lo, exec_lo, s20
	s_lshl_b32 s15, s15, 5
	s_waitcnt lgkmcnt(0)
	buffer_gl0_inv
	v_and_or_b32 v0, 0x1fffffe0, s15, v2
	s_delay_alu instid0(VALU_DEP_1)
	v_cmp_gt_i32_e32 vcc_lo, s0, v0
	s_and_saveexec_b32 s0, vcc_lo
	s_cbranch_execz .LBB46_57
; %bb.14:
	s_cmp_eq_u64 s[42:43], 0
	s_cbranch_scc1 .LBB46_16
; %bb.15:
	s_load_b32 s0, s[40:41], 0x0
	s_waitcnt lgkmcnt(0)
	v_add_nc_u32_e32 v0, s0, v0
	s_delay_alu instid0(VALU_DEP_1) | instskip(NEXT) | instid1(VALU_DEP_1)
	v_ashrrev_i32_e32 v1, 31, v0
	v_lshlrev_b64 v[0:1], 2, v[0:1]
	s_delay_alu instid0(VALU_DEP_1) | instskip(NEXT) | instid1(VALU_DEP_2)
	v_add_co_u32 v0, vcc_lo, s42, v0
	v_add_co_ci_u32_e32 v1, vcc_lo, s43, v1, vcc_lo
	global_load_b32 v0, v[0:1], off
.LBB46_16:
	s_waitcnt vmcnt(0)
	v_ashrrev_i32_e32 v1, 31, v0
	v_lshl_or_b32 v9, v2, 6, 0x1000
	v_lshlrev_b32_e32 v10, 7, v2
	s_and_not1_b32 vcc_lo, exec_lo, s35
	s_delay_alu instid0(VALU_DEP_3)
	v_lshlrev_b64 v[0:1], 2, v[0:1]
	s_cbranch_vccnz .LBB46_36
; %bb.17:
	s_delay_alu instid0(VALU_DEP_1) | instskip(NEXT) | instid1(VALU_DEP_2)
	v_add_co_u32 v2, vcc_lo, s24, v0
	v_add_co_ci_u32_e32 v3, vcc_lo, s25, v1, vcc_lo
	v_subrev_nc_u32_e32 v4, s36, v11
	s_mov_b32 s0, exec_lo
	global_load_b64 v[2:3], v[2:3], off
	s_waitcnt vmcnt(0)
	v_subrev_nc_u32_e32 v12, s36, v3
	v_add_nc_u32_e32 v2, v2, v4
	s_delay_alu instid0(VALU_DEP_1)
	v_cmpx_lt_i32_e64 v2, v12
	s_cbranch_execz .LBB46_35
; %bb.18:
	s_mov_b32 s15, 0
	s_branch .LBB46_20
.LBB46_19:                              ;   in Loop: Header=BB46_20 Depth=1
	s_or_b32 exec_lo, exec_lo, s20
	v_add_nc_u32_e32 v2, 8, v2
	s_delay_alu instid0(VALU_DEP_1) | instskip(SKIP_1) | instid1(SALU_CYCLE_1)
	v_cmp_ge_i32_e32 vcc_lo, v2, v12
	s_or_b32 s15, vcc_lo, s15
	s_and_not1_b32 exec_lo, exec_lo, s15
	s_cbranch_execz .LBB46_35
.LBB46_20:                              ; =>This Loop Header: Depth=1
                                        ;     Child Loop BB46_23 Depth 2
                                        ;       Child Loop BB46_25 Depth 3
	v_ashrrev_i32_e32 v3, 31, v2
	s_mov_b32 s20, exec_lo
	s_delay_alu instid0(VALU_DEP_1) | instskip(NEXT) | instid1(VALU_DEP_1)
	v_lshlrev_b64 v[4:5], 2, v[2:3]
	v_add_co_u32 v4, vcc_lo, s26, v4
	s_delay_alu instid0(VALU_DEP_2) | instskip(SKIP_3) | instid1(VALU_DEP_1)
	v_add_co_ci_u32_e32 v5, vcc_lo, s27, v5, vcc_lo
	global_load_b32 v4, v[4:5], off
	s_waitcnt vmcnt(0)
	v_subrev_nc_u32_e32 v4, s36, v4
	v_ashrrev_i32_e32 v5, 31, v4
	s_delay_alu instid0(VALU_DEP_1) | instskip(NEXT) | instid1(VALU_DEP_1)
	v_lshlrev_b64 v[4:5], 2, v[4:5]
	v_add_co_u32 v4, vcc_lo, s30, v4
	s_delay_alu instid0(VALU_DEP_2)
	v_add_co_ci_u32_e32 v5, vcc_lo, s31, v5, vcc_lo
	global_load_b64 v[4:5], v[4:5], off
	s_waitcnt vmcnt(0)
	v_cmpx_lt_i32_e64 v4, v5
	s_cbranch_execz .LBB46_19
; %bb.21:                               ;   in Loop: Header=BB46_20 Depth=1
	v_lshlrev_b64 v[13:14], 3, v[2:3]
	v_subrev_nc_u32_e32 v5, s37, v5
	v_subrev_nc_u32_e32 v3, s37, v4
	s_mov_b32 s21, 0
	s_delay_alu instid0(VALU_DEP_3) | instskip(NEXT) | instid1(VALU_DEP_4)
	v_add_co_u32 v13, vcc_lo, s28, v13
	v_add_co_ci_u32_e32 v14, vcc_lo, s29, v14, vcc_lo
	global_load_b64 v[15:16], v[13:14], off
	s_waitcnt vmcnt(0)
	v_mul_f32_e64 v13, v16, -s13
	s_delay_alu instid0(VALU_DEP_1) | instskip(NEXT) | instid1(VALU_DEP_1)
	v_dual_mul_f32 v14, s33, v16 :: v_dual_fmac_f32 v13, s33, v15
	v_fmac_f32_e32 v14, s13, v15
	s_branch .LBB46_23
.LBB46_22:                              ;   in Loop: Header=BB46_23 Depth=2
	s_or_b32 exec_lo, exec_lo, s24
	v_add_nc_u32_e32 v3, 1, v3
	s_delay_alu instid0(VALU_DEP_1) | instskip(SKIP_1) | instid1(SALU_CYCLE_1)
	v_cmp_ge_i32_e32 vcc_lo, v3, v5
	s_or_b32 s21, vcc_lo, s21
	s_and_not1_b32 exec_lo, exec_lo, s21
	s_cbranch_execz .LBB46_19
.LBB46_23:                              ;   Parent Loop BB46_20 Depth=1
                                        ; =>  This Loop Header: Depth=2
                                        ;       Child Loop BB46_25 Depth 3
	v_ashrrev_i32_e32 v4, 31, v3
	s_mov_b32 s24, 0
	s_delay_alu instid0(VALU_DEP_1) | instskip(SKIP_1) | instid1(VALU_DEP_2)
	v_lshlrev_b64 v[15:16], 2, v[3:4]
	v_lshlrev_b64 v[17:18], 3, v[3:4]
	v_add_co_u32 v15, vcc_lo, s16, v15
	s_delay_alu instid0(VALU_DEP_3) | instskip(NEXT) | instid1(VALU_DEP_3)
	v_add_co_ci_u32_e32 v16, vcc_lo, s17, v16, vcc_lo
	v_add_co_u32 v17, vcc_lo, s18, v17
	s_delay_alu instid0(VALU_DEP_4)
	v_add_co_ci_u32_e32 v18, vcc_lo, s19, v18, vcc_lo
	global_load_b32 v4, v[15:16], off
	global_load_b64 v[17:18], v[17:18], off
	s_waitcnt vmcnt(1)
	v_subrev_nc_u32_e32 v4, s37, v4
	s_waitcnt vmcnt(0)
	v_mul_f32_e64 v15, v18, -v14
	v_mul_f32_e32 v16, v13, v18
	s_delay_alu instid0(VALU_DEP_3) | instskip(NEXT) | instid1(VALU_DEP_3)
	v_lshl_add_u32 v18, v4, 3, v4
	v_fmac_f32_e32 v15, v13, v17
	s_delay_alu instid0(VALU_DEP_2)
	v_dual_fmac_f32 v16, v14, v17 :: v_dual_and_b32 v17, 15, v18
	s_branch .LBB46_25
.LBB46_24:                              ;   in Loop: Header=BB46_25 Depth=3
	s_or_b32 exec_lo, exec_lo, s25
	s_xor_b32 s25, s35, -1
	s_delay_alu instid0(SALU_CYCLE_1) | instskip(NEXT) | instid1(SALU_CYCLE_1)
	s_and_b32 s25, exec_lo, s25
	s_or_b32 s24, s25, s24
	s_delay_alu instid0(SALU_CYCLE_1)
	s_and_not1_b32 exec_lo, exec_lo, s24
	s_cbranch_execz .LBB46_22
.LBB46_25:                              ;   Parent Loop BB46_20 Depth=1
                                        ;     Parent Loop BB46_23 Depth=2
                                        ; =>    This Inner Loop Header: Depth=3
	s_delay_alu instid0(VALU_DEP_1)
	v_lshl_add_u32 v18, v17, 2, v9
	s_mov_b32 s25, exec_lo
                                        ; implicit-def: $sgpr35
	ds_load_b32 v19, v18
	s_waitcnt lgkmcnt(0)
	v_cmpx_ne_u32_e64 v19, v4
	s_xor_b32 s25, exec_lo, s25
	s_cbranch_execz .LBB46_33
; %bb.26:                               ;   in Loop: Header=BB46_25 Depth=3
	s_mov_b32 s40, exec_lo
                                        ; implicit-def: $sgpr35
	v_cmpx_ne_u32_e64 s1, v19
	s_xor_b32 s40, exec_lo, s40
; %bb.27:                               ;   in Loop: Header=BB46_25 Depth=3
	v_add_nc_u32_e32 v17, 1, v17
	s_mov_b32 s35, -1
                                        ; implicit-def: $vgpr18
	s_delay_alu instid0(VALU_DEP_1)
	v_and_b32_e32 v17, 15, v17
; %bb.28:                               ;   in Loop: Header=BB46_25 Depth=3
	s_and_not1_saveexec_b32 s40, s40
	s_cbranch_execz .LBB46_32
; %bb.29:                               ;   in Loop: Header=BB46_25 Depth=3
	v_mov_b32_e32 v19, s1
	s_mov_b32 s41, -1
	s_mov_b32 s42, exec_lo
	ds_cmpstore_rtn_b32 v18, v18, v4, v19
	s_waitcnt lgkmcnt(0)
	v_cmpx_eq_u32_e64 s1, v18
	s_cbranch_execz .LBB46_31
; %bb.30:                               ;   in Loop: Header=BB46_25 Depth=3
	v_lshl_add_u32 v18, v17, 3, v10
	s_xor_b32 s41, exec_lo, -1
	ds_add_f32 v18, v15
	ds_add_f32 v18, v16 offset:4
.LBB46_31:                              ;   in Loop: Header=BB46_25 Depth=3
	s_or_b32 exec_lo, exec_lo, s42
	s_delay_alu instid0(SALU_CYCLE_1) | instskip(SKIP_1) | instid1(SALU_CYCLE_1)
	s_and_not1_b32 s35, s35, exec_lo
	s_and_b32 s41, s41, exec_lo
	s_or_b32 s35, s35, s41
.LBB46_32:                              ;   in Loop: Header=BB46_25 Depth=3
	s_or_b32 exec_lo, exec_lo, s40
	s_delay_alu instid0(SALU_CYCLE_1)
	s_and_b32 s35, s35, exec_lo
.LBB46_33:                              ;   in Loop: Header=BB46_25 Depth=3
	s_and_not1_saveexec_b32 s25, s25
	s_cbranch_execz .LBB46_24
; %bb.34:                               ;   in Loop: Header=BB46_25 Depth=3
	v_lshl_add_u32 v18, v17, 3, v10
	s_and_not1_b32 s35, s35, exec_lo
	ds_add_f32 v18, v15
	ds_add_f32 v18, v16 offset:4
	s_branch .LBB46_24
.LBB46_35:
	s_or_b32 exec_lo, exec_lo, s0
.LBB46_36:
	s_delay_alu instid0(SALU_CYCLE_1)
	s_and_not1_b32 vcc_lo, exec_lo, s34
	s_cbranch_vccnz .LBB46_53
; %bb.37:
	s_delay_alu instid0(VALU_DEP_1) | instskip(NEXT) | instid1(VALU_DEP_2)
	v_add_co_u32 v2, vcc_lo, s22, v0
	v_add_co_ci_u32_e32 v3, vcc_lo, s23, v1, vcc_lo
	v_subrev_nc_u32_e32 v5, s39, v11
	s_mov_b32 s0, exec_lo
	global_load_b64 v[2:3], v[2:3], off
	s_waitcnt vmcnt(0)
	v_subrev_nc_u32_e32 v4, s39, v3
	v_add_nc_u32_e32 v2, v2, v5
	s_delay_alu instid0(VALU_DEP_1)
	v_cmpx_lt_i32_e64 v2, v4
	s_cbranch_execz .LBB46_52
; %bb.38:
	s_mov_b32 s13, 0
	s_branch .LBB46_40
.LBB46_39:                              ;   in Loop: Header=BB46_40 Depth=1
	s_or_b32 exec_lo, exec_lo, s15
	v_add_nc_u32_e32 v2, 8, v2
	s_delay_alu instid0(VALU_DEP_1) | instskip(SKIP_1) | instid1(SALU_CYCLE_1)
	v_cmp_ge_i32_e32 vcc_lo, v2, v4
	s_or_b32 s13, vcc_lo, s13
	s_and_not1_b32 exec_lo, exec_lo, s13
	s_cbranch_execz .LBB46_52
.LBB46_40:                              ; =>This Loop Header: Depth=1
                                        ;     Child Loop BB46_42 Depth 2
	v_ashrrev_i32_e32 v3, 31, v2
	s_mov_b32 s15, 0
	s_delay_alu instid0(VALU_DEP_1) | instskip(SKIP_1) | instid1(VALU_DEP_2)
	v_lshlrev_b64 v[11:12], 2, v[2:3]
	v_lshlrev_b64 v[13:14], 3, v[2:3]
	v_add_co_u32 v11, vcc_lo, s4, v11
	s_delay_alu instid0(VALU_DEP_3) | instskip(NEXT) | instid1(VALU_DEP_3)
	v_add_co_ci_u32_e32 v12, vcc_lo, s5, v12, vcc_lo
	v_add_co_u32 v13, vcc_lo, s6, v13
	s_delay_alu instid0(VALU_DEP_4)
	v_add_co_ci_u32_e32 v14, vcc_lo, s7, v14, vcc_lo
	global_load_b32 v3, v[11:12], off
	global_load_b64 v[12:13], v[13:14], off
	s_waitcnt vmcnt(1)
	v_subrev_nc_u32_e32 v3, s39, v3
	s_waitcnt vmcnt(0)
	v_mul_f32_e64 v5, v13, -s14
	v_mul_f32_e32 v11, s12, v13
	s_delay_alu instid0(VALU_DEP_3) | instskip(NEXT) | instid1(VALU_DEP_3)
	v_lshl_add_u32 v13, v3, 3, v3
	v_fmac_f32_e32 v5, s12, v12
	s_delay_alu instid0(VALU_DEP_2)
	v_dual_fmac_f32 v11, s14, v12 :: v_dual_and_b32 v12, 15, v13
	s_branch .LBB46_42
.LBB46_41:                              ;   in Loop: Header=BB46_42 Depth=2
	s_or_b32 exec_lo, exec_lo, s16
	s_xor_b32 s16, s17, -1
	s_delay_alu instid0(SALU_CYCLE_1) | instskip(NEXT) | instid1(SALU_CYCLE_1)
	s_and_b32 s16, exec_lo, s16
	s_or_b32 s15, s16, s15
	s_delay_alu instid0(SALU_CYCLE_1)
	s_and_not1_b32 exec_lo, exec_lo, s15
	s_cbranch_execz .LBB46_39
.LBB46_42:                              ;   Parent Loop BB46_40 Depth=1
                                        ; =>  This Inner Loop Header: Depth=2
	s_delay_alu instid0(VALU_DEP_1)
	v_lshl_add_u32 v13, v12, 2, v9
	s_mov_b32 s16, exec_lo
                                        ; implicit-def: $sgpr17
	ds_load_b32 v14, v13
	s_waitcnt lgkmcnt(0)
	v_cmpx_ne_u32_e64 v14, v3
	s_xor_b32 s16, exec_lo, s16
	s_cbranch_execz .LBB46_50
; %bb.43:                               ;   in Loop: Header=BB46_42 Depth=2
	s_mov_b32 s18, exec_lo
                                        ; implicit-def: $sgpr17
	v_cmpx_ne_u32_e64 s1, v14
	s_xor_b32 s18, exec_lo, s18
; %bb.44:                               ;   in Loop: Header=BB46_42 Depth=2
	v_add_nc_u32_e32 v12, 1, v12
	s_mov_b32 s17, -1
                                        ; implicit-def: $vgpr13
	s_delay_alu instid0(VALU_DEP_1)
	v_and_b32_e32 v12, 15, v12
; %bb.45:                               ;   in Loop: Header=BB46_42 Depth=2
	s_and_not1_saveexec_b32 s18, s18
	s_cbranch_execz .LBB46_49
; %bb.46:                               ;   in Loop: Header=BB46_42 Depth=2
	v_mov_b32_e32 v14, s1
	s_mov_b32 s19, -1
	s_mov_b32 s20, exec_lo
	ds_cmpstore_rtn_b32 v13, v13, v3, v14
	s_waitcnt lgkmcnt(0)
	v_cmpx_eq_u32_e64 s1, v13
	s_cbranch_execz .LBB46_48
; %bb.47:                               ;   in Loop: Header=BB46_42 Depth=2
	v_lshl_add_u32 v13, v12, 3, v10
	s_xor_b32 s19, exec_lo, -1
	ds_add_f32 v13, v5
	ds_add_f32 v13, v11 offset:4
.LBB46_48:                              ;   in Loop: Header=BB46_42 Depth=2
	s_or_b32 exec_lo, exec_lo, s20
	s_delay_alu instid0(SALU_CYCLE_1) | instskip(SKIP_1) | instid1(SALU_CYCLE_1)
	s_and_not1_b32 s17, s17, exec_lo
	s_and_b32 s19, s19, exec_lo
	s_or_b32 s17, s17, s19
.LBB46_49:                              ;   in Loop: Header=BB46_42 Depth=2
	s_or_b32 exec_lo, exec_lo, s18
	s_delay_alu instid0(SALU_CYCLE_1)
	s_and_b32 s17, s17, exec_lo
.LBB46_50:                              ;   in Loop: Header=BB46_42 Depth=2
	s_and_not1_saveexec_b32 s16, s16
	s_cbranch_execz .LBB46_41
; %bb.51:                               ;   in Loop: Header=BB46_42 Depth=2
	v_lshl_add_u32 v13, v12, 3, v10
	s_and_not1_b32 s17, s17, exec_lo
	ds_add_f32 v13, v5
	ds_add_f32 v13, v11 offset:4
	s_branch .LBB46_41
.LBB46_52:
	s_or_b32 exec_lo, exec_lo, s0
.LBB46_53:
	s_delay_alu instid0(VALU_DEP_1) | instskip(NEXT) | instid1(VALU_DEP_2)
	v_add_co_u32 v0, vcc_lo, s8, v0
	v_add_co_ci_u32_e32 v1, vcc_lo, s9, v1, vcc_lo
	s_waitcnt lgkmcnt(0)
	buffer_gl0_inv
	s_mov_b32 s0, 0
	global_load_b32 v0, v[0:1], off
	s_waitcnt vmcnt(0)
	v_subrev_nc_u32_e32 v0, s38, v0
	s_branch .LBB46_55
.LBB46_54:                              ;   in Loop: Header=BB46_55 Depth=1
	s_or_b32 exec_lo, exec_lo, s4
	v_add_co_u32 v8, s4, v8, 8
	s_delay_alu instid0(VALU_DEP_1) | instskip(SKIP_3) | instid1(SALU_CYCLE_1)
	s_xor_b32 s4, s4, -1
	v_add_nc_u32_e32 v7, 64, v7
	v_add_nc_u32_e32 v6, 32, v6
	s_and_b32 s4, exec_lo, s4
	s_or_b32 s0, s4, s0
	s_delay_alu instid0(SALU_CYCLE_1)
	s_and_not1_b32 exec_lo, exec_lo, s0
	s_cbranch_execz .LBB46_57
.LBB46_55:                              ; =>This Inner Loop Header: Depth=1
	ds_load_b32 v1, v6
	s_mov_b32 s4, exec_lo
	s_waitcnt lgkmcnt(0)
	v_cmpx_gt_i32_e64 s1, v1
	s_cbranch_execz .LBB46_54
; %bb.56:                               ;   in Loop: Header=BB46_55 Depth=1
	ds_load_b128 v[2:5], v9
	ds_load_b128 v[10:13], v9 offset:16
	ds_load_b128 v[14:17], v9 offset:32
	;; [unrolled: 1-line block ×3, first 2 shown]
	s_waitcnt lgkmcnt(3)
	v_cmp_gt_i32_e32 vcc_lo, v1, v2
	v_cndmask_b32_e64 v2, 0, 1, vcc_lo
	v_cmp_gt_i32_e32 vcc_lo, v1, v4
	v_cndmask_b32_e64 v4, 0, 1, vcc_lo
	v_cmp_gt_i32_e32 vcc_lo, v1, v3
	s_delay_alu instid0(VALU_DEP_4)
	v_add_co_ci_u32_e32 v2, vcc_lo, v0, v2, vcc_lo
	s_waitcnt lgkmcnt(2)
	v_cmp_gt_i32_e32 vcc_lo, v1, v10
	v_cndmask_b32_e64 v3, 0, 1, vcc_lo
	v_cmp_gt_i32_e32 vcc_lo, v1, v5
	v_add_co_ci_u32_e32 v2, vcc_lo, v2, v4, vcc_lo
	v_cmp_gt_i32_e32 vcc_lo, v1, v12
	v_add_nc_u32_e32 v12, s38, v1
	v_cndmask_b32_e64 v4, 0, 1, vcc_lo
	v_cmp_gt_i32_e32 vcc_lo, v1, v11
	v_add_co_ci_u32_e32 v2, vcc_lo, v2, v3, vcc_lo
	s_waitcnt lgkmcnt(1)
	v_cmp_gt_i32_e32 vcc_lo, v1, v14
	v_cndmask_b32_e64 v3, 0, 1, vcc_lo
	v_cmp_gt_i32_e32 vcc_lo, v1, v13
	v_add_co_ci_u32_e32 v2, vcc_lo, v2, v4, vcc_lo
	v_cmp_gt_i32_e32 vcc_lo, v1, v16
	v_cndmask_b32_e64 v4, 0, 1, vcc_lo
	v_cmp_gt_i32_e32 vcc_lo, v1, v15
	s_delay_alu instid0(VALU_DEP_4)
	v_add_co_ci_u32_e32 v2, vcc_lo, v2, v3, vcc_lo
	s_waitcnt lgkmcnt(0)
	v_cmp_gt_i32_e32 vcc_lo, v1, v18
	v_cndmask_b32_e64 v3, 0, 1, vcc_lo
	v_cmp_gt_i32_e32 vcc_lo, v1, v17
	v_add_co_ci_u32_e32 v2, vcc_lo, v2, v4, vcc_lo
	v_cmp_gt_i32_e32 vcc_lo, v1, v20
	v_cndmask_b32_e64 v4, 0, 1, vcc_lo
	v_cmp_gt_i32_e32 vcc_lo, v1, v19
	s_delay_alu instid0(VALU_DEP_4) | instskip(SKIP_1) | instid1(VALU_DEP_2)
	v_add_co_ci_u32_e32 v2, vcc_lo, v2, v3, vcc_lo
	v_cmp_gt_i32_e32 vcc_lo, v1, v21
	v_add_co_ci_u32_e32 v2, vcc_lo, v2, v4, vcc_lo
	ds_load_b64 v[4:5], v7
	v_ashrrev_i32_e32 v3, 31, v2
	s_delay_alu instid0(VALU_DEP_1) | instskip(SKIP_1) | instid1(VALU_DEP_2)
	v_lshlrev_b64 v[10:11], 2, v[2:3]
	v_lshlrev_b64 v[1:2], 3, v[2:3]
	v_add_co_u32 v10, vcc_lo, s10, v10
	s_delay_alu instid0(VALU_DEP_3) | instskip(NEXT) | instid1(VALU_DEP_3)
	v_add_co_ci_u32_e32 v11, vcc_lo, s11, v11, vcc_lo
	v_add_co_u32 v1, vcc_lo, s2, v1
	s_delay_alu instid0(VALU_DEP_4)
	v_add_co_ci_u32_e32 v2, vcc_lo, s3, v2, vcc_lo
	global_store_b32 v[10:11], v12, off
	s_waitcnt lgkmcnt(0)
	global_store_b64 v[1:2], v[4:5], off
	s_branch .LBB46_54
.LBB46_57:
	s_nop 0
	s_sendmsg sendmsg(MSG_DEALLOC_VGPRS)
	s_endpgm
	.section	.rodata,"a",@progbits
	.p2align	6, 0x0
	.amdhsa_kernel _ZN9rocsparseL23csrgemm_fill_wf_per_rowILj256ELj8ELj16ELj137Eii21rocsparse_complex_numIfEEEvT4_S3_PKS3_S5_NS_24const_host_device_scalarIT5_EEPKT3_S5_PKS7_SB_S5_SD_S8_SB_S5_SD_SB_PS3_PS7_21rocsparse_index_base_SG_SG_SG_bbb
		.amdhsa_group_segment_fixed_size 6144
		.amdhsa_private_segment_fixed_size 0
		.amdhsa_kernarg_size 156
		.amdhsa_user_sgpr_count 15
		.amdhsa_user_sgpr_dispatch_ptr 0
		.amdhsa_user_sgpr_queue_ptr 0
		.amdhsa_user_sgpr_kernarg_segment_ptr 1
		.amdhsa_user_sgpr_dispatch_id 0
		.amdhsa_user_sgpr_private_segment_size 0
		.amdhsa_wavefront_size32 1
		.amdhsa_uses_dynamic_stack 0
		.amdhsa_enable_private_segment 0
		.amdhsa_system_sgpr_workgroup_id_x 1
		.amdhsa_system_sgpr_workgroup_id_y 0
		.amdhsa_system_sgpr_workgroup_id_z 0
		.amdhsa_system_sgpr_workgroup_info 0
		.amdhsa_system_vgpr_workitem_id 0
		.amdhsa_next_free_vgpr 22
		.amdhsa_next_free_sgpr 44
		.amdhsa_reserve_vcc 1
		.amdhsa_float_round_mode_32 0
		.amdhsa_float_round_mode_16_64 0
		.amdhsa_float_denorm_mode_32 3
		.amdhsa_float_denorm_mode_16_64 3
		.amdhsa_dx10_clamp 1
		.amdhsa_ieee_mode 1
		.amdhsa_fp16_overflow 0
		.amdhsa_workgroup_processor_mode 1
		.amdhsa_memory_ordered 1
		.amdhsa_forward_progress 0
		.amdhsa_shared_vgpr_count 0
		.amdhsa_exception_fp_ieee_invalid_op 0
		.amdhsa_exception_fp_denorm_src 0
		.amdhsa_exception_fp_ieee_div_zero 0
		.amdhsa_exception_fp_ieee_overflow 0
		.amdhsa_exception_fp_ieee_underflow 0
		.amdhsa_exception_fp_ieee_inexact 0
		.amdhsa_exception_int_div_zero 0
	.end_amdhsa_kernel
	.section	.text._ZN9rocsparseL23csrgemm_fill_wf_per_rowILj256ELj8ELj16ELj137Eii21rocsparse_complex_numIfEEEvT4_S3_PKS3_S5_NS_24const_host_device_scalarIT5_EEPKT3_S5_PKS7_SB_S5_SD_S8_SB_S5_SD_SB_PS3_PS7_21rocsparse_index_base_SG_SG_SG_bbb,"axG",@progbits,_ZN9rocsparseL23csrgemm_fill_wf_per_rowILj256ELj8ELj16ELj137Eii21rocsparse_complex_numIfEEEvT4_S3_PKS3_S5_NS_24const_host_device_scalarIT5_EEPKT3_S5_PKS7_SB_S5_SD_S8_SB_S5_SD_SB_PS3_PS7_21rocsparse_index_base_SG_SG_SG_bbb,comdat
.Lfunc_end46:
	.size	_ZN9rocsparseL23csrgemm_fill_wf_per_rowILj256ELj8ELj16ELj137Eii21rocsparse_complex_numIfEEEvT4_S3_PKS3_S5_NS_24const_host_device_scalarIT5_EEPKT3_S5_PKS7_SB_S5_SD_S8_SB_S5_SD_SB_PS3_PS7_21rocsparse_index_base_SG_SG_SG_bbb, .Lfunc_end46-_ZN9rocsparseL23csrgemm_fill_wf_per_rowILj256ELj8ELj16ELj137Eii21rocsparse_complex_numIfEEEvT4_S3_PKS3_S5_NS_24const_host_device_scalarIT5_EEPKT3_S5_PKS7_SB_S5_SD_S8_SB_S5_SD_SB_PS3_PS7_21rocsparse_index_base_SG_SG_SG_bbb
                                        ; -- End function
	.section	.AMDGPU.csdata,"",@progbits
; Kernel info:
; codeLenInByte = 2196
; NumSgprs: 46
; NumVgprs: 22
; ScratchSize: 0
; MemoryBound: 0
; FloatMode: 240
; IeeeMode: 1
; LDSByteSize: 6144 bytes/workgroup (compile time only)
; SGPRBlocks: 5
; VGPRBlocks: 2
; NumSGPRsForWavesPerEU: 46
; NumVGPRsForWavesPerEU: 22
; Occupancy: 16
; WaveLimiterHint : 1
; COMPUTE_PGM_RSRC2:SCRATCH_EN: 0
; COMPUTE_PGM_RSRC2:USER_SGPR: 15
; COMPUTE_PGM_RSRC2:TRAP_HANDLER: 0
; COMPUTE_PGM_RSRC2:TGID_X_EN: 1
; COMPUTE_PGM_RSRC2:TGID_Y_EN: 0
; COMPUTE_PGM_RSRC2:TGID_Z_EN: 0
; COMPUTE_PGM_RSRC2:TIDIG_COMP_CNT: 0
	.section	.text._ZN9rocsparseL23csrgemm_fill_wf_per_rowILj256ELj16ELj32ELj137Eii21rocsparse_complex_numIfEEEvT4_S3_PKS3_S5_NS_24const_host_device_scalarIT5_EEPKT3_S5_PKS7_SB_S5_SD_S8_SB_S5_SD_SB_PS3_PS7_21rocsparse_index_base_SG_SG_SG_bbb,"axG",@progbits,_ZN9rocsparseL23csrgemm_fill_wf_per_rowILj256ELj16ELj32ELj137Eii21rocsparse_complex_numIfEEEvT4_S3_PKS3_S5_NS_24const_host_device_scalarIT5_EEPKT3_S5_PKS7_SB_S5_SD_S8_SB_S5_SD_SB_PS3_PS7_21rocsparse_index_base_SG_SG_SG_bbb,comdat
	.globl	_ZN9rocsparseL23csrgemm_fill_wf_per_rowILj256ELj16ELj32ELj137Eii21rocsparse_complex_numIfEEEvT4_S3_PKS3_S5_NS_24const_host_device_scalarIT5_EEPKT3_S5_PKS7_SB_S5_SD_S8_SB_S5_SD_SB_PS3_PS7_21rocsparse_index_base_SG_SG_SG_bbb ; -- Begin function _ZN9rocsparseL23csrgemm_fill_wf_per_rowILj256ELj16ELj32ELj137Eii21rocsparse_complex_numIfEEEvT4_S3_PKS3_S5_NS_24const_host_device_scalarIT5_EEPKT3_S5_PKS7_SB_S5_SD_S8_SB_S5_SD_SB_PS3_PS7_21rocsparse_index_base_SG_SG_SG_bbb
	.p2align	8
	.type	_ZN9rocsparseL23csrgemm_fill_wf_per_rowILj256ELj16ELj32ELj137Eii21rocsparse_complex_numIfEEEvT4_S3_PKS3_S5_NS_24const_host_device_scalarIT5_EEPKT3_S5_PKS7_SB_S5_SD_S8_SB_S5_SD_SB_PS3_PS7_21rocsparse_index_base_SG_SG_SG_bbb,@function
_ZN9rocsparseL23csrgemm_fill_wf_per_rowILj256ELj16ELj32ELj137Eii21rocsparse_complex_numIfEEEvT4_S3_PKS3_S5_NS_24const_host_device_scalarIT5_EEPKT3_S5_PKS7_SB_S5_SD_S8_SB_S5_SD_SB_PS3_PS7_21rocsparse_index_base_SG_SG_SG_bbb: ; @_ZN9rocsparseL23csrgemm_fill_wf_per_rowILj256ELj16ELj32ELj137Eii21rocsparse_complex_numIfEEEvT4_S3_PKS3_S5_NS_24const_host_device_scalarIT5_EEPKT3_S5_PKS7_SB_S5_SD_S8_SB_S5_SD_SB_PS3_PS7_21rocsparse_index_base_SG_SG_SG_bbb
; %bb.0:
	s_clause 0x6
	s_load_b32 s14, s[0:1], 0x98
	s_load_b256 s[4:11], s[0:1], 0x60
	s_load_b256 s[16:23], s[0:1], 0x40
	s_load_b128 s[40:43], s[0:1], 0x8
	s_load_b256 s[24:31], s[0:1], 0x20
	s_load_b64 s[2:3], s[0:1], 0x80
	s_load_b128 s[36:39], s[0:1], 0x88
	s_mov_b32 s13, 0
	s_mov_b32 s33, 0
	s_waitcnt lgkmcnt(0)
	s_bitcmp1_b32 s14, 0
	s_cselect_b32 s35, -1, 0
	s_bitcmp1_b32 s14, 16
	s_cselect_b32 s12, -1, 0
	s_delay_alu instid0(SALU_CYCLE_1) | instskip(SKIP_2) | instid1(VALU_DEP_1)
	s_xor_b32 s34, s12, -1
	s_bitcmp0_b32 s14, 0
	v_cndmask_b32_e64 v1, 0, 1, s34
	v_cmp_ne_u32_e32 vcc_lo, 1, v1
	s_cbranch_scc1 .LBB47_5
; %bb.1:
	s_load_b64 s[12:13], s[0:1], 0x18
	s_and_b32 vcc_lo, exec_lo, vcc_lo
	s_waitcnt lgkmcnt(0)
	s_mov_b32 s33, s12
	s_cbranch_vccnz .LBB47_3
; %bb.2:
	s_load_b32 s33, s[12:13], 0x0
.LBB47_3:
	s_and_not1_b32 vcc_lo, exec_lo, s34
	s_cbranch_vccnz .LBB47_5
; %bb.4:
	s_load_b32 s13, s[12:13], 0x4
.LBB47_5:
	s_bitcmp1_b32 s14, 8
	s_cselect_b32 s34, -1, 0
	s_bfe_u32 s12, s14, 0x10008
	s_mov_b32 s14, 0
	s_cmp_eq_u32 s12, 0
	s_mov_b32 s12, 0
	s_cbranch_scc1 .LBB47_11
; %bb.6:
	v_cmp_ne_u32_e32 vcc_lo, 1, v1
	s_mov_b32 s12, s20
	s_cbranch_vccnz .LBB47_8
; %bb.7:
	s_load_b32 s12, s[20:21], 0x0
.LBB47_8:
	v_cmp_ne_u32_e32 vcc_lo, 1, v1
	s_cbranch_vccnz .LBB47_10
; %bb.9:
	s_load_b32 s21, s[20:21], 0x4
.LBB47_10:
	s_waitcnt lgkmcnt(0)
	s_mov_b32 s14, s21
.LBB47_11:
	s_load_b64 s[0:1], s[0:1], 0x0
	v_and_b32_e32 v11, 15, v0
	v_lshrrev_b32_e32 v2, 4, v0
	v_mov_b32_e32 v0, 0
	s_mov_b32 s20, 0
	s_delay_alu instid0(VALU_DEP_3) | instskip(SKIP_2) | instid1(VALU_DEP_3)
	v_lshlrev_b32_e32 v4, 3, v11
	v_lshlrev_b32_e32 v3, 2, v11
	v_or_b32_e32 v8, -16, v11
	v_lshl_or_b32 v7, v2, 8, v4
	v_lshlrev_b32_e32 v1, 7, v2
	s_delay_alu instid0(VALU_DEP_2) | instskip(NEXT) | instid1(VALU_DEP_2)
	v_dual_mov_b32 v9, v8 :: v_dual_mov_b32 v4, v7
	v_or3_b32 v6, v1, v3, 0x1000
	v_mov_b32_e32 v1, v0
	s_waitcnt lgkmcnt(0)
	v_mov_b32_e32 v5, s1
	s_delay_alu instid0(VALU_DEP_3)
	v_mov_b32_e32 v3, v6
.LBB47_12:                              ; =>This Inner Loop Header: Depth=1
	v_add_co_u32 v9, s21, v9, 16
	s_delay_alu instid0(VALU_DEP_1)
	s_xor_b32 s21, s21, -1
	ds_store_b32 v3, v5
	ds_store_b64 v4, v[0:1]
	v_add_nc_u32_e32 v4, 0x80, v4
	v_add_nc_u32_e32 v3, 64, v3
	s_and_b32 s21, exec_lo, s21
	s_delay_alu instid0(SALU_CYCLE_1) | instskip(NEXT) | instid1(SALU_CYCLE_1)
	s_or_b32 s20, s21, s20
	s_and_not1_b32 exec_lo, exec_lo, s20
	s_cbranch_execnz .LBB47_12
; %bb.13:
	s_or_b32 exec_lo, exec_lo, s20
	s_lshl_b32 s15, s15, 4
	s_waitcnt lgkmcnt(0)
	buffer_gl0_inv
	v_and_or_b32 v0, 0xffffff0, s15, v2
	s_delay_alu instid0(VALU_DEP_1)
	v_cmp_gt_i32_e32 vcc_lo, s0, v0
	s_and_saveexec_b32 s0, vcc_lo
	s_cbranch_execz .LBB47_57
; %bb.14:
	s_cmp_eq_u64 s[42:43], 0
	s_cbranch_scc1 .LBB47_16
; %bb.15:
	s_load_b32 s0, s[40:41], 0x0
	s_waitcnt lgkmcnt(0)
	v_add_nc_u32_e32 v0, s0, v0
	s_delay_alu instid0(VALU_DEP_1) | instskip(NEXT) | instid1(VALU_DEP_1)
	v_ashrrev_i32_e32 v1, 31, v0
	v_lshlrev_b64 v[0:1], 2, v[0:1]
	s_delay_alu instid0(VALU_DEP_1) | instskip(NEXT) | instid1(VALU_DEP_2)
	v_add_co_u32 v0, vcc_lo, s42, v0
	v_add_co_ci_u32_e32 v1, vcc_lo, s43, v1, vcc_lo
	global_load_b32 v0, v[0:1], off
.LBB47_16:
	s_waitcnt vmcnt(0)
	v_ashrrev_i32_e32 v1, 31, v0
	v_lshl_or_b32 v9, v2, 7, 0x1000
	v_lshlrev_b32_e32 v10, 8, v2
	s_and_not1_b32 vcc_lo, exec_lo, s35
	s_delay_alu instid0(VALU_DEP_3)
	v_lshlrev_b64 v[0:1], 2, v[0:1]
	s_cbranch_vccnz .LBB47_36
; %bb.17:
	s_delay_alu instid0(VALU_DEP_1) | instskip(NEXT) | instid1(VALU_DEP_2)
	v_add_co_u32 v2, vcc_lo, s24, v0
	v_add_co_ci_u32_e32 v3, vcc_lo, s25, v1, vcc_lo
	v_subrev_nc_u32_e32 v4, s36, v11
	s_mov_b32 s0, exec_lo
	global_load_b64 v[2:3], v[2:3], off
	s_waitcnt vmcnt(0)
	v_subrev_nc_u32_e32 v12, s36, v3
	v_add_nc_u32_e32 v2, v2, v4
	s_delay_alu instid0(VALU_DEP_1)
	v_cmpx_lt_i32_e64 v2, v12
	s_cbranch_execz .LBB47_35
; %bb.18:
	s_mov_b32 s15, 0
	s_branch .LBB47_20
.LBB47_19:                              ;   in Loop: Header=BB47_20 Depth=1
	s_or_b32 exec_lo, exec_lo, s20
	v_add_nc_u32_e32 v2, 16, v2
	s_delay_alu instid0(VALU_DEP_1) | instskip(SKIP_1) | instid1(SALU_CYCLE_1)
	v_cmp_ge_i32_e32 vcc_lo, v2, v12
	s_or_b32 s15, vcc_lo, s15
	s_and_not1_b32 exec_lo, exec_lo, s15
	s_cbranch_execz .LBB47_35
.LBB47_20:                              ; =>This Loop Header: Depth=1
                                        ;     Child Loop BB47_23 Depth 2
                                        ;       Child Loop BB47_25 Depth 3
	v_ashrrev_i32_e32 v3, 31, v2
	s_mov_b32 s20, exec_lo
	s_delay_alu instid0(VALU_DEP_1) | instskip(NEXT) | instid1(VALU_DEP_1)
	v_lshlrev_b64 v[4:5], 2, v[2:3]
	v_add_co_u32 v4, vcc_lo, s26, v4
	s_delay_alu instid0(VALU_DEP_2) | instskip(SKIP_3) | instid1(VALU_DEP_1)
	v_add_co_ci_u32_e32 v5, vcc_lo, s27, v5, vcc_lo
	global_load_b32 v4, v[4:5], off
	s_waitcnt vmcnt(0)
	v_subrev_nc_u32_e32 v4, s36, v4
	v_ashrrev_i32_e32 v5, 31, v4
	s_delay_alu instid0(VALU_DEP_1) | instskip(NEXT) | instid1(VALU_DEP_1)
	v_lshlrev_b64 v[4:5], 2, v[4:5]
	v_add_co_u32 v4, vcc_lo, s30, v4
	s_delay_alu instid0(VALU_DEP_2)
	v_add_co_ci_u32_e32 v5, vcc_lo, s31, v5, vcc_lo
	global_load_b64 v[4:5], v[4:5], off
	s_waitcnt vmcnt(0)
	v_cmpx_lt_i32_e64 v4, v5
	s_cbranch_execz .LBB47_19
; %bb.21:                               ;   in Loop: Header=BB47_20 Depth=1
	v_lshlrev_b64 v[13:14], 3, v[2:3]
	v_subrev_nc_u32_e32 v5, s37, v5
	v_subrev_nc_u32_e32 v3, s37, v4
	s_mov_b32 s21, 0
	s_delay_alu instid0(VALU_DEP_3) | instskip(NEXT) | instid1(VALU_DEP_4)
	v_add_co_u32 v13, vcc_lo, s28, v13
	v_add_co_ci_u32_e32 v14, vcc_lo, s29, v14, vcc_lo
	global_load_b64 v[15:16], v[13:14], off
	s_waitcnt vmcnt(0)
	v_mul_f32_e64 v13, v16, -s13
	s_delay_alu instid0(VALU_DEP_1) | instskip(NEXT) | instid1(VALU_DEP_1)
	v_dual_mul_f32 v14, s33, v16 :: v_dual_fmac_f32 v13, s33, v15
	v_fmac_f32_e32 v14, s13, v15
	s_branch .LBB47_23
.LBB47_22:                              ;   in Loop: Header=BB47_23 Depth=2
	s_or_b32 exec_lo, exec_lo, s24
	v_add_nc_u32_e32 v3, 1, v3
	s_delay_alu instid0(VALU_DEP_1) | instskip(SKIP_1) | instid1(SALU_CYCLE_1)
	v_cmp_ge_i32_e32 vcc_lo, v3, v5
	s_or_b32 s21, vcc_lo, s21
	s_and_not1_b32 exec_lo, exec_lo, s21
	s_cbranch_execz .LBB47_19
.LBB47_23:                              ;   Parent Loop BB47_20 Depth=1
                                        ; =>  This Loop Header: Depth=2
                                        ;       Child Loop BB47_25 Depth 3
	v_ashrrev_i32_e32 v4, 31, v3
	s_mov_b32 s24, 0
	s_delay_alu instid0(VALU_DEP_1) | instskip(SKIP_1) | instid1(VALU_DEP_2)
	v_lshlrev_b64 v[15:16], 2, v[3:4]
	v_lshlrev_b64 v[17:18], 3, v[3:4]
	v_add_co_u32 v15, vcc_lo, s16, v15
	s_delay_alu instid0(VALU_DEP_3) | instskip(NEXT) | instid1(VALU_DEP_3)
	v_add_co_ci_u32_e32 v16, vcc_lo, s17, v16, vcc_lo
	v_add_co_u32 v17, vcc_lo, s18, v17
	s_delay_alu instid0(VALU_DEP_4)
	v_add_co_ci_u32_e32 v18, vcc_lo, s19, v18, vcc_lo
	global_load_b32 v4, v[15:16], off
	global_load_b64 v[17:18], v[17:18], off
	s_waitcnt vmcnt(1)
	v_subrev_nc_u32_e32 v4, s37, v4
	s_waitcnt vmcnt(0)
	v_mul_f32_e64 v15, v18, -v14
	v_mul_f32_e32 v16, v13, v18
	s_delay_alu instid0(VALU_DEP_3) | instskip(NEXT) | instid1(VALU_DEP_3)
	v_lshl_add_u32 v18, v4, 3, v4
	v_fmac_f32_e32 v15, v13, v17
	s_delay_alu instid0(VALU_DEP_2)
	v_dual_fmac_f32 v16, v14, v17 :: v_dual_and_b32 v17, 31, v18
	s_branch .LBB47_25
.LBB47_24:                              ;   in Loop: Header=BB47_25 Depth=3
	s_or_b32 exec_lo, exec_lo, s25
	s_xor_b32 s25, s35, -1
	s_delay_alu instid0(SALU_CYCLE_1) | instskip(NEXT) | instid1(SALU_CYCLE_1)
	s_and_b32 s25, exec_lo, s25
	s_or_b32 s24, s25, s24
	s_delay_alu instid0(SALU_CYCLE_1)
	s_and_not1_b32 exec_lo, exec_lo, s24
	s_cbranch_execz .LBB47_22
.LBB47_25:                              ;   Parent Loop BB47_20 Depth=1
                                        ;     Parent Loop BB47_23 Depth=2
                                        ; =>    This Inner Loop Header: Depth=3
	s_delay_alu instid0(VALU_DEP_1)
	v_lshl_add_u32 v18, v17, 2, v9
	s_mov_b32 s25, exec_lo
                                        ; implicit-def: $sgpr35
	ds_load_b32 v19, v18
	s_waitcnt lgkmcnt(0)
	v_cmpx_ne_u32_e64 v19, v4
	s_xor_b32 s25, exec_lo, s25
	s_cbranch_execz .LBB47_33
; %bb.26:                               ;   in Loop: Header=BB47_25 Depth=3
	s_mov_b32 s40, exec_lo
                                        ; implicit-def: $sgpr35
	v_cmpx_ne_u32_e64 s1, v19
	s_xor_b32 s40, exec_lo, s40
; %bb.27:                               ;   in Loop: Header=BB47_25 Depth=3
	v_add_nc_u32_e32 v17, 1, v17
	s_mov_b32 s35, -1
                                        ; implicit-def: $vgpr18
	s_delay_alu instid0(VALU_DEP_1)
	v_and_b32_e32 v17, 31, v17
; %bb.28:                               ;   in Loop: Header=BB47_25 Depth=3
	s_and_not1_saveexec_b32 s40, s40
	s_cbranch_execz .LBB47_32
; %bb.29:                               ;   in Loop: Header=BB47_25 Depth=3
	v_mov_b32_e32 v19, s1
	s_mov_b32 s41, -1
	s_mov_b32 s42, exec_lo
	ds_cmpstore_rtn_b32 v18, v18, v4, v19
	s_waitcnt lgkmcnt(0)
	v_cmpx_eq_u32_e64 s1, v18
	s_cbranch_execz .LBB47_31
; %bb.30:                               ;   in Loop: Header=BB47_25 Depth=3
	v_lshl_add_u32 v18, v17, 3, v10
	s_xor_b32 s41, exec_lo, -1
	ds_add_f32 v18, v15
	ds_add_f32 v18, v16 offset:4
.LBB47_31:                              ;   in Loop: Header=BB47_25 Depth=3
	s_or_b32 exec_lo, exec_lo, s42
	s_delay_alu instid0(SALU_CYCLE_1) | instskip(SKIP_1) | instid1(SALU_CYCLE_1)
	s_and_not1_b32 s35, s35, exec_lo
	s_and_b32 s41, s41, exec_lo
	s_or_b32 s35, s35, s41
.LBB47_32:                              ;   in Loop: Header=BB47_25 Depth=3
	s_or_b32 exec_lo, exec_lo, s40
	s_delay_alu instid0(SALU_CYCLE_1)
	s_and_b32 s35, s35, exec_lo
.LBB47_33:                              ;   in Loop: Header=BB47_25 Depth=3
	s_and_not1_saveexec_b32 s25, s25
	s_cbranch_execz .LBB47_24
; %bb.34:                               ;   in Loop: Header=BB47_25 Depth=3
	v_lshl_add_u32 v18, v17, 3, v10
	s_and_not1_b32 s35, s35, exec_lo
	ds_add_f32 v18, v15
	ds_add_f32 v18, v16 offset:4
	s_branch .LBB47_24
.LBB47_35:
	s_or_b32 exec_lo, exec_lo, s0
.LBB47_36:
	s_delay_alu instid0(SALU_CYCLE_1)
	s_and_not1_b32 vcc_lo, exec_lo, s34
	s_cbranch_vccnz .LBB47_53
; %bb.37:
	s_delay_alu instid0(VALU_DEP_1) | instskip(NEXT) | instid1(VALU_DEP_2)
	v_add_co_u32 v2, vcc_lo, s22, v0
	v_add_co_ci_u32_e32 v3, vcc_lo, s23, v1, vcc_lo
	v_subrev_nc_u32_e32 v5, s39, v11
	s_mov_b32 s0, exec_lo
	global_load_b64 v[2:3], v[2:3], off
	s_waitcnt vmcnt(0)
	v_subrev_nc_u32_e32 v4, s39, v3
	v_add_nc_u32_e32 v2, v2, v5
	s_delay_alu instid0(VALU_DEP_1)
	v_cmpx_lt_i32_e64 v2, v4
	s_cbranch_execz .LBB47_52
; %bb.38:
	s_mov_b32 s13, 0
	s_branch .LBB47_40
.LBB47_39:                              ;   in Loop: Header=BB47_40 Depth=1
	s_or_b32 exec_lo, exec_lo, s15
	v_add_nc_u32_e32 v2, 16, v2
	s_delay_alu instid0(VALU_DEP_1) | instskip(SKIP_1) | instid1(SALU_CYCLE_1)
	v_cmp_ge_i32_e32 vcc_lo, v2, v4
	s_or_b32 s13, vcc_lo, s13
	s_and_not1_b32 exec_lo, exec_lo, s13
	s_cbranch_execz .LBB47_52
.LBB47_40:                              ; =>This Loop Header: Depth=1
                                        ;     Child Loop BB47_42 Depth 2
	v_ashrrev_i32_e32 v3, 31, v2
	s_mov_b32 s15, 0
	s_delay_alu instid0(VALU_DEP_1) | instskip(SKIP_1) | instid1(VALU_DEP_2)
	v_lshlrev_b64 v[11:12], 2, v[2:3]
	v_lshlrev_b64 v[13:14], 3, v[2:3]
	v_add_co_u32 v11, vcc_lo, s4, v11
	s_delay_alu instid0(VALU_DEP_3) | instskip(NEXT) | instid1(VALU_DEP_3)
	v_add_co_ci_u32_e32 v12, vcc_lo, s5, v12, vcc_lo
	v_add_co_u32 v13, vcc_lo, s6, v13
	s_delay_alu instid0(VALU_DEP_4)
	v_add_co_ci_u32_e32 v14, vcc_lo, s7, v14, vcc_lo
	global_load_b32 v3, v[11:12], off
	global_load_b64 v[12:13], v[13:14], off
	s_waitcnt vmcnt(1)
	v_subrev_nc_u32_e32 v3, s39, v3
	s_waitcnt vmcnt(0)
	v_mul_f32_e64 v5, v13, -s14
	v_mul_f32_e32 v11, s12, v13
	s_delay_alu instid0(VALU_DEP_3) | instskip(NEXT) | instid1(VALU_DEP_3)
	v_lshl_add_u32 v13, v3, 3, v3
	v_fmac_f32_e32 v5, s12, v12
	s_delay_alu instid0(VALU_DEP_2)
	v_dual_fmac_f32 v11, s14, v12 :: v_dual_and_b32 v12, 31, v13
	s_branch .LBB47_42
.LBB47_41:                              ;   in Loop: Header=BB47_42 Depth=2
	s_or_b32 exec_lo, exec_lo, s16
	s_xor_b32 s16, s17, -1
	s_delay_alu instid0(SALU_CYCLE_1) | instskip(NEXT) | instid1(SALU_CYCLE_1)
	s_and_b32 s16, exec_lo, s16
	s_or_b32 s15, s16, s15
	s_delay_alu instid0(SALU_CYCLE_1)
	s_and_not1_b32 exec_lo, exec_lo, s15
	s_cbranch_execz .LBB47_39
.LBB47_42:                              ;   Parent Loop BB47_40 Depth=1
                                        ; =>  This Inner Loop Header: Depth=2
	s_delay_alu instid0(VALU_DEP_1)
	v_lshl_add_u32 v13, v12, 2, v9
	s_mov_b32 s16, exec_lo
                                        ; implicit-def: $sgpr17
	ds_load_b32 v14, v13
	s_waitcnt lgkmcnt(0)
	v_cmpx_ne_u32_e64 v14, v3
	s_xor_b32 s16, exec_lo, s16
	s_cbranch_execz .LBB47_50
; %bb.43:                               ;   in Loop: Header=BB47_42 Depth=2
	s_mov_b32 s18, exec_lo
                                        ; implicit-def: $sgpr17
	v_cmpx_ne_u32_e64 s1, v14
	s_xor_b32 s18, exec_lo, s18
; %bb.44:                               ;   in Loop: Header=BB47_42 Depth=2
	v_add_nc_u32_e32 v12, 1, v12
	s_mov_b32 s17, -1
                                        ; implicit-def: $vgpr13
	s_delay_alu instid0(VALU_DEP_1)
	v_and_b32_e32 v12, 31, v12
; %bb.45:                               ;   in Loop: Header=BB47_42 Depth=2
	s_and_not1_saveexec_b32 s18, s18
	s_cbranch_execz .LBB47_49
; %bb.46:                               ;   in Loop: Header=BB47_42 Depth=2
	v_mov_b32_e32 v14, s1
	s_mov_b32 s19, -1
	s_mov_b32 s20, exec_lo
	ds_cmpstore_rtn_b32 v13, v13, v3, v14
	s_waitcnt lgkmcnt(0)
	v_cmpx_eq_u32_e64 s1, v13
	s_cbranch_execz .LBB47_48
; %bb.47:                               ;   in Loop: Header=BB47_42 Depth=2
	v_lshl_add_u32 v13, v12, 3, v10
	s_xor_b32 s19, exec_lo, -1
	ds_add_f32 v13, v5
	ds_add_f32 v13, v11 offset:4
.LBB47_48:                              ;   in Loop: Header=BB47_42 Depth=2
	s_or_b32 exec_lo, exec_lo, s20
	s_delay_alu instid0(SALU_CYCLE_1) | instskip(SKIP_1) | instid1(SALU_CYCLE_1)
	s_and_not1_b32 s17, s17, exec_lo
	s_and_b32 s19, s19, exec_lo
	s_or_b32 s17, s17, s19
.LBB47_49:                              ;   in Loop: Header=BB47_42 Depth=2
	s_or_b32 exec_lo, exec_lo, s18
	s_delay_alu instid0(SALU_CYCLE_1)
	s_and_b32 s17, s17, exec_lo
.LBB47_50:                              ;   in Loop: Header=BB47_42 Depth=2
	s_and_not1_saveexec_b32 s16, s16
	s_cbranch_execz .LBB47_41
; %bb.51:                               ;   in Loop: Header=BB47_42 Depth=2
	v_lshl_add_u32 v13, v12, 3, v10
	s_and_not1_b32 s17, s17, exec_lo
	ds_add_f32 v13, v5
	ds_add_f32 v13, v11 offset:4
	s_branch .LBB47_41
.LBB47_52:
	s_or_b32 exec_lo, exec_lo, s0
.LBB47_53:
	s_delay_alu instid0(VALU_DEP_1) | instskip(NEXT) | instid1(VALU_DEP_2)
	v_add_co_u32 v0, vcc_lo, s8, v0
	v_add_co_ci_u32_e32 v1, vcc_lo, s9, v1, vcc_lo
	s_waitcnt lgkmcnt(0)
	buffer_gl0_inv
	s_mov_b32 s0, 0
	global_load_b32 v0, v[0:1], off
	s_waitcnt vmcnt(0)
	v_subrev_nc_u32_e32 v0, s38, v0
	s_branch .LBB47_55
.LBB47_54:                              ;   in Loop: Header=BB47_55 Depth=1
	s_or_b32 exec_lo, exec_lo, s4
	v_add_co_u32 v8, s4, v8, 16
	s_delay_alu instid0(VALU_DEP_1) | instskip(SKIP_3) | instid1(SALU_CYCLE_1)
	s_xor_b32 s4, s4, -1
	v_add_nc_u32_e32 v7, 0x80, v7
	v_add_nc_u32_e32 v6, 64, v6
	s_and_b32 s4, exec_lo, s4
	s_or_b32 s0, s4, s0
	s_delay_alu instid0(SALU_CYCLE_1)
	s_and_not1_b32 exec_lo, exec_lo, s0
	s_cbranch_execz .LBB47_57
.LBB47_55:                              ; =>This Inner Loop Header: Depth=1
	ds_load_b32 v1, v6
	s_mov_b32 s4, exec_lo
	s_waitcnt lgkmcnt(0)
	v_cmpx_gt_i32_e64 s1, v1
	s_cbranch_execz .LBB47_54
; %bb.56:                               ;   in Loop: Header=BB47_55 Depth=1
	ds_load_b128 v[2:5], v9
	ds_load_b128 v[10:13], v9 offset:16
	ds_load_b128 v[14:17], v9 offset:32
	;; [unrolled: 1-line block ×7, first 2 shown]
	s_waitcnt lgkmcnt(7)
	v_cmp_gt_i32_e32 vcc_lo, v1, v2
	v_cndmask_b32_e64 v2, 0, 1, vcc_lo
	v_cmp_gt_i32_e32 vcc_lo, v1, v4
	v_cndmask_b32_e64 v4, 0, 1, vcc_lo
	v_cmp_gt_i32_e32 vcc_lo, v1, v3
	s_delay_alu instid0(VALU_DEP_4)
	v_add_co_ci_u32_e32 v2, vcc_lo, v0, v2, vcc_lo
	s_waitcnt lgkmcnt(6)
	v_cmp_gt_i32_e32 vcc_lo, v1, v10
	v_cndmask_b32_e64 v3, 0, 1, vcc_lo
	v_cmp_gt_i32_e32 vcc_lo, v1, v5
	v_add_co_ci_u32_e32 v2, vcc_lo, v2, v4, vcc_lo
	v_cmp_gt_i32_e32 vcc_lo, v1, v12
	v_add_nc_u32_e32 v12, s38, v1
	v_cndmask_b32_e64 v4, 0, 1, vcc_lo
	v_cmp_gt_i32_e32 vcc_lo, v1, v11
	v_add_co_ci_u32_e32 v2, vcc_lo, v2, v3, vcc_lo
	s_waitcnt lgkmcnt(5)
	v_cmp_gt_i32_e32 vcc_lo, v1, v14
	v_cndmask_b32_e64 v3, 0, 1, vcc_lo
	v_cmp_gt_i32_e32 vcc_lo, v1, v13
	v_add_co_ci_u32_e32 v2, vcc_lo, v2, v4, vcc_lo
	v_cmp_gt_i32_e32 vcc_lo, v1, v16
	v_cndmask_b32_e64 v4, 0, 1, vcc_lo
	v_cmp_gt_i32_e32 vcc_lo, v1, v15
	s_delay_alu instid0(VALU_DEP_4)
	v_add_co_ci_u32_e32 v2, vcc_lo, v2, v3, vcc_lo
	s_waitcnt lgkmcnt(4)
	v_cmp_gt_i32_e32 vcc_lo, v1, v18
	v_cndmask_b32_e64 v3, 0, 1, vcc_lo
	v_cmp_gt_i32_e32 vcc_lo, v1, v17
	v_add_co_ci_u32_e32 v2, vcc_lo, v2, v4, vcc_lo
	v_cmp_gt_i32_e32 vcc_lo, v1, v20
	v_cndmask_b32_e64 v4, 0, 1, vcc_lo
	v_cmp_gt_i32_e32 vcc_lo, v1, v19
	s_delay_alu instid0(VALU_DEP_4)
	;; [unrolled: 10-line block ×5, first 2 shown]
	v_add_co_ci_u32_e32 v2, vcc_lo, v2, v3, vcc_lo
	s_waitcnt lgkmcnt(0)
	v_cmp_gt_i32_e32 vcc_lo, v1, v34
	v_cndmask_b32_e64 v3, 0, 1, vcc_lo
	v_cmp_gt_i32_e32 vcc_lo, v1, v33
	v_add_co_ci_u32_e32 v2, vcc_lo, v2, v4, vcc_lo
	v_cmp_gt_i32_e32 vcc_lo, v1, v36
	v_cndmask_b32_e64 v4, 0, 1, vcc_lo
	v_cmp_gt_i32_e32 vcc_lo, v1, v35
	s_delay_alu instid0(VALU_DEP_4) | instskip(SKIP_1) | instid1(VALU_DEP_2)
	v_add_co_ci_u32_e32 v2, vcc_lo, v2, v3, vcc_lo
	v_cmp_gt_i32_e32 vcc_lo, v1, v37
	v_add_co_ci_u32_e32 v2, vcc_lo, v2, v4, vcc_lo
	ds_load_b64 v[4:5], v7
	v_ashrrev_i32_e32 v3, 31, v2
	s_delay_alu instid0(VALU_DEP_1) | instskip(SKIP_1) | instid1(VALU_DEP_2)
	v_lshlrev_b64 v[10:11], 2, v[2:3]
	v_lshlrev_b64 v[1:2], 3, v[2:3]
	v_add_co_u32 v10, vcc_lo, s10, v10
	s_delay_alu instid0(VALU_DEP_3) | instskip(NEXT) | instid1(VALU_DEP_3)
	v_add_co_ci_u32_e32 v11, vcc_lo, s11, v11, vcc_lo
	v_add_co_u32 v1, vcc_lo, s2, v1
	s_delay_alu instid0(VALU_DEP_4)
	v_add_co_ci_u32_e32 v2, vcc_lo, s3, v2, vcc_lo
	global_store_b32 v[10:11], v12, off
	s_waitcnt lgkmcnt(0)
	global_store_b64 v[1:2], v[4:5], off
	s_branch .LBB47_54
.LBB47_57:
	s_nop 0
	s_sendmsg sendmsg(MSG_DEALLOC_VGPRS)
	s_endpgm
	.section	.rodata,"a",@progbits
	.p2align	6, 0x0
	.amdhsa_kernel _ZN9rocsparseL23csrgemm_fill_wf_per_rowILj256ELj16ELj32ELj137Eii21rocsparse_complex_numIfEEEvT4_S3_PKS3_S5_NS_24const_host_device_scalarIT5_EEPKT3_S5_PKS7_SB_S5_SD_S8_SB_S5_SD_SB_PS3_PS7_21rocsparse_index_base_SG_SG_SG_bbb
		.amdhsa_group_segment_fixed_size 6144
		.amdhsa_private_segment_fixed_size 0
		.amdhsa_kernarg_size 156
		.amdhsa_user_sgpr_count 15
		.amdhsa_user_sgpr_dispatch_ptr 0
		.amdhsa_user_sgpr_queue_ptr 0
		.amdhsa_user_sgpr_kernarg_segment_ptr 1
		.amdhsa_user_sgpr_dispatch_id 0
		.amdhsa_user_sgpr_private_segment_size 0
		.amdhsa_wavefront_size32 1
		.amdhsa_uses_dynamic_stack 0
		.amdhsa_enable_private_segment 0
		.amdhsa_system_sgpr_workgroup_id_x 1
		.amdhsa_system_sgpr_workgroup_id_y 0
		.amdhsa_system_sgpr_workgroup_id_z 0
		.amdhsa_system_sgpr_workgroup_info 0
		.amdhsa_system_vgpr_workitem_id 0
		.amdhsa_next_free_vgpr 38
		.amdhsa_next_free_sgpr 44
		.amdhsa_reserve_vcc 1
		.amdhsa_float_round_mode_32 0
		.amdhsa_float_round_mode_16_64 0
		.amdhsa_float_denorm_mode_32 3
		.amdhsa_float_denorm_mode_16_64 3
		.amdhsa_dx10_clamp 1
		.amdhsa_ieee_mode 1
		.amdhsa_fp16_overflow 0
		.amdhsa_workgroup_processor_mode 1
		.amdhsa_memory_ordered 1
		.amdhsa_forward_progress 0
		.amdhsa_shared_vgpr_count 0
		.amdhsa_exception_fp_ieee_invalid_op 0
		.amdhsa_exception_fp_denorm_src 0
		.amdhsa_exception_fp_ieee_div_zero 0
		.amdhsa_exception_fp_ieee_overflow 0
		.amdhsa_exception_fp_ieee_underflow 0
		.amdhsa_exception_fp_ieee_inexact 0
		.amdhsa_exception_int_div_zero 0
	.end_amdhsa_kernel
	.section	.text._ZN9rocsparseL23csrgemm_fill_wf_per_rowILj256ELj16ELj32ELj137Eii21rocsparse_complex_numIfEEEvT4_S3_PKS3_S5_NS_24const_host_device_scalarIT5_EEPKT3_S5_PKS7_SB_S5_SD_S8_SB_S5_SD_SB_PS3_PS7_21rocsparse_index_base_SG_SG_SG_bbb,"axG",@progbits,_ZN9rocsparseL23csrgemm_fill_wf_per_rowILj256ELj16ELj32ELj137Eii21rocsparse_complex_numIfEEEvT4_S3_PKS3_S5_NS_24const_host_device_scalarIT5_EEPKT3_S5_PKS7_SB_S5_SD_S8_SB_S5_SD_SB_PS3_PS7_21rocsparse_index_base_SG_SG_SG_bbb,comdat
.Lfunc_end47:
	.size	_ZN9rocsparseL23csrgemm_fill_wf_per_rowILj256ELj16ELj32ELj137Eii21rocsparse_complex_numIfEEEvT4_S3_PKS3_S5_NS_24const_host_device_scalarIT5_EEPKT3_S5_PKS7_SB_S5_SD_S8_SB_S5_SD_SB_PS3_PS7_21rocsparse_index_base_SG_SG_SG_bbb, .Lfunc_end47-_ZN9rocsparseL23csrgemm_fill_wf_per_rowILj256ELj16ELj32ELj137Eii21rocsparse_complex_numIfEEEvT4_S3_PKS3_S5_NS_24const_host_device_scalarIT5_EEPKT3_S5_PKS7_SB_S5_SD_S8_SB_S5_SD_SB_PS3_PS7_21rocsparse_index_base_SG_SG_SG_bbb
                                        ; -- End function
	.section	.AMDGPU.csdata,"",@progbits
; Kernel info:
; codeLenInByte = 2428
; NumSgprs: 46
; NumVgprs: 38
; ScratchSize: 0
; MemoryBound: 0
; FloatMode: 240
; IeeeMode: 1
; LDSByteSize: 6144 bytes/workgroup (compile time only)
; SGPRBlocks: 5
; VGPRBlocks: 4
; NumSGPRsForWavesPerEU: 46
; NumVGPRsForWavesPerEU: 38
; Occupancy: 16
; WaveLimiterHint : 1
; COMPUTE_PGM_RSRC2:SCRATCH_EN: 0
; COMPUTE_PGM_RSRC2:USER_SGPR: 15
; COMPUTE_PGM_RSRC2:TRAP_HANDLER: 0
; COMPUTE_PGM_RSRC2:TGID_X_EN: 1
; COMPUTE_PGM_RSRC2:TGID_Y_EN: 0
; COMPUTE_PGM_RSRC2:TGID_Z_EN: 0
; COMPUTE_PGM_RSRC2:TIDIG_COMP_CNT: 0
	.section	.text._ZN9rocsparseL26csrgemm_fill_block_per_rowILj128ELj16ELj256ELj137ELj32Eii21rocsparse_complex_numIfEEEvT5_PKS3_S5_NS_24const_host_device_scalarIT6_EEPKT4_S5_PKS7_SB_S5_SD_S8_SB_S5_SD_SB_PS3_PS7_21rocsparse_index_base_SG_SG_SG_bbb,"axG",@progbits,_ZN9rocsparseL26csrgemm_fill_block_per_rowILj128ELj16ELj256ELj137ELj32Eii21rocsparse_complex_numIfEEEvT5_PKS3_S5_NS_24const_host_device_scalarIT6_EEPKT4_S5_PKS7_SB_S5_SD_S8_SB_S5_SD_SB_PS3_PS7_21rocsparse_index_base_SG_SG_SG_bbb,comdat
	.globl	_ZN9rocsparseL26csrgemm_fill_block_per_rowILj128ELj16ELj256ELj137ELj32Eii21rocsparse_complex_numIfEEEvT5_PKS3_S5_NS_24const_host_device_scalarIT6_EEPKT4_S5_PKS7_SB_S5_SD_S8_SB_S5_SD_SB_PS3_PS7_21rocsparse_index_base_SG_SG_SG_bbb ; -- Begin function _ZN9rocsparseL26csrgemm_fill_block_per_rowILj128ELj16ELj256ELj137ELj32Eii21rocsparse_complex_numIfEEEvT5_PKS3_S5_NS_24const_host_device_scalarIT6_EEPKT4_S5_PKS7_SB_S5_SD_S8_SB_S5_SD_SB_PS3_PS7_21rocsparse_index_base_SG_SG_SG_bbb
	.p2align	8
	.type	_ZN9rocsparseL26csrgemm_fill_block_per_rowILj128ELj16ELj256ELj137ELj32Eii21rocsparse_complex_numIfEEEvT5_PKS3_S5_NS_24const_host_device_scalarIT6_EEPKT4_S5_PKS7_SB_S5_SD_S8_SB_S5_SD_SB_PS3_PS7_21rocsparse_index_base_SG_SG_SG_bbb,@function
_ZN9rocsparseL26csrgemm_fill_block_per_rowILj128ELj16ELj256ELj137ELj32Eii21rocsparse_complex_numIfEEEvT5_PKS3_S5_NS_24const_host_device_scalarIT6_EEPKT4_S5_PKS7_SB_S5_SD_S8_SB_S5_SD_SB_PS3_PS7_21rocsparse_index_base_SG_SG_SG_bbb: ; @_ZN9rocsparseL26csrgemm_fill_block_per_rowILj128ELj16ELj256ELj137ELj32Eii21rocsparse_complex_numIfEEEvT5_PKS3_S5_NS_24const_host_device_scalarIT6_EEPKT4_S5_PKS7_SB_S5_SD_S8_SB_S5_SD_SB_PS3_PS7_21rocsparse_index_base_SG_SG_SG_bbb
; %bb.0:
	s_clause 0x6
	s_load_b32 s14, s[0:1], 0x98
	s_load_b256 s[4:11], s[0:1], 0x60
	s_load_b256 s[16:23], s[0:1], 0x40
	s_load_b128 s[40:43], s[0:1], 0x8
	s_load_b256 s[24:31], s[0:1], 0x20
	s_load_b64 s[12:13], s[0:1], 0x80
	s_load_b128 s[36:39], s[0:1], 0x88
	s_mov_b32 s3, 0
	s_mov_b32 s34, 0
	s_waitcnt lgkmcnt(0)
	s_bitcmp1_b32 s14, 0
	s_cselect_b32 s44, -1, 0
	s_bitcmp1_b32 s14, 16
	s_cselect_b32 s2, -1, 0
	s_delay_alu instid0(SALU_CYCLE_1) | instskip(SKIP_2) | instid1(VALU_DEP_1)
	s_xor_b32 s33, s2, -1
	s_bitcmp0_b32 s14, 0
	v_cndmask_b32_e64 v1, 0, 1, s33
	v_cmp_ne_u32_e32 vcc_lo, 1, v1
	s_cbranch_scc1 .LBB48_5
; %bb.1:
	s_load_b64 s[2:3], s[0:1], 0x18
	s_and_b32 vcc_lo, exec_lo, vcc_lo
	s_waitcnt lgkmcnt(0)
	s_mov_b32 s34, s2
	s_cbranch_vccnz .LBB48_3
; %bb.2:
	s_load_b32 s34, s[2:3], 0x0
.LBB48_3:
	s_and_not1_b32 vcc_lo, exec_lo, s33
	s_cbranch_vccnz .LBB48_5
; %bb.4:
	s_load_b32 s3, s[2:3], 0x4
.LBB48_5:
	s_bitcmp1_b32 s14, 8
	s_mov_b32 s33, 0
	s_cselect_b32 s35, -1, 0
	s_bfe_u32 s2, s14, 0x10008
	s_delay_alu instid0(SALU_CYCLE_1)
	s_cmp_eq_u32 s2, 0
	s_mov_b32 s2, 0
	s_cbranch_scc1 .LBB48_11
; %bb.6:
	v_cmp_ne_u32_e32 vcc_lo, 1, v1
	s_mov_b32 s2, s20
	s_cbranch_vccnz .LBB48_8
; %bb.7:
	s_load_b32 s2, s[20:21], 0x0
.LBB48_8:
	v_cmp_ne_u32_e32 vcc_lo, 1, v1
	s_cbranch_vccnz .LBB48_10
; %bb.9:
	s_load_b32 s21, s[20:21], 0x4
.LBB48_10:
	s_waitcnt lgkmcnt(0)
	s_mov_b32 s33, s21
.LBB48_11:
	s_load_b32 s20, s[0:1], 0x0
	v_cmp_gt_u32_e64 s0, 0x100, v0
	v_lshlrev_b32_e32 v7, 3, v0
	v_or_b32_e32 v5, 0xffffff80, v0
	v_lshl_add_u32 v6, v0, 2, 0
	s_delay_alu instid0(VALU_DEP_4)
	s_and_saveexec_b32 s1, s0
	s_cbranch_execz .LBB48_14
; %bb.12:
	v_add3_u32 v1, v7, 0, 0x400
	v_or_b32_e32 v2, 0xffffff80, v0
	v_lshl_add_u32 v3, v0, 2, 0
	s_waitcnt lgkmcnt(0)
	v_mov_b32_e32 v4, s20
	v_mov_b32_e32 v8, 0
	s_mov_b32 s14, 0
.LBB48_13:                              ; =>This Inner Loop Header: Depth=1
	v_add_co_u32 v2, s21, 0x80, v2
	s_delay_alu instid0(VALU_DEP_1)
	s_xor_b32 s21, s21, -1
	ds_store_b32 v3, v4
	ds_store_2addr_b32 v1, v8, v8 offset1:1
	v_add_nc_u32_e32 v1, 0x400, v1
	v_add_nc_u32_e32 v3, 0x200, v3
	s_and_b32 s21, exec_lo, s21
	s_delay_alu instid0(SALU_CYCLE_1) | instskip(NEXT) | instid1(SALU_CYCLE_1)
	s_or_b32 s14, s21, s14
	s_and_not1_b32 exec_lo, exec_lo, s14
	s_cbranch_execnz .LBB48_13
.LBB48_14:
	s_or_b32 exec_lo, exec_lo, s1
	s_waitcnt lgkmcnt(0)
	s_barrier
	buffer_gl0_inv
	s_load_b32 s1, s[40:41], 0x0
	s_waitcnt lgkmcnt(0)
	s_add_i32 s14, s1, s15
	s_mov_b32 s15, 0
	s_delay_alu instid0(SALU_CYCLE_1) | instskip(NEXT) | instid1(SALU_CYCLE_1)
	s_lshl_b64 s[14:15], s[14:15], 2
	s_add_u32 s14, s42, s14
	s_addc_u32 s15, s43, s15
	s_and_b32 vcc_lo, exec_lo, s44
	s_load_b32 s14, s[14:15], 0x0
	s_cbranch_vccz .LBB48_34
; %bb.15:
	s_waitcnt lgkmcnt(0)
	s_ashr_i32 s15, s14, 31
	v_lshrrev_b32_e32 v1, 4, v0
	s_lshl_b64 s[40:41], s[14:15], 2
	s_mov_b32 s15, exec_lo
	s_add_u32 s24, s24, s40
	s_addc_u32 s25, s25, s41
	v_subrev_nc_u32_e32 v1, s36, v1
	s_load_b64 s[24:25], s[24:25], 0x0
	s_waitcnt lgkmcnt(0)
	s_delay_alu instid0(VALU_DEP_1)
	v_add_nc_u32_e32 v1, s24, v1
	s_sub_i32 s1, s25, s36
	s_delay_alu instid0(VALU_DEP_1) | instid1(SALU_CYCLE_1)
	v_cmpx_gt_i32_e64 s1, v1
	s_cbranch_execz .LBB48_33
; %bb.16:
	v_and_b32_e32 v2, 15, v0
	s_mov_b32 s21, 0
	s_delay_alu instid0(VALU_DEP_1)
	v_subrev_nc_u32_e32 v8, s37, v2
	s_branch .LBB48_18
.LBB48_17:                              ;   in Loop: Header=BB48_18 Depth=1
	s_or_b32 exec_lo, exec_lo, s24
	v_add_nc_u32_e32 v1, 8, v1
	s_delay_alu instid0(VALU_DEP_1) | instskip(SKIP_1) | instid1(SALU_CYCLE_1)
	v_cmp_le_i32_e32 vcc_lo, s1, v1
	s_or_b32 s21, vcc_lo, s21
	s_and_not1_b32 exec_lo, exec_lo, s21
	s_cbranch_execz .LBB48_33
.LBB48_18:                              ; =>This Loop Header: Depth=1
                                        ;     Child Loop BB48_21 Depth 2
                                        ;       Child Loop BB48_23 Depth 3
	v_ashrrev_i32_e32 v2, 31, v1
	s_mov_b32 s24, exec_lo
	s_delay_alu instid0(VALU_DEP_1) | instskip(NEXT) | instid1(VALU_DEP_1)
	v_lshlrev_b64 v[3:4], 2, v[1:2]
	v_add_co_u32 v3, vcc_lo, s26, v3
	s_delay_alu instid0(VALU_DEP_2) | instskip(SKIP_3) | instid1(VALU_DEP_1)
	v_add_co_ci_u32_e32 v4, vcc_lo, s27, v4, vcc_lo
	global_load_b32 v3, v[3:4], off
	s_waitcnt vmcnt(0)
	v_subrev_nc_u32_e32 v3, s36, v3
	v_ashrrev_i32_e32 v4, 31, v3
	s_delay_alu instid0(VALU_DEP_1) | instskip(NEXT) | instid1(VALU_DEP_1)
	v_lshlrev_b64 v[3:4], 2, v[3:4]
	v_add_co_u32 v3, vcc_lo, s30, v3
	s_delay_alu instid0(VALU_DEP_2) | instskip(SKIP_4) | instid1(VALU_DEP_1)
	v_add_co_ci_u32_e32 v4, vcc_lo, s31, v4, vcc_lo
	global_load_b64 v[3:4], v[3:4], off
	s_waitcnt vmcnt(0)
	v_subrev_nc_u32_e32 v9, s37, v4
	v_add_nc_u32_e32 v3, v3, v8
	v_cmpx_lt_i32_e64 v3, v9
	s_cbranch_execz .LBB48_17
; %bb.19:                               ;   in Loop: Header=BB48_18 Depth=1
	v_lshlrev_b64 v[10:11], 3, v[1:2]
	s_mov_b32 s25, 0
	s_delay_alu instid0(VALU_DEP_1) | instskip(NEXT) | instid1(VALU_DEP_2)
	v_add_co_u32 v10, vcc_lo, s28, v10
	v_add_co_ci_u32_e32 v11, vcc_lo, s29, v11, vcc_lo
	global_load_b64 v[11:12], v[10:11], off
	s_waitcnt vmcnt(0)
	v_mul_f32_e64 v2, v12, -s3
	v_mul_f32_e32 v10, s34, v12
	s_delay_alu instid0(VALU_DEP_2) | instskip(NEXT) | instid1(VALU_DEP_2)
	v_fmac_f32_e32 v2, s34, v11
	v_fmac_f32_e32 v10, s3, v11
	s_branch .LBB48_21
.LBB48_20:                              ;   in Loop: Header=BB48_21 Depth=2
	s_or_b32 exec_lo, exec_lo, s40
	v_add_nc_u32_e32 v3, 16, v3
	s_delay_alu instid0(VALU_DEP_1) | instskip(SKIP_1) | instid1(SALU_CYCLE_1)
	v_cmp_ge_i32_e32 vcc_lo, v3, v9
	s_or_b32 s25, vcc_lo, s25
	s_and_not1_b32 exec_lo, exec_lo, s25
	s_cbranch_execz .LBB48_17
.LBB48_21:                              ;   Parent Loop BB48_18 Depth=1
                                        ; =>  This Loop Header: Depth=2
                                        ;       Child Loop BB48_23 Depth 3
	v_ashrrev_i32_e32 v4, 31, v3
	s_mov_b32 s40, 0
	s_delay_alu instid0(VALU_DEP_1) | instskip(SKIP_1) | instid1(VALU_DEP_2)
	v_lshlrev_b64 v[11:12], 2, v[3:4]
	v_lshlrev_b64 v[13:14], 3, v[3:4]
	v_add_co_u32 v11, vcc_lo, s16, v11
	s_delay_alu instid0(VALU_DEP_3)
	v_add_co_ci_u32_e32 v12, vcc_lo, s17, v12, vcc_lo
	global_load_b32 v4, v[11:12], off
	v_add_co_u32 v11, vcc_lo, s18, v13
	v_add_co_ci_u32_e32 v12, vcc_lo, s19, v14, vcc_lo
	global_load_b64 v[13:14], v[11:12], off
	s_waitcnt vmcnt(1)
	v_subrev_nc_u32_e32 v4, s37, v4
	s_delay_alu instid0(VALU_DEP_1) | instskip(SKIP_3) | instid1(VALU_DEP_2)
	v_mul_lo_u32 v15, 0x89, v4
	s_waitcnt vmcnt(0)
	v_mul_f32_e64 v11, v14, -v10
	v_mul_f32_e32 v12, v2, v14
	v_fmac_f32_e32 v11, v2, v13
	s_delay_alu instid0(VALU_DEP_2)
	v_dual_fmac_f32 v12, v10, v13 :: v_dual_and_b32 v13, 0xff, v15
	s_branch .LBB48_23
.LBB48_22:                              ;   in Loop: Header=BB48_23 Depth=3
	s_or_b32 exec_lo, exec_lo, s41
	s_xor_b32 s41, s42, -1
	s_delay_alu instid0(SALU_CYCLE_1) | instskip(NEXT) | instid1(SALU_CYCLE_1)
	s_and_b32 s41, exec_lo, s41
	s_or_b32 s40, s41, s40
	s_delay_alu instid0(SALU_CYCLE_1)
	s_and_not1_b32 exec_lo, exec_lo, s40
	s_cbranch_execz .LBB48_20
.LBB48_23:                              ;   Parent Loop BB48_18 Depth=1
                                        ;     Parent Loop BB48_21 Depth=2
                                        ; =>    This Inner Loop Header: Depth=3
	s_delay_alu instid0(VALU_DEP_1)
	v_lshl_add_u32 v14, v13, 2, 0
	s_mov_b32 s41, exec_lo
                                        ; implicit-def: $sgpr42
	ds_load_b32 v15, v14
	s_waitcnt lgkmcnt(0)
	v_cmpx_ne_u32_e64 v15, v4
	s_xor_b32 s41, exec_lo, s41
	s_cbranch_execz .LBB48_31
; %bb.24:                               ;   in Loop: Header=BB48_23 Depth=3
	s_mov_b32 s43, exec_lo
                                        ; implicit-def: $sgpr42
	v_cmpx_ne_u32_e64 s20, v15
	s_xor_b32 s43, exec_lo, s43
; %bb.25:                               ;   in Loop: Header=BB48_23 Depth=3
	v_add_nc_u32_e32 v13, 1, v13
	s_mov_b32 s42, -1
                                        ; implicit-def: $vgpr14
	s_delay_alu instid0(VALU_DEP_1)
	v_and_b32_e32 v13, 0xff, v13
; %bb.26:                               ;   in Loop: Header=BB48_23 Depth=3
	s_and_not1_saveexec_b32 s43, s43
	s_cbranch_execz .LBB48_30
; %bb.27:                               ;   in Loop: Header=BB48_23 Depth=3
	v_mov_b32_e32 v15, s20
	s_mov_b32 s44, -1
	s_mov_b32 s45, exec_lo
	ds_cmpstore_rtn_b32 v15, v14, v4, v15
	s_waitcnt lgkmcnt(0)
	v_cmpx_eq_u32_e64 s20, v15
	s_cbranch_execz .LBB48_29
; %bb.28:                               ;   in Loop: Header=BB48_23 Depth=3
	v_lshl_add_u32 v14, v13, 2, v14
	s_xor_b32 s44, exec_lo, -1
	ds_add_f32 v14, v11 offset:1024
	ds_add_f32 v14, v12 offset:1028
.LBB48_29:                              ;   in Loop: Header=BB48_23 Depth=3
	s_or_b32 exec_lo, exec_lo, s45
	s_delay_alu instid0(SALU_CYCLE_1) | instskip(SKIP_1) | instid1(SALU_CYCLE_1)
	s_and_not1_b32 s42, s42, exec_lo
	s_and_b32 s44, s44, exec_lo
	s_or_b32 s42, s42, s44
.LBB48_30:                              ;   in Loop: Header=BB48_23 Depth=3
	s_or_b32 exec_lo, exec_lo, s43
	s_delay_alu instid0(SALU_CYCLE_1)
	s_and_b32 s42, s42, exec_lo
                                        ; implicit-def: $vgpr14
.LBB48_31:                              ;   in Loop: Header=BB48_23 Depth=3
	s_and_not1_saveexec_b32 s41, s41
	s_cbranch_execz .LBB48_22
; %bb.32:                               ;   in Loop: Header=BB48_23 Depth=3
	v_lshl_add_u32 v14, v13, 2, v14
	s_and_not1_b32 s42, s42, exec_lo
	ds_add_f32 v14, v11 offset:1024
	ds_add_f32 v14, v12 offset:1028
	s_branch .LBB48_22
.LBB48_33:
	s_or_b32 exec_lo, exec_lo, s15
.LBB48_34:
	s_delay_alu instid0(SALU_CYCLE_1)
	s_and_not1_b32 vcc_lo, exec_lo, s35
	s_cbranch_vccnz .LBB48_51
; %bb.35:
	s_waitcnt lgkmcnt(0)
	s_ashr_i32 s15, s14, 31
	v_subrev_nc_u32_e32 v1, s39, v0
	s_lshl_b64 s[16:17], s[14:15], 2
	s_mov_b32 s3, exec_lo
	s_add_u32 s16, s22, s16
	s_addc_u32 s17, s23, s17
	s_load_b64 s[16:17], s[16:17], 0x0
	s_waitcnt lgkmcnt(0)
	v_add_nc_u32_e32 v1, s16, v1
	s_sub_i32 s1, s17, s39
	s_delay_alu instid0(VALU_DEP_1) | instid1(SALU_CYCLE_1)
	v_cmpx_gt_i32_e64 s1, v1
	s_cbranch_execz .LBB48_50
; %bb.36:
	s_mov_b32 s15, 0
	s_branch .LBB48_38
.LBB48_37:                              ;   in Loop: Header=BB48_38 Depth=1
	s_or_b32 exec_lo, exec_lo, s16
	v_add_nc_u32_e32 v1, 0x80, v1
	s_delay_alu instid0(VALU_DEP_1) | instskip(SKIP_1) | instid1(SALU_CYCLE_1)
	v_cmp_le_i32_e32 vcc_lo, s1, v1
	s_or_b32 s15, vcc_lo, s15
	s_and_not1_b32 exec_lo, exec_lo, s15
	s_cbranch_execz .LBB48_50
.LBB48_38:                              ; =>This Loop Header: Depth=1
                                        ;     Child Loop BB48_40 Depth 2
	v_ashrrev_i32_e32 v2, 31, v1
	s_mov_b32 s16, 0
	s_delay_alu instid0(VALU_DEP_1) | instskip(SKIP_1) | instid1(VALU_DEP_2)
	v_lshlrev_b64 v[3:4], 2, v[1:2]
	v_lshlrev_b64 v[8:9], 3, v[1:2]
	v_add_co_u32 v3, vcc_lo, s4, v3
	s_delay_alu instid0(VALU_DEP_3) | instskip(NEXT) | instid1(VALU_DEP_3)
	v_add_co_ci_u32_e32 v4, vcc_lo, s5, v4, vcc_lo
	v_add_co_u32 v2, vcc_lo, s6, v8
	global_load_b32 v4, v[3:4], off
	v_add_co_ci_u32_e32 v3, vcc_lo, s7, v9, vcc_lo
	global_load_b64 v[8:9], v[2:3], off
	s_waitcnt vmcnt(1)
	v_subrev_nc_u32_e32 v2, s39, v4
	s_delay_alu instid0(VALU_DEP_1) | instskip(SKIP_2) | instid1(VALU_DEP_1)
	v_mul_lo_u32 v10, 0x89, v2
	s_waitcnt vmcnt(0)
	v_mul_f32_e64 v3, v9, -s33
	v_dual_mul_f32 v4, s2, v9 :: v_dual_fmac_f32 v3, s2, v8
	s_delay_alu instid0(VALU_DEP_1) | instskip(NEXT) | instid1(VALU_DEP_4)
	v_fmac_f32_e32 v4, s33, v8
	v_and_b32_e32 v8, 0xff, v10
	s_branch .LBB48_40
.LBB48_39:                              ;   in Loop: Header=BB48_40 Depth=2
	s_or_b32 exec_lo, exec_lo, s17
	s_xor_b32 s17, s18, -1
	s_delay_alu instid0(SALU_CYCLE_1) | instskip(NEXT) | instid1(SALU_CYCLE_1)
	s_and_b32 s17, exec_lo, s17
	s_or_b32 s16, s17, s16
	s_delay_alu instid0(SALU_CYCLE_1)
	s_and_not1_b32 exec_lo, exec_lo, s16
	s_cbranch_execz .LBB48_37
.LBB48_40:                              ;   Parent Loop BB48_38 Depth=1
                                        ; =>  This Inner Loop Header: Depth=2
	s_delay_alu instid0(VALU_DEP_1)
	v_lshl_add_u32 v9, v8, 2, 0
	s_mov_b32 s17, exec_lo
                                        ; implicit-def: $sgpr18
	ds_load_b32 v10, v9
	s_waitcnt lgkmcnt(0)
	v_cmpx_ne_u32_e64 v10, v2
	s_xor_b32 s17, exec_lo, s17
	s_cbranch_execz .LBB48_48
; %bb.41:                               ;   in Loop: Header=BB48_40 Depth=2
	s_mov_b32 s19, exec_lo
                                        ; implicit-def: $sgpr18
	v_cmpx_ne_u32_e64 s20, v10
	s_xor_b32 s19, exec_lo, s19
; %bb.42:                               ;   in Loop: Header=BB48_40 Depth=2
	v_add_nc_u32_e32 v8, 1, v8
	s_mov_b32 s18, -1
                                        ; implicit-def: $vgpr9
	s_delay_alu instid0(VALU_DEP_1)
	v_and_b32_e32 v8, 0xff, v8
; %bb.43:                               ;   in Loop: Header=BB48_40 Depth=2
	s_and_not1_saveexec_b32 s19, s19
	s_cbranch_execz .LBB48_47
; %bb.44:                               ;   in Loop: Header=BB48_40 Depth=2
	v_mov_b32_e32 v10, s20
	s_mov_b32 s21, -1
	s_mov_b32 s22, exec_lo
	ds_cmpstore_rtn_b32 v10, v9, v2, v10
	s_waitcnt lgkmcnt(0)
	v_cmpx_eq_u32_e64 s20, v10
	s_cbranch_execz .LBB48_46
; %bb.45:                               ;   in Loop: Header=BB48_40 Depth=2
	v_lshl_add_u32 v9, v8, 2, v9
	s_xor_b32 s21, exec_lo, -1
	ds_add_f32 v9, v3 offset:1024
	ds_add_f32 v9, v4 offset:1028
.LBB48_46:                              ;   in Loop: Header=BB48_40 Depth=2
	s_or_b32 exec_lo, exec_lo, s22
	s_delay_alu instid0(SALU_CYCLE_1) | instskip(SKIP_1) | instid1(SALU_CYCLE_1)
	s_and_not1_b32 s18, s18, exec_lo
	s_and_b32 s21, s21, exec_lo
	s_or_b32 s18, s18, s21
.LBB48_47:                              ;   in Loop: Header=BB48_40 Depth=2
	s_or_b32 exec_lo, exec_lo, s19
	s_delay_alu instid0(SALU_CYCLE_1)
	s_and_b32 s18, s18, exec_lo
                                        ; implicit-def: $vgpr9
.LBB48_48:                              ;   in Loop: Header=BB48_40 Depth=2
	s_and_not1_saveexec_b32 s17, s17
	s_cbranch_execz .LBB48_39
; %bb.49:                               ;   in Loop: Header=BB48_40 Depth=2
	v_lshl_add_u32 v9, v8, 2, v9
	s_and_not1_b32 s18, s18, exec_lo
	ds_add_f32 v9, v3 offset:1024
	ds_add_f32 v9, v4 offset:1028
	s_branch .LBB48_39
.LBB48_50:
	s_or_b32 exec_lo, exec_lo, s3
.LBB48_51:
	s_waitcnt lgkmcnt(0)
	s_barrier
	buffer_gl0_inv
	s_and_saveexec_b32 s4, s0
	s_cbranch_execz .LBB48_64
; %bb.52:
	v_mbcnt_lo_u32_b32 v1, -1, 0
	v_lshrrev_b32_e32 v2, 3, v0
	v_cmp_eq_u32_e32 vcc_lo, 0x7f, v0
	v_cmp_lt_u32_e64 s0, 31, v0
	v_cmp_lt_u32_e64 s1, 63, v0
	v_xor_b32_e32 v1, 63, v1
	v_dual_mov_b32 v8, 0 :: v_dual_and_b32 v3, 12, v2
	v_cmp_lt_u32_e64 s2, 0x5f, v0
	v_add3_u32 v4, v7, 0, 0x400
	s_delay_alu instid0(VALU_DEP_4) | instskip(NEXT) | instid1(VALU_DEP_4)
	v_lshrrev_b64 v[1:2], v1, -1
	v_add_nc_u32_e32 v7, 0, v3
	v_mov_b32_e32 v9, 0
	s_mov_b32 s5, 0
	s_branch .LBB48_54
.LBB48_53:                              ;   in Loop: Header=BB48_54 Depth=1
	s_or_b32 exec_lo, exec_lo, s3
	s_waitcnt lgkmcnt(0)
	s_barrier
	buffer_gl0_inv
	ds_load_b32 v2, v8 offset:3084
	v_add_co_u32 v5, s3, 0x80, v5
	s_delay_alu instid0(VALU_DEP_1) | instskip(SKIP_3) | instid1(SALU_CYCLE_1)
	s_xor_b32 s3, s3, -1
	v_add_nc_u32_e32 v4, 0x400, v4
	v_add_nc_u32_e32 v6, 0x200, v6
	s_and_b32 s3, exec_lo, s3
	s_or_b32 s5, s3, s5
	s_waitcnt lgkmcnt(0)
	v_add_nc_u32_e32 v9, v2, v9
	s_and_not1_b32 exec_lo, exec_lo, s5
	s_cbranch_execz .LBB48_64
.LBB48_54:                              ; =>This Inner Loop Header: Depth=1
	ds_load_b32 v10, v6
	ds_load_2addr_b32 v[2:3], v4 offset1:1
	s_waitcnt lgkmcnt(0)
	s_barrier
	buffer_gl0_inv
	v_cmp_gt_i32_e64 s3, s20, v10
	s_delay_alu instid0(VALU_DEP_1) | instskip(NEXT) | instid1(SALU_CYCLE_1)
	s_bcnt1_i32_b32 s6, s3
	v_dual_mov_b32 v12, s6 :: v_dual_and_b32 v11, s3, v1
	s_delay_alu instid0(VALU_DEP_1)
	v_bcnt_u32_b32 v11, v11, 0
	ds_store_b32 v7, v12 offset:3072
	s_waitcnt lgkmcnt(0)
	s_barrier
	buffer_gl0_inv
	s_and_saveexec_b32 s6, s0
	s_cbranch_execnz .LBB48_59
; %bb.55:                               ;   in Loop: Header=BB48_54 Depth=1
	s_or_b32 exec_lo, exec_lo, s6
	s_and_saveexec_b32 s6, s1
	s_cbranch_execnz .LBB48_60
.LBB48_56:                              ;   in Loop: Header=BB48_54 Depth=1
	s_or_b32 exec_lo, exec_lo, s6
	s_and_saveexec_b32 s6, s2
	s_cbranch_execnz .LBB48_61
.LBB48_57:                              ;   in Loop: Header=BB48_54 Depth=1
	s_or_b32 exec_lo, exec_lo, s6
	s_and_saveexec_b32 s6, s3
	s_cbranch_execnz .LBB48_62
.LBB48_58:                              ;   in Loop: Header=BB48_54 Depth=1
	s_or_b32 exec_lo, exec_lo, s6
	s_and_saveexec_b32 s3, vcc_lo
	s_cbranch_execz .LBB48_53
	s_branch .LBB48_63
.LBB48_59:                              ;   in Loop: Header=BB48_54 Depth=1
	ds_load_b32 v12, v8 offset:3072
	s_waitcnt lgkmcnt(0)
	v_add_nc_u32_e32 v11, v12, v11
	s_or_b32 exec_lo, exec_lo, s6
	s_and_saveexec_b32 s6, s1
	s_cbranch_execz .LBB48_56
.LBB48_60:                              ;   in Loop: Header=BB48_54 Depth=1
	ds_load_b32 v12, v8 offset:3076
	s_waitcnt lgkmcnt(0)
	v_add_nc_u32_e32 v11, v12, v11
	s_or_b32 exec_lo, exec_lo, s6
	s_and_saveexec_b32 s6, s2
	s_cbranch_execz .LBB48_57
.LBB48_61:                              ;   in Loop: Header=BB48_54 Depth=1
	ds_load_b32 v12, v8 offset:3080
	s_waitcnt lgkmcnt(0)
	v_add_nc_u32_e32 v11, v12, v11
	s_or_b32 exec_lo, exec_lo, s6
	s_and_saveexec_b32 s6, s3
	s_cbranch_execz .LBB48_58
.LBB48_62:                              ;   in Loop: Header=BB48_54 Depth=1
	s_delay_alu instid0(VALU_DEP_1) | instskip(NEXT) | instid1(VALU_DEP_1)
	v_add3_u32 v12, v9, -1, v11
	v_lshlrev_b32_e32 v13, 3, v12
	v_lshl_add_u32 v12, v12, 2, 0
	s_delay_alu instid0(VALU_DEP_2)
	v_add3_u32 v13, 0, v13, 0x400
	ds_store_b32 v12, v10
	ds_store_2addr_b32 v13, v2, v3 offset1:1
	s_or_b32 exec_lo, exec_lo, s6
	s_and_saveexec_b32 s3, vcc_lo
	s_cbranch_execz .LBB48_53
.LBB48_63:                              ;   in Loop: Header=BB48_54 Depth=1
	ds_store_b32 v8, v11 offset:3084
	s_branch .LBB48_53
.LBB48_64:
	s_or_b32 exec_lo, exec_lo, s4
	s_ashr_i32 s15, s14, 31
	s_mov_b32 s3, exec_lo
	s_lshl_b64 s[0:1], s[14:15], 2
	s_delay_alu instid0(SALU_CYCLE_1) | instskip(SKIP_4) | instid1(SALU_CYCLE_1)
	s_add_u32 s0, s8, s0
	s_addc_u32 s1, s9, s1
	s_load_b64 s[0:1], s[0:1], 0x0
	s_waitcnt lgkmcnt(0)
	s_sub_i32 s2, s1, s0
	v_cmpx_gt_i32_e64 s2, v0
	s_cbranch_execz .LBB48_74
; %bb.65:
	s_sub_i32 s3, s0, s38
	s_sub_i32 s0, s0, s1
	s_and_b32 s1, s2, 7
	s_cmp_lt_u32 s0, -7
	s_mov_b32 s7, 0
	s_cselect_b32 s4, -1, 0
	s_and_b32 s5, s2, -8
	s_cmp_lg_u32 s1, 0
	s_cselect_b32 s6, -1, 0
	s_branch .LBB48_67
.LBB48_66:                              ;   in Loop: Header=BB48_67 Depth=1
	s_delay_alu instid0(VALU_DEP_1) | instskip(SKIP_3) | instid1(VALU_DEP_3)
	v_ashrrev_i32_e32 v4, 31, v3
	v_add_nc_u32_e32 v0, 0x80, v0
	s_waitcnt lgkmcnt(1)
	v_add_nc_u32_e32 v8, s38, v5
	v_lshlrev_b64 v[6:7], 2, v[3:4]
	v_lshlrev_b64 v[3:4], 3, v[3:4]
	v_cmp_le_i32_e32 vcc_lo, s2, v0
	s_delay_alu instid0(VALU_DEP_3) | instskip(NEXT) | instid1(VALU_DEP_1)
	v_add_co_u32 v5, s0, s10, v6
	v_add_co_ci_u32_e64 v6, s0, s11, v7, s0
	s_delay_alu instid0(VALU_DEP_4) | instskip(NEXT) | instid1(VALU_DEP_1)
	v_add_co_u32 v3, s0, s12, v3
	v_add_co_ci_u32_e64 v4, s0, s13, v4, s0
	s_or_b32 s7, vcc_lo, s7
	global_store_b32 v[5:6], v8, off
	s_waitcnt lgkmcnt(0)
	global_store_b64 v[3:4], v[1:2], off
	s_and_not1_b32 exec_lo, exec_lo, s7
	s_cbranch_execz .LBB48_74
.LBB48_67:                              ; =>This Loop Header: Depth=1
                                        ;     Child Loop BB48_69 Depth 2
                                        ;     Child Loop BB48_73 Depth 2
	v_lshlrev_b32_e32 v1, 2, v0
	s_and_not1_b32 vcc_lo, exec_lo, s4
	s_mov_b32 s0, 0
	s_delay_alu instid0(VALU_DEP_1) | instskip(NEXT) | instid1(VALU_DEP_1)
	v_dual_mov_b32 v3, s3 :: v_dual_add_nc_u32 v2, 0, v1
	v_add3_u32 v1, v2, v1, 0x400
	ds_load_b32 v5, v2
	ds_load_2addr_b32 v[1:2], v1 offset1:1
	s_cbranch_vccnz .LBB48_71
; %bb.68:                               ;   in Loop: Header=BB48_67 Depth=1
	v_mov_b32_e32 v3, s3
	s_mov_b32 s8, 0
	s_set_inst_prefetch_distance 0x1
	.p2align	6
.LBB48_69:                              ;   Parent Loop BB48_67 Depth=1
                                        ; =>  This Inner Loop Header: Depth=2
	v_mov_b32_e32 v4, s8
	s_add_i32 s0, s0, 8
	s_add_i32 s8, s8, 32
	s_cmp_eq_u32 s5, s0
	ds_load_2addr_b32 v[6:7], v4 offset1:1
	ds_load_2addr_b32 v[8:9], v4 offset0:2 offset1:3
	ds_load_2addr_b32 v[10:11], v4 offset0:4 offset1:5
	;; [unrolled: 1-line block ×3, first 2 shown]
	s_waitcnt lgkmcnt(3)
	v_cmp_gt_i32_e32 vcc_lo, v5, v6
	v_cndmask_b32_e64 v4, 0, 1, vcc_lo
	s_waitcnt lgkmcnt(2)
	v_cmp_gt_i32_e32 vcc_lo, v5, v8
	v_cndmask_b32_e64 v6, 0, 1, vcc_lo
	v_cmp_gt_i32_e32 vcc_lo, v5, v7
	v_add_co_ci_u32_e32 v3, vcc_lo, v3, v4, vcc_lo
	s_waitcnt lgkmcnt(1)
	v_cmp_gt_i32_e32 vcc_lo, v5, v10
	v_cndmask_b32_e64 v4, 0, 1, vcc_lo
	v_cmp_gt_i32_e32 vcc_lo, v5, v9
	v_add_co_ci_u32_e32 v3, vcc_lo, v3, v6, vcc_lo
	;; [unrolled: 5-line block ×3, first 2 shown]
	v_cmp_gt_i32_e32 vcc_lo, v5, v13
	s_delay_alu instid0(VALU_DEP_2)
	v_add_co_ci_u32_e32 v3, vcc_lo, v3, v6, vcc_lo
	s_cbranch_scc0 .LBB48_69
; %bb.70:                               ;   in Loop: Header=BB48_67 Depth=1
	s_set_inst_prefetch_distance 0x2
	s_mov_b32 s0, s5
.LBB48_71:                              ;   in Loop: Header=BB48_67 Depth=1
	s_and_not1_b32 vcc_lo, exec_lo, s6
	s_cbranch_vccnz .LBB48_66
; %bb.72:                               ;   in Loop: Header=BB48_67 Depth=1
	s_lshl_b32 s0, s0, 2
	s_mov_b32 s8, s1
	s_add_i32 s0, s0, 0
.LBB48_73:                              ;   Parent Loop BB48_67 Depth=1
                                        ; =>  This Inner Loop Header: Depth=2
	s_delay_alu instid0(SALU_CYCLE_1)
	v_mov_b32_e32 v4, s0
	s_add_i32 s8, s8, -1
	s_add_i32 s0, s0, 4
	s_cmp_lg_u32 s8, 0
	ds_load_b32 v4, v4
	s_waitcnt lgkmcnt(0)
	v_cmp_gt_i32_e32 vcc_lo, v5, v4
	v_add_co_ci_u32_e32 v3, vcc_lo, 0, v3, vcc_lo
	s_cbranch_scc1 .LBB48_73
	s_branch .LBB48_66
.LBB48_74:
	s_nop 0
	s_sendmsg sendmsg(MSG_DEALLOC_VGPRS)
	s_endpgm
	.section	.rodata,"a",@progbits
	.p2align	6, 0x0
	.amdhsa_kernel _ZN9rocsparseL26csrgemm_fill_block_per_rowILj128ELj16ELj256ELj137ELj32Eii21rocsparse_complex_numIfEEEvT5_PKS3_S5_NS_24const_host_device_scalarIT6_EEPKT4_S5_PKS7_SB_S5_SD_S8_SB_S5_SD_SB_PS3_PS7_21rocsparse_index_base_SG_SG_SG_bbb
		.amdhsa_group_segment_fixed_size 0
		.amdhsa_private_segment_fixed_size 0
		.amdhsa_kernarg_size 156
		.amdhsa_user_sgpr_count 15
		.amdhsa_user_sgpr_dispatch_ptr 0
		.amdhsa_user_sgpr_queue_ptr 0
		.amdhsa_user_sgpr_kernarg_segment_ptr 1
		.amdhsa_user_sgpr_dispatch_id 0
		.amdhsa_user_sgpr_private_segment_size 0
		.amdhsa_wavefront_size32 1
		.amdhsa_uses_dynamic_stack 0
		.amdhsa_enable_private_segment 0
		.amdhsa_system_sgpr_workgroup_id_x 1
		.amdhsa_system_sgpr_workgroup_id_y 0
		.amdhsa_system_sgpr_workgroup_id_z 0
		.amdhsa_system_sgpr_workgroup_info 0
		.amdhsa_system_vgpr_workitem_id 0
		.amdhsa_next_free_vgpr 16
		.amdhsa_next_free_sgpr 46
		.amdhsa_reserve_vcc 1
		.amdhsa_float_round_mode_32 0
		.amdhsa_float_round_mode_16_64 0
		.amdhsa_float_denorm_mode_32 3
		.amdhsa_float_denorm_mode_16_64 3
		.amdhsa_dx10_clamp 1
		.amdhsa_ieee_mode 1
		.amdhsa_fp16_overflow 0
		.amdhsa_workgroup_processor_mode 1
		.amdhsa_memory_ordered 1
		.amdhsa_forward_progress 0
		.amdhsa_shared_vgpr_count 0
		.amdhsa_exception_fp_ieee_invalid_op 0
		.amdhsa_exception_fp_denorm_src 0
		.amdhsa_exception_fp_ieee_div_zero 0
		.amdhsa_exception_fp_ieee_overflow 0
		.amdhsa_exception_fp_ieee_underflow 0
		.amdhsa_exception_fp_ieee_inexact 0
		.amdhsa_exception_int_div_zero 0
	.end_amdhsa_kernel
	.section	.text._ZN9rocsparseL26csrgemm_fill_block_per_rowILj128ELj16ELj256ELj137ELj32Eii21rocsparse_complex_numIfEEEvT5_PKS3_S5_NS_24const_host_device_scalarIT6_EEPKT4_S5_PKS7_SB_S5_SD_S8_SB_S5_SD_SB_PS3_PS7_21rocsparse_index_base_SG_SG_SG_bbb,"axG",@progbits,_ZN9rocsparseL26csrgemm_fill_block_per_rowILj128ELj16ELj256ELj137ELj32Eii21rocsparse_complex_numIfEEEvT5_PKS3_S5_NS_24const_host_device_scalarIT6_EEPKT4_S5_PKS7_SB_S5_SD_S8_SB_S5_SD_SB_PS3_PS7_21rocsparse_index_base_SG_SG_SG_bbb,comdat
.Lfunc_end48:
	.size	_ZN9rocsparseL26csrgemm_fill_block_per_rowILj128ELj16ELj256ELj137ELj32Eii21rocsparse_complex_numIfEEEvT5_PKS3_S5_NS_24const_host_device_scalarIT6_EEPKT4_S5_PKS7_SB_S5_SD_S8_SB_S5_SD_SB_PS3_PS7_21rocsparse_index_base_SG_SG_SG_bbb, .Lfunc_end48-_ZN9rocsparseL26csrgemm_fill_block_per_rowILj128ELj16ELj256ELj137ELj32Eii21rocsparse_complex_numIfEEEvT5_PKS3_S5_NS_24const_host_device_scalarIT6_EEPKT4_S5_PKS7_SB_S5_SD_S8_SB_S5_SD_SB_PS3_PS7_21rocsparse_index_base_SG_SG_SG_bbb
                                        ; -- End function
	.section	.AMDGPU.csdata,"",@progbits
; Kernel info:
; codeLenInByte = 2772
; NumSgprs: 48
; NumVgprs: 16
; ScratchSize: 0
; MemoryBound: 0
; FloatMode: 240
; IeeeMode: 1
; LDSByteSize: 0 bytes/workgroup (compile time only)
; SGPRBlocks: 5
; VGPRBlocks: 1
; NumSGPRsForWavesPerEU: 48
; NumVGPRsForWavesPerEU: 16
; Occupancy: 16
; WaveLimiterHint : 1
; COMPUTE_PGM_RSRC2:SCRATCH_EN: 0
; COMPUTE_PGM_RSRC2:USER_SGPR: 15
; COMPUTE_PGM_RSRC2:TRAP_HANDLER: 0
; COMPUTE_PGM_RSRC2:TGID_X_EN: 1
; COMPUTE_PGM_RSRC2:TGID_Y_EN: 0
; COMPUTE_PGM_RSRC2:TGID_Z_EN: 0
; COMPUTE_PGM_RSRC2:TIDIG_COMP_CNT: 0
	.section	.text._ZN9rocsparseL26csrgemm_fill_block_per_rowILj128ELj16ELj256ELj137ELj64Eii21rocsparse_complex_numIfEEEvT5_PKS3_S5_NS_24const_host_device_scalarIT6_EEPKT4_S5_PKS7_SB_S5_SD_S8_SB_S5_SD_SB_PS3_PS7_21rocsparse_index_base_SG_SG_SG_bbb,"axG",@progbits,_ZN9rocsparseL26csrgemm_fill_block_per_rowILj128ELj16ELj256ELj137ELj64Eii21rocsparse_complex_numIfEEEvT5_PKS3_S5_NS_24const_host_device_scalarIT6_EEPKT4_S5_PKS7_SB_S5_SD_S8_SB_S5_SD_SB_PS3_PS7_21rocsparse_index_base_SG_SG_SG_bbb,comdat
	.globl	_ZN9rocsparseL26csrgemm_fill_block_per_rowILj128ELj16ELj256ELj137ELj64Eii21rocsparse_complex_numIfEEEvT5_PKS3_S5_NS_24const_host_device_scalarIT6_EEPKT4_S5_PKS7_SB_S5_SD_S8_SB_S5_SD_SB_PS3_PS7_21rocsparse_index_base_SG_SG_SG_bbb ; -- Begin function _ZN9rocsparseL26csrgemm_fill_block_per_rowILj128ELj16ELj256ELj137ELj64Eii21rocsparse_complex_numIfEEEvT5_PKS3_S5_NS_24const_host_device_scalarIT6_EEPKT4_S5_PKS7_SB_S5_SD_S8_SB_S5_SD_SB_PS3_PS7_21rocsparse_index_base_SG_SG_SG_bbb
	.p2align	8
	.type	_ZN9rocsparseL26csrgemm_fill_block_per_rowILj128ELj16ELj256ELj137ELj64Eii21rocsparse_complex_numIfEEEvT5_PKS3_S5_NS_24const_host_device_scalarIT6_EEPKT4_S5_PKS7_SB_S5_SD_S8_SB_S5_SD_SB_PS3_PS7_21rocsparse_index_base_SG_SG_SG_bbb,@function
_ZN9rocsparseL26csrgemm_fill_block_per_rowILj128ELj16ELj256ELj137ELj64Eii21rocsparse_complex_numIfEEEvT5_PKS3_S5_NS_24const_host_device_scalarIT6_EEPKT4_S5_PKS7_SB_S5_SD_S8_SB_S5_SD_SB_PS3_PS7_21rocsparse_index_base_SG_SG_SG_bbb: ; @_ZN9rocsparseL26csrgemm_fill_block_per_rowILj128ELj16ELj256ELj137ELj64Eii21rocsparse_complex_numIfEEEvT5_PKS3_S5_NS_24const_host_device_scalarIT6_EEPKT4_S5_PKS7_SB_S5_SD_S8_SB_S5_SD_SB_PS3_PS7_21rocsparse_index_base_SG_SG_SG_bbb
; %bb.0:
	s_clause 0x6
	s_load_b32 s12, s[0:1], 0x98
	s_load_b256 s[4:11], s[0:1], 0x60
	s_load_b256 s[16:23], s[0:1], 0x40
	s_load_b128 s[40:43], s[0:1], 0x8
	s_load_b256 s[24:31], s[0:1], 0x20
	s_load_b64 s[2:3], s[0:1], 0x80
	s_load_b128 s[36:39], s[0:1], 0x88
	s_mov_b32 s35, 0
	s_mov_b32 s44, 0
	s_waitcnt lgkmcnt(0)
	s_bitcmp1_b32 s12, 0
	s_cselect_b32 s13, -1, 0
	s_bitcmp1_b32 s12, 16
	s_cselect_b32 s14, -1, 0
	s_delay_alu instid0(SALU_CYCLE_1) | instskip(SKIP_2) | instid1(VALU_DEP_1)
	s_xor_b32 s14, s14, -1
	s_bitcmp0_b32 s12, 0
	v_cndmask_b32_e64 v1, 0, 1, s14
	v_cmp_ne_u32_e32 vcc_lo, 1, v1
	s_cbranch_scc1 .LBB49_5
; %bb.1:
	s_load_b64 s[34:35], s[0:1], 0x18
	s_and_b32 vcc_lo, exec_lo, vcc_lo
	s_waitcnt lgkmcnt(0)
	s_mov_b32 s44, s34
	s_cbranch_vccnz .LBB49_3
; %bb.2:
	s_load_b32 s44, s[34:35], 0x0
.LBB49_3:
	s_and_not1_b32 vcc_lo, exec_lo, s14
	s_cbranch_vccnz .LBB49_5
; %bb.4:
	s_load_b32 s35, s[34:35], 0x4
.LBB49_5:
	s_bitcmp1_b32 s12, 8
	s_mov_b32 s34, 0
	s_cselect_b32 s45, -1, 0
	s_bfe_u32 s12, s12, 0x10008
	s_mov_b32 s33, 0
	s_cmp_eq_u32 s12, 0
	s_cbranch_scc1 .LBB49_11
; %bb.6:
	v_cmp_ne_u32_e32 vcc_lo, 1, v1
	s_mov_b32 s33, s20
	s_cbranch_vccnz .LBB49_8
; %bb.7:
	s_load_b32 s33, s[20:21], 0x0
.LBB49_8:
	v_cmp_ne_u32_e32 vcc_lo, 1, v1
	s_cbranch_vccnz .LBB49_10
; %bb.9:
	s_load_b32 s21, s[20:21], 0x4
.LBB49_10:
	s_waitcnt lgkmcnt(0)
	s_mov_b32 s34, s21
.LBB49_11:
	s_load_b32 s14, s[0:1], 0x0
	v_cmp_gt_u32_e64 s0, 0x100, v0
	v_lshlrev_b32_e32 v7, 3, v0
	v_or_b32_e32 v5, 0xffffff80, v0
	v_lshl_add_u32 v6, v0, 2, 0
	s_delay_alu instid0(VALU_DEP_4)
	s_and_saveexec_b32 s1, s0
	s_cbranch_execz .LBB49_14
; %bb.12:
	v_add3_u32 v1, v7, 0, 0x400
	v_or_b32_e32 v2, 0xffffff80, v0
	v_lshl_add_u32 v3, v0, 2, 0
	s_waitcnt lgkmcnt(0)
	v_mov_b32_e32 v4, s14
	v_mov_b32_e32 v8, 0
	s_mov_b32 s12, 0
.LBB49_13:                              ; =>This Inner Loop Header: Depth=1
	v_add_co_u32 v2, s20, 0x80, v2
	s_delay_alu instid0(VALU_DEP_1)
	s_xor_b32 s20, s20, -1
	ds_store_b32 v3, v4
	ds_store_2addr_b32 v1, v8, v8 offset1:1
	v_add_nc_u32_e32 v1, 0x400, v1
	v_add_nc_u32_e32 v3, 0x200, v3
	s_and_b32 s20, exec_lo, s20
	s_delay_alu instid0(SALU_CYCLE_1) | instskip(NEXT) | instid1(SALU_CYCLE_1)
	s_or_b32 s12, s20, s12
	s_and_not1_b32 exec_lo, exec_lo, s12
	s_cbranch_execnz .LBB49_13
.LBB49_14:
	s_or_b32 exec_lo, exec_lo, s1
	s_waitcnt lgkmcnt(0)
	s_barrier
	buffer_gl0_inv
	s_load_b32 s1, s[40:41], 0x0
	s_mov_b32 s21, 0
	v_lshrrev_b32_e32 v8, 4, v0
	s_waitcnt lgkmcnt(0)
	s_add_i32 s20, s1, s15
	s_delay_alu instid0(SALU_CYCLE_1) | instskip(NEXT) | instid1(SALU_CYCLE_1)
	s_lshl_b64 s[20:21], s[20:21], 2
	s_add_u32 s20, s42, s20
	s_addc_u32 s21, s43, s21
	s_and_b32 vcc_lo, exec_lo, s13
	s_load_b32 s12, s[20:21], 0x0
	s_cbranch_vccz .LBB49_34
; %bb.15:
	s_waitcnt lgkmcnt(0)
	s_ashr_i32 s13, s12, 31
	v_subrev_nc_u32_e32 v1, s36, v8
	s_lshl_b64 s[20:21], s[12:13], 2
	s_mov_b32 s13, exec_lo
	s_add_u32 s20, s24, s20
	s_addc_u32 s21, s25, s21
	s_load_b64 s[20:21], s[20:21], 0x0
	s_waitcnt lgkmcnt(0)
	v_add_nc_u32_e32 v1, s20, v1
	s_sub_i32 s1, s21, s36
	s_delay_alu instid0(VALU_DEP_1) | instid1(SALU_CYCLE_1)
	v_cmpx_gt_i32_e64 s1, v1
	s_cbranch_execz .LBB49_33
; %bb.16:
	v_and_b32_e32 v2, 15, v0
	s_mov_b32 s15, 0
	s_delay_alu instid0(VALU_DEP_1)
	v_subrev_nc_u32_e32 v9, s37, v2
	s_branch .LBB49_18
.LBB49_17:                              ;   in Loop: Header=BB49_18 Depth=1
	s_or_b32 exec_lo, exec_lo, s20
	v_add_nc_u32_e32 v1, 8, v1
	s_delay_alu instid0(VALU_DEP_1) | instskip(SKIP_1) | instid1(SALU_CYCLE_1)
	v_cmp_le_i32_e32 vcc_lo, s1, v1
	s_or_b32 s15, vcc_lo, s15
	s_and_not1_b32 exec_lo, exec_lo, s15
	s_cbranch_execz .LBB49_33
.LBB49_18:                              ; =>This Loop Header: Depth=1
                                        ;     Child Loop BB49_21 Depth 2
                                        ;       Child Loop BB49_23 Depth 3
	v_ashrrev_i32_e32 v2, 31, v1
	s_mov_b32 s20, exec_lo
	s_delay_alu instid0(VALU_DEP_1) | instskip(NEXT) | instid1(VALU_DEP_1)
	v_lshlrev_b64 v[3:4], 2, v[1:2]
	v_add_co_u32 v3, vcc_lo, s26, v3
	s_delay_alu instid0(VALU_DEP_2) | instskip(SKIP_3) | instid1(VALU_DEP_1)
	v_add_co_ci_u32_e32 v4, vcc_lo, s27, v4, vcc_lo
	global_load_b32 v3, v[3:4], off
	s_waitcnt vmcnt(0)
	v_subrev_nc_u32_e32 v3, s36, v3
	v_ashrrev_i32_e32 v4, 31, v3
	s_delay_alu instid0(VALU_DEP_1) | instskip(NEXT) | instid1(VALU_DEP_1)
	v_lshlrev_b64 v[3:4], 2, v[3:4]
	v_add_co_u32 v3, vcc_lo, s30, v3
	s_delay_alu instid0(VALU_DEP_2) | instskip(SKIP_4) | instid1(VALU_DEP_1)
	v_add_co_ci_u32_e32 v4, vcc_lo, s31, v4, vcc_lo
	global_load_b64 v[3:4], v[3:4], off
	s_waitcnt vmcnt(0)
	v_subrev_nc_u32_e32 v10, s37, v4
	v_add_nc_u32_e32 v3, v3, v9
	v_cmpx_lt_i32_e64 v3, v10
	s_cbranch_execz .LBB49_17
; %bb.19:                               ;   in Loop: Header=BB49_18 Depth=1
	v_lshlrev_b64 v[11:12], 3, v[1:2]
	s_mov_b32 s21, 0
	s_delay_alu instid0(VALU_DEP_1) | instskip(NEXT) | instid1(VALU_DEP_2)
	v_add_co_u32 v11, vcc_lo, s28, v11
	v_add_co_ci_u32_e32 v12, vcc_lo, s29, v12, vcc_lo
	global_load_b64 v[12:13], v[11:12], off
	s_waitcnt vmcnt(0)
	v_mul_f32_e64 v2, v13, -s35
	s_delay_alu instid0(VALU_DEP_1) | instskip(NEXT) | instid1(VALU_DEP_1)
	v_dual_mul_f32 v11, s44, v13 :: v_dual_fmac_f32 v2, s44, v12
	v_fmac_f32_e32 v11, s35, v12
	s_branch .LBB49_21
.LBB49_20:                              ;   in Loop: Header=BB49_21 Depth=2
	s_or_b32 exec_lo, exec_lo, s24
	v_add_nc_u32_e32 v3, 16, v3
	s_delay_alu instid0(VALU_DEP_1) | instskip(SKIP_1) | instid1(SALU_CYCLE_1)
	v_cmp_ge_i32_e32 vcc_lo, v3, v10
	s_or_b32 s21, vcc_lo, s21
	s_and_not1_b32 exec_lo, exec_lo, s21
	s_cbranch_execz .LBB49_17
.LBB49_21:                              ;   Parent Loop BB49_18 Depth=1
                                        ; =>  This Loop Header: Depth=2
                                        ;       Child Loop BB49_23 Depth 3
	v_ashrrev_i32_e32 v4, 31, v3
	s_mov_b32 s24, 0
	s_delay_alu instid0(VALU_DEP_1) | instskip(SKIP_1) | instid1(VALU_DEP_2)
	v_lshlrev_b64 v[12:13], 2, v[3:4]
	v_lshlrev_b64 v[14:15], 3, v[3:4]
	v_add_co_u32 v12, vcc_lo, s16, v12
	s_delay_alu instid0(VALU_DEP_3)
	v_add_co_ci_u32_e32 v13, vcc_lo, s17, v13, vcc_lo
	global_load_b32 v4, v[12:13], off
	v_add_co_u32 v12, vcc_lo, s18, v14
	v_add_co_ci_u32_e32 v13, vcc_lo, s19, v15, vcc_lo
	global_load_b64 v[14:15], v[12:13], off
	s_waitcnt vmcnt(1)
	v_subrev_nc_u32_e32 v4, s37, v4
	s_delay_alu instid0(VALU_DEP_1) | instskip(SKIP_3) | instid1(VALU_DEP_2)
	v_mul_lo_u32 v16, 0x89, v4
	s_waitcnt vmcnt(0)
	v_mul_f32_e64 v12, v15, -v11
	v_mul_f32_e32 v13, v2, v15
	v_fmac_f32_e32 v12, v2, v14
	s_delay_alu instid0(VALU_DEP_2)
	v_dual_fmac_f32 v13, v11, v14 :: v_dual_and_b32 v14, 0xff, v16
	s_branch .LBB49_23
.LBB49_22:                              ;   in Loop: Header=BB49_23 Depth=3
	s_or_b32 exec_lo, exec_lo, s25
	s_xor_b32 s25, s40, -1
	s_delay_alu instid0(SALU_CYCLE_1) | instskip(NEXT) | instid1(SALU_CYCLE_1)
	s_and_b32 s25, exec_lo, s25
	s_or_b32 s24, s25, s24
	s_delay_alu instid0(SALU_CYCLE_1)
	s_and_not1_b32 exec_lo, exec_lo, s24
	s_cbranch_execz .LBB49_20
.LBB49_23:                              ;   Parent Loop BB49_18 Depth=1
                                        ;     Parent Loop BB49_21 Depth=2
                                        ; =>    This Inner Loop Header: Depth=3
	s_delay_alu instid0(VALU_DEP_1)
	v_lshl_add_u32 v15, v14, 2, 0
	s_mov_b32 s25, exec_lo
                                        ; implicit-def: $sgpr40
	ds_load_b32 v16, v15
	s_waitcnt lgkmcnt(0)
	v_cmpx_ne_u32_e64 v16, v4
	s_xor_b32 s25, exec_lo, s25
	s_cbranch_execz .LBB49_31
; %bb.24:                               ;   in Loop: Header=BB49_23 Depth=3
	s_mov_b32 s41, exec_lo
                                        ; implicit-def: $sgpr40
	v_cmpx_ne_u32_e64 s14, v16
	s_xor_b32 s41, exec_lo, s41
; %bb.25:                               ;   in Loop: Header=BB49_23 Depth=3
	v_add_nc_u32_e32 v14, 1, v14
	s_mov_b32 s40, -1
                                        ; implicit-def: $vgpr15
	s_delay_alu instid0(VALU_DEP_1)
	v_and_b32_e32 v14, 0xff, v14
; %bb.26:                               ;   in Loop: Header=BB49_23 Depth=3
	s_and_not1_saveexec_b32 s41, s41
	s_cbranch_execz .LBB49_30
; %bb.27:                               ;   in Loop: Header=BB49_23 Depth=3
	v_mov_b32_e32 v16, s14
	s_mov_b32 s42, -1
	s_mov_b32 s43, exec_lo
	ds_cmpstore_rtn_b32 v16, v15, v4, v16
	s_waitcnt lgkmcnt(0)
	v_cmpx_eq_u32_e64 s14, v16
	s_cbranch_execz .LBB49_29
; %bb.28:                               ;   in Loop: Header=BB49_23 Depth=3
	v_lshl_add_u32 v15, v14, 2, v15
	s_xor_b32 s42, exec_lo, -1
	ds_add_f32 v15, v12 offset:1024
	ds_add_f32 v15, v13 offset:1028
.LBB49_29:                              ;   in Loop: Header=BB49_23 Depth=3
	s_or_b32 exec_lo, exec_lo, s43
	s_delay_alu instid0(SALU_CYCLE_1) | instskip(SKIP_1) | instid1(SALU_CYCLE_1)
	s_and_not1_b32 s40, s40, exec_lo
	s_and_b32 s42, s42, exec_lo
	s_or_b32 s40, s40, s42
.LBB49_30:                              ;   in Loop: Header=BB49_23 Depth=3
	s_or_b32 exec_lo, exec_lo, s41
	s_delay_alu instid0(SALU_CYCLE_1)
	s_and_b32 s40, s40, exec_lo
                                        ; implicit-def: $vgpr15
.LBB49_31:                              ;   in Loop: Header=BB49_23 Depth=3
	s_and_not1_saveexec_b32 s25, s25
	s_cbranch_execz .LBB49_22
; %bb.32:                               ;   in Loop: Header=BB49_23 Depth=3
	v_lshl_add_u32 v15, v14, 2, v15
	s_and_not1_b32 s40, s40, exec_lo
	ds_add_f32 v15, v12 offset:1024
	ds_add_f32 v15, v13 offset:1028
	s_branch .LBB49_22
.LBB49_33:
	s_or_b32 exec_lo, exec_lo, s13
.LBB49_34:
	s_delay_alu instid0(SALU_CYCLE_1)
	s_and_not1_b32 vcc_lo, exec_lo, s45
	s_cbranch_vccnz .LBB49_51
; %bb.35:
	s_waitcnt lgkmcnt(0)
	s_ashr_i32 s13, s12, 31
	v_subrev_nc_u32_e32 v1, s39, v0
	s_lshl_b64 s[16:17], s[12:13], 2
	s_mov_b32 s13, exec_lo
	s_add_u32 s16, s22, s16
	s_addc_u32 s17, s23, s17
	s_load_b64 s[16:17], s[16:17], 0x0
	s_waitcnt lgkmcnt(0)
	v_add_nc_u32_e32 v1, s16, v1
	s_sub_i32 s1, s17, s39
	s_delay_alu instid0(VALU_DEP_1) | instid1(SALU_CYCLE_1)
	v_cmpx_gt_i32_e64 s1, v1
	s_cbranch_execz .LBB49_50
; %bb.36:
	s_mov_b32 s15, 0
	s_branch .LBB49_38
.LBB49_37:                              ;   in Loop: Header=BB49_38 Depth=1
	s_or_b32 exec_lo, exec_lo, s16
	v_add_nc_u32_e32 v1, 0x80, v1
	s_delay_alu instid0(VALU_DEP_1) | instskip(SKIP_1) | instid1(SALU_CYCLE_1)
	v_cmp_le_i32_e32 vcc_lo, s1, v1
	s_or_b32 s15, vcc_lo, s15
	s_and_not1_b32 exec_lo, exec_lo, s15
	s_cbranch_execz .LBB49_50
.LBB49_38:                              ; =>This Loop Header: Depth=1
                                        ;     Child Loop BB49_40 Depth 2
	v_ashrrev_i32_e32 v2, 31, v1
	s_mov_b32 s16, 0
	s_delay_alu instid0(VALU_DEP_1) | instskip(SKIP_1) | instid1(VALU_DEP_2)
	v_lshlrev_b64 v[3:4], 2, v[1:2]
	v_lshlrev_b64 v[9:10], 3, v[1:2]
	v_add_co_u32 v3, vcc_lo, s4, v3
	s_delay_alu instid0(VALU_DEP_3) | instskip(NEXT) | instid1(VALU_DEP_3)
	v_add_co_ci_u32_e32 v4, vcc_lo, s5, v4, vcc_lo
	v_add_co_u32 v2, vcc_lo, s6, v9
	global_load_b32 v4, v[3:4], off
	v_add_co_ci_u32_e32 v3, vcc_lo, s7, v10, vcc_lo
	global_load_b64 v[9:10], v[2:3], off
	s_waitcnt vmcnt(1)
	v_subrev_nc_u32_e32 v2, s39, v4
	s_delay_alu instid0(VALU_DEP_1) | instskip(SKIP_2) | instid1(VALU_DEP_1)
	v_mul_lo_u32 v11, 0x89, v2
	s_waitcnt vmcnt(0)
	v_mul_f32_e64 v3, v10, -s34
	v_dual_mul_f32 v4, s33, v10 :: v_dual_fmac_f32 v3, s33, v9
	s_delay_alu instid0(VALU_DEP_1)
	v_dual_fmac_f32 v4, s34, v9 :: v_dual_and_b32 v9, 0xff, v11
	s_branch .LBB49_40
.LBB49_39:                              ;   in Loop: Header=BB49_40 Depth=2
	s_or_b32 exec_lo, exec_lo, s17
	s_xor_b32 s17, s18, -1
	s_delay_alu instid0(SALU_CYCLE_1) | instskip(NEXT) | instid1(SALU_CYCLE_1)
	s_and_b32 s17, exec_lo, s17
	s_or_b32 s16, s17, s16
	s_delay_alu instid0(SALU_CYCLE_1)
	s_and_not1_b32 exec_lo, exec_lo, s16
	s_cbranch_execz .LBB49_37
.LBB49_40:                              ;   Parent Loop BB49_38 Depth=1
                                        ; =>  This Inner Loop Header: Depth=2
	s_delay_alu instid0(VALU_DEP_1)
	v_lshl_add_u32 v10, v9, 2, 0
	s_mov_b32 s17, exec_lo
                                        ; implicit-def: $sgpr18
	ds_load_b32 v11, v10
	s_waitcnt lgkmcnt(0)
	v_cmpx_ne_u32_e64 v11, v2
	s_xor_b32 s17, exec_lo, s17
	s_cbranch_execz .LBB49_48
; %bb.41:                               ;   in Loop: Header=BB49_40 Depth=2
	s_mov_b32 s19, exec_lo
                                        ; implicit-def: $sgpr18
	v_cmpx_ne_u32_e64 s14, v11
	s_xor_b32 s19, exec_lo, s19
; %bb.42:                               ;   in Loop: Header=BB49_40 Depth=2
	v_add_nc_u32_e32 v9, 1, v9
	s_mov_b32 s18, -1
                                        ; implicit-def: $vgpr10
	s_delay_alu instid0(VALU_DEP_1)
	v_and_b32_e32 v9, 0xff, v9
; %bb.43:                               ;   in Loop: Header=BB49_40 Depth=2
	s_and_not1_saveexec_b32 s19, s19
	s_cbranch_execz .LBB49_47
; %bb.44:                               ;   in Loop: Header=BB49_40 Depth=2
	v_mov_b32_e32 v11, s14
	s_mov_b32 s20, -1
	s_mov_b32 s21, exec_lo
	ds_cmpstore_rtn_b32 v11, v10, v2, v11
	s_waitcnt lgkmcnt(0)
	v_cmpx_eq_u32_e64 s14, v11
	s_cbranch_execz .LBB49_46
; %bb.45:                               ;   in Loop: Header=BB49_40 Depth=2
	v_lshl_add_u32 v10, v9, 2, v10
	s_xor_b32 s20, exec_lo, -1
	ds_add_f32 v10, v3 offset:1024
	ds_add_f32 v10, v4 offset:1028
.LBB49_46:                              ;   in Loop: Header=BB49_40 Depth=2
	s_or_b32 exec_lo, exec_lo, s21
	s_delay_alu instid0(SALU_CYCLE_1) | instskip(SKIP_1) | instid1(SALU_CYCLE_1)
	s_and_not1_b32 s18, s18, exec_lo
	s_and_b32 s20, s20, exec_lo
	s_or_b32 s18, s18, s20
.LBB49_47:                              ;   in Loop: Header=BB49_40 Depth=2
	s_or_b32 exec_lo, exec_lo, s19
	s_delay_alu instid0(SALU_CYCLE_1)
	s_and_b32 s18, s18, exec_lo
                                        ; implicit-def: $vgpr10
.LBB49_48:                              ;   in Loop: Header=BB49_40 Depth=2
	s_and_not1_saveexec_b32 s17, s17
	s_cbranch_execz .LBB49_39
; %bb.49:                               ;   in Loop: Header=BB49_40 Depth=2
	v_lshl_add_u32 v10, v9, 2, v10
	s_and_not1_b32 s18, s18, exec_lo
	ds_add_f32 v10, v3 offset:1024
	ds_add_f32 v10, v4 offset:1028
	s_branch .LBB49_39
.LBB49_50:
	s_or_b32 exec_lo, exec_lo, s13
.LBB49_51:
	s_waitcnt lgkmcnt(0)
	s_barrier
	buffer_gl0_inv
	s_and_saveexec_b32 s4, s0
	s_cbranch_execz .LBB49_60
; %bb.52:
	v_mbcnt_lo_u32_b32 v1, -1, 0
	v_dual_mov_b32 v9, 0 :: v_dual_and_b32 v2, 4, v8
	v_add3_u32 v4, v7, 0, 0x400
	v_cmp_lt_u32_e32 vcc_lo, 63, v0
	s_delay_alu instid0(VALU_DEP_4) | instskip(NEXT) | instid1(VALU_DEP_4)
	v_xor_b32_e32 v1, 63, v1
	v_dual_mov_b32 v8, 0 :: v_dual_add_nc_u32 v7, 0, v2
	v_cmp_eq_u32_e64 s0, 0x7f, v0
	s_mov_b32 s5, 0
	s_delay_alu instid0(VALU_DEP_3)
	v_lshrrev_b64 v[1:2], v1, -1
	s_branch .LBB49_54
.LBB49_53:                              ;   in Loop: Header=BB49_54 Depth=1
	s_or_b32 exec_lo, exec_lo, s1
	s_waitcnt lgkmcnt(0)
	s_barrier
	buffer_gl0_inv
	ds_load_b32 v2, v8 offset:3076
	v_add_co_u32 v5, s1, 0x80, v5
	s_delay_alu instid0(VALU_DEP_1) | instskip(SKIP_3) | instid1(SALU_CYCLE_1)
	s_xor_b32 s1, s1, -1
	v_add_nc_u32_e32 v4, 0x400, v4
	v_add_nc_u32_e32 v6, 0x200, v6
	s_and_b32 s1, exec_lo, s1
	s_or_b32 s5, s1, s5
	s_waitcnt lgkmcnt(0)
	v_add_nc_u32_e32 v9, v2, v9
	s_and_not1_b32 exec_lo, exec_lo, s5
	s_cbranch_execz .LBB49_60
.LBB49_54:                              ; =>This Inner Loop Header: Depth=1
	ds_load_b32 v10, v6
	ds_load_2addr_b32 v[2:3], v4 offset1:1
	s_waitcnt lgkmcnt(0)
	s_barrier
	buffer_gl0_inv
	v_cmp_gt_i32_e64 s1, s14, v10
	s_delay_alu instid0(VALU_DEP_1) | instskip(NEXT) | instid1(SALU_CYCLE_1)
	s_bcnt1_i32_b32 s6, s1
	v_dual_mov_b32 v12, s6 :: v_dual_and_b32 v11, s1, v1
	s_delay_alu instid0(VALU_DEP_1)
	v_bcnt_u32_b32 v11, v11, 0
	ds_store_b32 v7, v12 offset:3072
	s_waitcnt lgkmcnt(0)
	s_barrier
	buffer_gl0_inv
	s_and_saveexec_b32 s6, vcc_lo
	s_cbranch_execnz .LBB49_57
; %bb.55:                               ;   in Loop: Header=BB49_54 Depth=1
	s_or_b32 exec_lo, exec_lo, s6
	s_and_saveexec_b32 s6, s1
	s_cbranch_execnz .LBB49_58
.LBB49_56:                              ;   in Loop: Header=BB49_54 Depth=1
	s_or_b32 exec_lo, exec_lo, s6
	s_and_saveexec_b32 s1, s0
	s_cbranch_execz .LBB49_53
	s_branch .LBB49_59
.LBB49_57:                              ;   in Loop: Header=BB49_54 Depth=1
	ds_load_b32 v12, v8 offset:3072
	s_waitcnt lgkmcnt(0)
	v_add_nc_u32_e32 v11, v12, v11
	s_or_b32 exec_lo, exec_lo, s6
	s_and_saveexec_b32 s6, s1
	s_cbranch_execz .LBB49_56
.LBB49_58:                              ;   in Loop: Header=BB49_54 Depth=1
	s_delay_alu instid0(VALU_DEP_1) | instskip(NEXT) | instid1(VALU_DEP_1)
	v_add3_u32 v12, v9, -1, v11
	v_lshlrev_b32_e32 v13, 3, v12
	v_lshl_add_u32 v12, v12, 2, 0
	s_delay_alu instid0(VALU_DEP_2)
	v_add3_u32 v13, 0, v13, 0x400
	ds_store_b32 v12, v10
	ds_store_2addr_b32 v13, v2, v3 offset1:1
	s_or_b32 exec_lo, exec_lo, s6
	s_and_saveexec_b32 s1, s0
	s_cbranch_execz .LBB49_53
.LBB49_59:                              ;   in Loop: Header=BB49_54 Depth=1
	ds_store_b32 v8, v11 offset:3076
	s_branch .LBB49_53
.LBB49_60:
	s_or_b32 exec_lo, exec_lo, s4
	s_ashr_i32 s13, s12, 31
	s_mov_b32 s5, exec_lo
	s_lshl_b64 s[0:1], s[12:13], 2
	s_delay_alu instid0(SALU_CYCLE_1) | instskip(SKIP_4) | instid1(SALU_CYCLE_1)
	s_add_u32 s0, s8, s0
	s_addc_u32 s1, s9, s1
	s_load_b64 s[0:1], s[0:1], 0x0
	s_waitcnt lgkmcnt(0)
	s_sub_i32 s4, s1, s0
	v_cmpx_gt_i32_e64 s4, v0
	s_cbranch_execz .LBB49_70
; %bb.61:
	s_sub_i32 s5, s0, s38
	s_sub_i32 s0, s0, s1
	s_and_b32 s1, s4, 7
	s_cmp_lt_u32 s0, -7
	s_mov_b32 s9, 0
	s_cselect_b32 s6, -1, 0
	s_and_b32 s7, s4, -8
	s_cmp_lg_u32 s1, 0
	s_cselect_b32 s8, -1, 0
	s_branch .LBB49_63
.LBB49_62:                              ;   in Loop: Header=BB49_63 Depth=1
	s_delay_alu instid0(VALU_DEP_1) | instskip(SKIP_3) | instid1(VALU_DEP_3)
	v_ashrrev_i32_e32 v4, 31, v3
	v_add_nc_u32_e32 v0, 0x80, v0
	s_waitcnt lgkmcnt(1)
	v_add_nc_u32_e32 v8, s38, v5
	v_lshlrev_b64 v[6:7], 2, v[3:4]
	v_lshlrev_b64 v[3:4], 3, v[3:4]
	v_cmp_le_i32_e32 vcc_lo, s4, v0
	s_delay_alu instid0(VALU_DEP_3) | instskip(NEXT) | instid1(VALU_DEP_1)
	v_add_co_u32 v5, s0, s10, v6
	v_add_co_ci_u32_e64 v6, s0, s11, v7, s0
	s_delay_alu instid0(VALU_DEP_4) | instskip(NEXT) | instid1(VALU_DEP_1)
	v_add_co_u32 v3, s0, s2, v3
	v_add_co_ci_u32_e64 v4, s0, s3, v4, s0
	s_or_b32 s9, vcc_lo, s9
	global_store_b32 v[5:6], v8, off
	s_waitcnt lgkmcnt(0)
	global_store_b64 v[3:4], v[1:2], off
	s_and_not1_b32 exec_lo, exec_lo, s9
	s_cbranch_execz .LBB49_70
.LBB49_63:                              ; =>This Loop Header: Depth=1
                                        ;     Child Loop BB49_65 Depth 2
                                        ;     Child Loop BB49_69 Depth 2
	v_lshlrev_b32_e32 v1, 2, v0
	s_and_not1_b32 vcc_lo, exec_lo, s6
	s_mov_b32 s0, 0
	s_delay_alu instid0(VALU_DEP_1) | instskip(NEXT) | instid1(VALU_DEP_1)
	v_dual_mov_b32 v3, s5 :: v_dual_add_nc_u32 v2, 0, v1
	v_add3_u32 v1, v2, v1, 0x400
	ds_load_b32 v5, v2
	ds_load_2addr_b32 v[1:2], v1 offset1:1
	s_cbranch_vccnz .LBB49_67
; %bb.64:                               ;   in Loop: Header=BB49_63 Depth=1
	v_mov_b32_e32 v3, s5
	s_mov_b32 s12, 0
	s_set_inst_prefetch_distance 0x1
	.p2align	6
.LBB49_65:                              ;   Parent Loop BB49_63 Depth=1
                                        ; =>  This Inner Loop Header: Depth=2
	v_mov_b32_e32 v4, s12
	s_add_i32 s0, s0, 8
	s_add_i32 s12, s12, 32
	s_cmp_eq_u32 s7, s0
	ds_load_2addr_b32 v[6:7], v4 offset1:1
	ds_load_2addr_b32 v[8:9], v4 offset0:2 offset1:3
	ds_load_2addr_b32 v[10:11], v4 offset0:4 offset1:5
	ds_load_2addr_b32 v[12:13], v4 offset0:6 offset1:7
	s_waitcnt lgkmcnt(3)
	v_cmp_gt_i32_e32 vcc_lo, v5, v6
	v_cndmask_b32_e64 v4, 0, 1, vcc_lo
	s_waitcnt lgkmcnt(2)
	v_cmp_gt_i32_e32 vcc_lo, v5, v8
	v_cndmask_b32_e64 v6, 0, 1, vcc_lo
	v_cmp_gt_i32_e32 vcc_lo, v5, v7
	v_add_co_ci_u32_e32 v3, vcc_lo, v3, v4, vcc_lo
	s_waitcnt lgkmcnt(1)
	v_cmp_gt_i32_e32 vcc_lo, v5, v10
	v_cndmask_b32_e64 v4, 0, 1, vcc_lo
	v_cmp_gt_i32_e32 vcc_lo, v5, v9
	v_add_co_ci_u32_e32 v3, vcc_lo, v3, v6, vcc_lo
	;; [unrolled: 5-line block ×3, first 2 shown]
	v_cmp_gt_i32_e32 vcc_lo, v5, v13
	s_delay_alu instid0(VALU_DEP_2)
	v_add_co_ci_u32_e32 v3, vcc_lo, v3, v6, vcc_lo
	s_cbranch_scc0 .LBB49_65
; %bb.66:                               ;   in Loop: Header=BB49_63 Depth=1
	s_set_inst_prefetch_distance 0x2
	s_mov_b32 s0, s7
.LBB49_67:                              ;   in Loop: Header=BB49_63 Depth=1
	s_and_not1_b32 vcc_lo, exec_lo, s8
	s_cbranch_vccnz .LBB49_62
; %bb.68:                               ;   in Loop: Header=BB49_63 Depth=1
	s_lshl_b32 s0, s0, 2
	s_mov_b32 s12, s1
	s_add_i32 s0, s0, 0
.LBB49_69:                              ;   Parent Loop BB49_63 Depth=1
                                        ; =>  This Inner Loop Header: Depth=2
	s_delay_alu instid0(SALU_CYCLE_1)
	v_mov_b32_e32 v4, s0
	s_add_i32 s12, s12, -1
	s_add_i32 s0, s0, 4
	s_cmp_lg_u32 s12, 0
	ds_load_b32 v4, v4
	s_waitcnt lgkmcnt(0)
	v_cmp_gt_i32_e32 vcc_lo, v5, v4
	v_add_co_ci_u32_e32 v3, vcc_lo, 0, v3, vcc_lo
	s_cbranch_scc1 .LBB49_69
	s_branch .LBB49_62
.LBB49_70:
	s_nop 0
	s_sendmsg sendmsg(MSG_DEALLOC_VGPRS)
	s_endpgm
	.section	.rodata,"a",@progbits
	.p2align	6, 0x0
	.amdhsa_kernel _ZN9rocsparseL26csrgemm_fill_block_per_rowILj128ELj16ELj256ELj137ELj64Eii21rocsparse_complex_numIfEEEvT5_PKS3_S5_NS_24const_host_device_scalarIT6_EEPKT4_S5_PKS7_SB_S5_SD_S8_SB_S5_SD_SB_PS3_PS7_21rocsparse_index_base_SG_SG_SG_bbb
		.amdhsa_group_segment_fixed_size 0
		.amdhsa_private_segment_fixed_size 0
		.amdhsa_kernarg_size 156
		.amdhsa_user_sgpr_count 15
		.amdhsa_user_sgpr_dispatch_ptr 0
		.amdhsa_user_sgpr_queue_ptr 0
		.amdhsa_user_sgpr_kernarg_segment_ptr 1
		.amdhsa_user_sgpr_dispatch_id 0
		.amdhsa_user_sgpr_private_segment_size 0
		.amdhsa_wavefront_size32 1
		.amdhsa_uses_dynamic_stack 0
		.amdhsa_enable_private_segment 0
		.amdhsa_system_sgpr_workgroup_id_x 1
		.amdhsa_system_sgpr_workgroup_id_y 0
		.amdhsa_system_sgpr_workgroup_id_z 0
		.amdhsa_system_sgpr_workgroup_info 0
		.amdhsa_system_vgpr_workitem_id 0
		.amdhsa_next_free_vgpr 17
		.amdhsa_next_free_sgpr 46
		.amdhsa_reserve_vcc 1
		.amdhsa_float_round_mode_32 0
		.amdhsa_float_round_mode_16_64 0
		.amdhsa_float_denorm_mode_32 3
		.amdhsa_float_denorm_mode_16_64 3
		.amdhsa_dx10_clamp 1
		.amdhsa_ieee_mode 1
		.amdhsa_fp16_overflow 0
		.amdhsa_workgroup_processor_mode 1
		.amdhsa_memory_ordered 1
		.amdhsa_forward_progress 0
		.amdhsa_shared_vgpr_count 0
		.amdhsa_exception_fp_ieee_invalid_op 0
		.amdhsa_exception_fp_denorm_src 0
		.amdhsa_exception_fp_ieee_div_zero 0
		.amdhsa_exception_fp_ieee_overflow 0
		.amdhsa_exception_fp_ieee_underflow 0
		.amdhsa_exception_fp_ieee_inexact 0
		.amdhsa_exception_int_div_zero 0
	.end_amdhsa_kernel
	.section	.text._ZN9rocsparseL26csrgemm_fill_block_per_rowILj128ELj16ELj256ELj137ELj64Eii21rocsparse_complex_numIfEEEvT5_PKS3_S5_NS_24const_host_device_scalarIT6_EEPKT4_S5_PKS7_SB_S5_SD_S8_SB_S5_SD_SB_PS3_PS7_21rocsparse_index_base_SG_SG_SG_bbb,"axG",@progbits,_ZN9rocsparseL26csrgemm_fill_block_per_rowILj128ELj16ELj256ELj137ELj64Eii21rocsparse_complex_numIfEEEvT5_PKS3_S5_NS_24const_host_device_scalarIT6_EEPKT4_S5_PKS7_SB_S5_SD_S8_SB_S5_SD_SB_PS3_PS7_21rocsparse_index_base_SG_SG_SG_bbb,comdat
.Lfunc_end49:
	.size	_ZN9rocsparseL26csrgemm_fill_block_per_rowILj128ELj16ELj256ELj137ELj64Eii21rocsparse_complex_numIfEEEvT5_PKS3_S5_NS_24const_host_device_scalarIT6_EEPKT4_S5_PKS7_SB_S5_SD_S8_SB_S5_SD_SB_PS3_PS7_21rocsparse_index_base_SG_SG_SG_bbb, .Lfunc_end49-_ZN9rocsparseL26csrgemm_fill_block_per_rowILj128ELj16ELj256ELj137ELj64Eii21rocsparse_complex_numIfEEEvT5_PKS3_S5_NS_24const_host_device_scalarIT6_EEPKT4_S5_PKS7_SB_S5_SD_S8_SB_S5_SD_SB_PS3_PS7_21rocsparse_index_base_SG_SG_SG_bbb
                                        ; -- End function
	.section	.AMDGPU.csdata,"",@progbits
; Kernel info:
; codeLenInByte = 2664
; NumSgprs: 48
; NumVgprs: 17
; ScratchSize: 0
; MemoryBound: 0
; FloatMode: 240
; IeeeMode: 1
; LDSByteSize: 0 bytes/workgroup (compile time only)
; SGPRBlocks: 5
; VGPRBlocks: 2
; NumSGPRsForWavesPerEU: 48
; NumVGPRsForWavesPerEU: 17
; Occupancy: 16
; WaveLimiterHint : 1
; COMPUTE_PGM_RSRC2:SCRATCH_EN: 0
; COMPUTE_PGM_RSRC2:USER_SGPR: 15
; COMPUTE_PGM_RSRC2:TRAP_HANDLER: 0
; COMPUTE_PGM_RSRC2:TGID_X_EN: 1
; COMPUTE_PGM_RSRC2:TGID_Y_EN: 0
; COMPUTE_PGM_RSRC2:TGID_Z_EN: 0
; COMPUTE_PGM_RSRC2:TIDIG_COMP_CNT: 0
	.section	.text._ZN9rocsparseL26csrgemm_fill_block_per_rowILj256ELj32ELj512ELj137ELj32Eii21rocsparse_complex_numIfEEEvT5_PKS3_S5_NS_24const_host_device_scalarIT6_EEPKT4_S5_PKS7_SB_S5_SD_S8_SB_S5_SD_SB_PS3_PS7_21rocsparse_index_base_SG_SG_SG_bbb,"axG",@progbits,_ZN9rocsparseL26csrgemm_fill_block_per_rowILj256ELj32ELj512ELj137ELj32Eii21rocsparse_complex_numIfEEEvT5_PKS3_S5_NS_24const_host_device_scalarIT6_EEPKT4_S5_PKS7_SB_S5_SD_S8_SB_S5_SD_SB_PS3_PS7_21rocsparse_index_base_SG_SG_SG_bbb,comdat
	.globl	_ZN9rocsparseL26csrgemm_fill_block_per_rowILj256ELj32ELj512ELj137ELj32Eii21rocsparse_complex_numIfEEEvT5_PKS3_S5_NS_24const_host_device_scalarIT6_EEPKT4_S5_PKS7_SB_S5_SD_S8_SB_S5_SD_SB_PS3_PS7_21rocsparse_index_base_SG_SG_SG_bbb ; -- Begin function _ZN9rocsparseL26csrgemm_fill_block_per_rowILj256ELj32ELj512ELj137ELj32Eii21rocsparse_complex_numIfEEEvT5_PKS3_S5_NS_24const_host_device_scalarIT6_EEPKT4_S5_PKS7_SB_S5_SD_S8_SB_S5_SD_SB_PS3_PS7_21rocsparse_index_base_SG_SG_SG_bbb
	.p2align	8
	.type	_ZN9rocsparseL26csrgemm_fill_block_per_rowILj256ELj32ELj512ELj137ELj32Eii21rocsparse_complex_numIfEEEvT5_PKS3_S5_NS_24const_host_device_scalarIT6_EEPKT4_S5_PKS7_SB_S5_SD_S8_SB_S5_SD_SB_PS3_PS7_21rocsparse_index_base_SG_SG_SG_bbb,@function
_ZN9rocsparseL26csrgemm_fill_block_per_rowILj256ELj32ELj512ELj137ELj32Eii21rocsparse_complex_numIfEEEvT5_PKS3_S5_NS_24const_host_device_scalarIT6_EEPKT4_S5_PKS7_SB_S5_SD_S8_SB_S5_SD_SB_PS3_PS7_21rocsparse_index_base_SG_SG_SG_bbb: ; @_ZN9rocsparseL26csrgemm_fill_block_per_rowILj256ELj32ELj512ELj137ELj32Eii21rocsparse_complex_numIfEEEvT5_PKS3_S5_NS_24const_host_device_scalarIT6_EEPKT4_S5_PKS7_SB_S5_SD_S8_SB_S5_SD_SB_PS3_PS7_21rocsparse_index_base_SG_SG_SG_bbb
; %bb.0:
	s_clause 0x6
	s_load_b32 s14, s[0:1], 0x98
	s_load_b256 s[4:11], s[0:1], 0x60
	s_load_b256 s[16:23], s[0:1], 0x40
	s_load_b128 s[40:43], s[0:1], 0x8
	s_load_b256 s[24:31], s[0:1], 0x20
	s_load_b64 s[12:13], s[0:1], 0x80
	s_load_b128 s[36:39], s[0:1], 0x88
	s_mov_b32 s3, 0
	s_mov_b32 s34, 0
	s_waitcnt lgkmcnt(0)
	s_bitcmp1_b32 s14, 0
	s_cselect_b32 s44, -1, 0
	s_bitcmp1_b32 s14, 16
	s_cselect_b32 s2, -1, 0
	s_delay_alu instid0(SALU_CYCLE_1) | instskip(SKIP_2) | instid1(VALU_DEP_1)
	s_xor_b32 s33, s2, -1
	s_bitcmp0_b32 s14, 0
	v_cndmask_b32_e64 v1, 0, 1, s33
	v_cmp_ne_u32_e32 vcc_lo, 1, v1
	s_cbranch_scc1 .LBB50_5
; %bb.1:
	s_load_b64 s[2:3], s[0:1], 0x18
	s_and_b32 vcc_lo, exec_lo, vcc_lo
	s_waitcnt lgkmcnt(0)
	s_mov_b32 s34, s2
	s_cbranch_vccnz .LBB50_3
; %bb.2:
	s_load_b32 s34, s[2:3], 0x0
.LBB50_3:
	s_and_not1_b32 vcc_lo, exec_lo, s33
	s_cbranch_vccnz .LBB50_5
; %bb.4:
	s_load_b32 s3, s[2:3], 0x4
.LBB50_5:
	s_bitcmp1_b32 s14, 8
	s_mov_b32 s33, 0
	s_cselect_b32 s35, -1, 0
	s_bfe_u32 s2, s14, 0x10008
	s_delay_alu instid0(SALU_CYCLE_1)
	s_cmp_eq_u32 s2, 0
	s_mov_b32 s2, 0
	s_cbranch_scc1 .LBB50_11
; %bb.6:
	v_cmp_ne_u32_e32 vcc_lo, 1, v1
	s_mov_b32 s2, s20
	s_cbranch_vccnz .LBB50_8
; %bb.7:
	s_load_b32 s2, s[20:21], 0x0
.LBB50_8:
	v_cmp_ne_u32_e32 vcc_lo, 1, v1
	s_cbranch_vccnz .LBB50_10
; %bb.9:
	s_load_b32 s21, s[20:21], 0x4
.LBB50_10:
	s_waitcnt lgkmcnt(0)
	s_mov_b32 s33, s21
.LBB50_11:
	s_load_b32 s20, s[0:1], 0x0
	v_cmp_gt_u32_e64 s0, 0x200, v0
	v_lshlrev_b32_e32 v7, 3, v0
	v_or_b32_e32 v5, 0xffffff00, v0
	v_lshl_add_u32 v6, v0, 2, 0
	s_delay_alu instid0(VALU_DEP_4)
	s_and_saveexec_b32 s1, s0
	s_cbranch_execz .LBB50_14
; %bb.12:
	v_add3_u32 v1, v7, 0, 0x800
	v_or_b32_e32 v2, 0xffffff00, v0
	v_lshl_add_u32 v3, v0, 2, 0
	s_waitcnt lgkmcnt(0)
	v_mov_b32_e32 v4, s20
	v_mov_b32_e32 v8, 0
	s_mov_b32 s14, 0
.LBB50_13:                              ; =>This Inner Loop Header: Depth=1
	v_add_co_u32 v2, s21, 0x100, v2
	s_delay_alu instid0(VALU_DEP_1)
	s_xor_b32 s21, s21, -1
	ds_store_b32 v3, v4
	ds_store_2addr_b32 v1, v8, v8 offset1:1
	v_add_nc_u32_e32 v1, 0x800, v1
	v_add_nc_u32_e32 v3, 0x400, v3
	s_and_b32 s21, exec_lo, s21
	s_delay_alu instid0(SALU_CYCLE_1) | instskip(NEXT) | instid1(SALU_CYCLE_1)
	s_or_b32 s14, s21, s14
	s_and_not1_b32 exec_lo, exec_lo, s14
	s_cbranch_execnz .LBB50_13
.LBB50_14:
	s_or_b32 exec_lo, exec_lo, s1
	s_waitcnt lgkmcnt(0)
	s_barrier
	buffer_gl0_inv
	s_load_b32 s1, s[40:41], 0x0
	v_lshrrev_b32_e32 v8, 5, v0
	s_waitcnt lgkmcnt(0)
	s_add_i32 s14, s1, s15
	s_mov_b32 s15, 0
	s_delay_alu instid0(SALU_CYCLE_1) | instskip(NEXT) | instid1(SALU_CYCLE_1)
	s_lshl_b64 s[14:15], s[14:15], 2
	s_add_u32 s14, s42, s14
	s_addc_u32 s15, s43, s15
	s_and_b32 vcc_lo, exec_lo, s44
	s_load_b32 s14, s[14:15], 0x0
	s_cbranch_vccz .LBB50_34
; %bb.15:
	s_waitcnt lgkmcnt(0)
	s_ashr_i32 s15, s14, 31
	v_subrev_nc_u32_e32 v1, s36, v8
	s_lshl_b64 s[40:41], s[14:15], 2
	s_mov_b32 s15, exec_lo
	s_add_u32 s24, s24, s40
	s_addc_u32 s25, s25, s41
	s_load_b64 s[24:25], s[24:25], 0x0
	s_waitcnt lgkmcnt(0)
	v_add_nc_u32_e32 v1, s24, v1
	s_sub_i32 s1, s25, s36
	s_delay_alu instid0(VALU_DEP_1) | instid1(SALU_CYCLE_1)
	v_cmpx_gt_i32_e64 s1, v1
	s_cbranch_execz .LBB50_33
; %bb.16:
	v_and_b32_e32 v2, 31, v0
	s_mov_b32 s21, 0
	s_delay_alu instid0(VALU_DEP_1)
	v_subrev_nc_u32_e32 v9, s37, v2
	s_branch .LBB50_18
.LBB50_17:                              ;   in Loop: Header=BB50_18 Depth=1
	s_or_b32 exec_lo, exec_lo, s24
	v_add_nc_u32_e32 v1, 8, v1
	s_delay_alu instid0(VALU_DEP_1) | instskip(SKIP_1) | instid1(SALU_CYCLE_1)
	v_cmp_le_i32_e32 vcc_lo, s1, v1
	s_or_b32 s21, vcc_lo, s21
	s_and_not1_b32 exec_lo, exec_lo, s21
	s_cbranch_execz .LBB50_33
.LBB50_18:                              ; =>This Loop Header: Depth=1
                                        ;     Child Loop BB50_21 Depth 2
                                        ;       Child Loop BB50_23 Depth 3
	v_ashrrev_i32_e32 v2, 31, v1
	s_mov_b32 s24, exec_lo
	s_delay_alu instid0(VALU_DEP_1) | instskip(NEXT) | instid1(VALU_DEP_1)
	v_lshlrev_b64 v[3:4], 2, v[1:2]
	v_add_co_u32 v3, vcc_lo, s26, v3
	s_delay_alu instid0(VALU_DEP_2) | instskip(SKIP_3) | instid1(VALU_DEP_1)
	v_add_co_ci_u32_e32 v4, vcc_lo, s27, v4, vcc_lo
	global_load_b32 v3, v[3:4], off
	s_waitcnt vmcnt(0)
	v_subrev_nc_u32_e32 v3, s36, v3
	v_ashrrev_i32_e32 v4, 31, v3
	s_delay_alu instid0(VALU_DEP_1) | instskip(NEXT) | instid1(VALU_DEP_1)
	v_lshlrev_b64 v[3:4], 2, v[3:4]
	v_add_co_u32 v3, vcc_lo, s30, v3
	s_delay_alu instid0(VALU_DEP_2) | instskip(SKIP_4) | instid1(VALU_DEP_1)
	v_add_co_ci_u32_e32 v4, vcc_lo, s31, v4, vcc_lo
	global_load_b64 v[3:4], v[3:4], off
	s_waitcnt vmcnt(0)
	v_subrev_nc_u32_e32 v10, s37, v4
	v_add_nc_u32_e32 v3, v3, v9
	v_cmpx_lt_i32_e64 v3, v10
	s_cbranch_execz .LBB50_17
; %bb.19:                               ;   in Loop: Header=BB50_18 Depth=1
	v_lshlrev_b64 v[11:12], 3, v[1:2]
	s_mov_b32 s25, 0
	s_delay_alu instid0(VALU_DEP_1) | instskip(NEXT) | instid1(VALU_DEP_2)
	v_add_co_u32 v11, vcc_lo, s28, v11
	v_add_co_ci_u32_e32 v12, vcc_lo, s29, v12, vcc_lo
	global_load_b64 v[12:13], v[11:12], off
	s_waitcnt vmcnt(0)
	v_mul_f32_e64 v2, v13, -s3
	s_delay_alu instid0(VALU_DEP_1) | instskip(NEXT) | instid1(VALU_DEP_1)
	v_dual_mul_f32 v11, s34, v13 :: v_dual_fmac_f32 v2, s34, v12
	v_fmac_f32_e32 v11, s3, v12
	s_branch .LBB50_21
.LBB50_20:                              ;   in Loop: Header=BB50_21 Depth=2
	s_or_b32 exec_lo, exec_lo, s40
	v_add_nc_u32_e32 v3, 32, v3
	s_delay_alu instid0(VALU_DEP_1) | instskip(SKIP_1) | instid1(SALU_CYCLE_1)
	v_cmp_ge_i32_e32 vcc_lo, v3, v10
	s_or_b32 s25, vcc_lo, s25
	s_and_not1_b32 exec_lo, exec_lo, s25
	s_cbranch_execz .LBB50_17
.LBB50_21:                              ;   Parent Loop BB50_18 Depth=1
                                        ; =>  This Loop Header: Depth=2
                                        ;       Child Loop BB50_23 Depth 3
	v_ashrrev_i32_e32 v4, 31, v3
	s_mov_b32 s40, 0
	s_delay_alu instid0(VALU_DEP_1) | instskip(SKIP_1) | instid1(VALU_DEP_2)
	v_lshlrev_b64 v[12:13], 2, v[3:4]
	v_lshlrev_b64 v[14:15], 3, v[3:4]
	v_add_co_u32 v12, vcc_lo, s16, v12
	s_delay_alu instid0(VALU_DEP_3)
	v_add_co_ci_u32_e32 v13, vcc_lo, s17, v13, vcc_lo
	global_load_b32 v4, v[12:13], off
	v_add_co_u32 v12, vcc_lo, s18, v14
	v_add_co_ci_u32_e32 v13, vcc_lo, s19, v15, vcc_lo
	global_load_b64 v[14:15], v[12:13], off
	s_waitcnt vmcnt(1)
	v_subrev_nc_u32_e32 v4, s37, v4
	s_delay_alu instid0(VALU_DEP_1) | instskip(SKIP_3) | instid1(VALU_DEP_2)
	v_mul_lo_u32 v16, 0x89, v4
	s_waitcnt vmcnt(0)
	v_mul_f32_e64 v12, v15, -v11
	v_mul_f32_e32 v13, v2, v15
	v_fmac_f32_e32 v12, v2, v14
	s_delay_alu instid0(VALU_DEP_2)
	v_dual_fmac_f32 v13, v11, v14 :: v_dual_and_b32 v14, 0x1ff, v16
	s_branch .LBB50_23
.LBB50_22:                              ;   in Loop: Header=BB50_23 Depth=3
	s_or_b32 exec_lo, exec_lo, s41
	s_xor_b32 s41, s42, -1
	s_delay_alu instid0(SALU_CYCLE_1) | instskip(NEXT) | instid1(SALU_CYCLE_1)
	s_and_b32 s41, exec_lo, s41
	s_or_b32 s40, s41, s40
	s_delay_alu instid0(SALU_CYCLE_1)
	s_and_not1_b32 exec_lo, exec_lo, s40
	s_cbranch_execz .LBB50_20
.LBB50_23:                              ;   Parent Loop BB50_18 Depth=1
                                        ;     Parent Loop BB50_21 Depth=2
                                        ; =>    This Inner Loop Header: Depth=3
	s_delay_alu instid0(VALU_DEP_1)
	v_lshl_add_u32 v15, v14, 2, 0
	s_mov_b32 s41, exec_lo
                                        ; implicit-def: $sgpr42
	ds_load_b32 v16, v15
	s_waitcnt lgkmcnt(0)
	v_cmpx_ne_u32_e64 v16, v4
	s_xor_b32 s41, exec_lo, s41
	s_cbranch_execz .LBB50_31
; %bb.24:                               ;   in Loop: Header=BB50_23 Depth=3
	s_mov_b32 s43, exec_lo
                                        ; implicit-def: $sgpr42
	v_cmpx_ne_u32_e64 s20, v16
	s_xor_b32 s43, exec_lo, s43
; %bb.25:                               ;   in Loop: Header=BB50_23 Depth=3
	v_add_nc_u32_e32 v14, 1, v14
	s_mov_b32 s42, -1
                                        ; implicit-def: $vgpr15
	s_delay_alu instid0(VALU_DEP_1)
	v_and_b32_e32 v14, 0x1ff, v14
; %bb.26:                               ;   in Loop: Header=BB50_23 Depth=3
	s_and_not1_saveexec_b32 s43, s43
	s_cbranch_execz .LBB50_30
; %bb.27:                               ;   in Loop: Header=BB50_23 Depth=3
	v_mov_b32_e32 v16, s20
	s_mov_b32 s44, -1
	s_mov_b32 s45, exec_lo
	ds_cmpstore_rtn_b32 v16, v15, v4, v16
	s_waitcnt lgkmcnt(0)
	v_cmpx_eq_u32_e64 s20, v16
	s_cbranch_execz .LBB50_29
; %bb.28:                               ;   in Loop: Header=BB50_23 Depth=3
	v_lshl_add_u32 v15, v14, 2, v15
	s_xor_b32 s44, exec_lo, -1
	ds_add_f32 v15, v12 offset:2048
	ds_add_f32 v15, v13 offset:2052
.LBB50_29:                              ;   in Loop: Header=BB50_23 Depth=3
	s_or_b32 exec_lo, exec_lo, s45
	s_delay_alu instid0(SALU_CYCLE_1) | instskip(SKIP_1) | instid1(SALU_CYCLE_1)
	s_and_not1_b32 s42, s42, exec_lo
	s_and_b32 s44, s44, exec_lo
	s_or_b32 s42, s42, s44
.LBB50_30:                              ;   in Loop: Header=BB50_23 Depth=3
	s_or_b32 exec_lo, exec_lo, s43
	s_delay_alu instid0(SALU_CYCLE_1)
	s_and_b32 s42, s42, exec_lo
                                        ; implicit-def: $vgpr15
.LBB50_31:                              ;   in Loop: Header=BB50_23 Depth=3
	s_and_not1_saveexec_b32 s41, s41
	s_cbranch_execz .LBB50_22
; %bb.32:                               ;   in Loop: Header=BB50_23 Depth=3
	v_lshl_add_u32 v15, v14, 2, v15
	s_and_not1_b32 s42, s42, exec_lo
	ds_add_f32 v15, v12 offset:2048
	ds_add_f32 v15, v13 offset:2052
	s_branch .LBB50_22
.LBB50_33:
	s_or_b32 exec_lo, exec_lo, s15
.LBB50_34:
	s_delay_alu instid0(SALU_CYCLE_1)
	s_and_not1_b32 vcc_lo, exec_lo, s35
	s_cbranch_vccnz .LBB50_51
; %bb.35:
	s_waitcnt lgkmcnt(0)
	s_ashr_i32 s15, s14, 31
	v_subrev_nc_u32_e32 v1, s39, v0
	s_lshl_b64 s[16:17], s[14:15], 2
	s_mov_b32 s3, exec_lo
	s_add_u32 s16, s22, s16
	s_addc_u32 s17, s23, s17
	s_load_b64 s[16:17], s[16:17], 0x0
	s_waitcnt lgkmcnt(0)
	v_add_nc_u32_e32 v1, s16, v1
	s_sub_i32 s1, s17, s39
	s_delay_alu instid0(VALU_DEP_1) | instid1(SALU_CYCLE_1)
	v_cmpx_gt_i32_e64 s1, v1
	s_cbranch_execz .LBB50_50
; %bb.36:
	s_mov_b32 s15, 0
	s_branch .LBB50_38
.LBB50_37:                              ;   in Loop: Header=BB50_38 Depth=1
	s_or_b32 exec_lo, exec_lo, s16
	v_add_nc_u32_e32 v1, 0x100, v1
	s_delay_alu instid0(VALU_DEP_1) | instskip(SKIP_1) | instid1(SALU_CYCLE_1)
	v_cmp_le_i32_e32 vcc_lo, s1, v1
	s_or_b32 s15, vcc_lo, s15
	s_and_not1_b32 exec_lo, exec_lo, s15
	s_cbranch_execz .LBB50_50
.LBB50_38:                              ; =>This Loop Header: Depth=1
                                        ;     Child Loop BB50_40 Depth 2
	v_ashrrev_i32_e32 v2, 31, v1
	s_mov_b32 s16, 0
	s_delay_alu instid0(VALU_DEP_1) | instskip(SKIP_1) | instid1(VALU_DEP_2)
	v_lshlrev_b64 v[3:4], 2, v[1:2]
	v_lshlrev_b64 v[9:10], 3, v[1:2]
	v_add_co_u32 v3, vcc_lo, s4, v3
	s_delay_alu instid0(VALU_DEP_3) | instskip(NEXT) | instid1(VALU_DEP_3)
	v_add_co_ci_u32_e32 v4, vcc_lo, s5, v4, vcc_lo
	v_add_co_u32 v2, vcc_lo, s6, v9
	global_load_b32 v4, v[3:4], off
	v_add_co_ci_u32_e32 v3, vcc_lo, s7, v10, vcc_lo
	global_load_b64 v[9:10], v[2:3], off
	s_waitcnt vmcnt(1)
	v_subrev_nc_u32_e32 v2, s39, v4
	s_delay_alu instid0(VALU_DEP_1) | instskip(SKIP_2) | instid1(VALU_DEP_1)
	v_mul_lo_u32 v11, 0x89, v2
	s_waitcnt vmcnt(0)
	v_mul_f32_e64 v3, v10, -s33
	v_dual_mul_f32 v4, s2, v10 :: v_dual_fmac_f32 v3, s2, v9
	s_delay_alu instid0(VALU_DEP_1)
	v_dual_fmac_f32 v4, s33, v9 :: v_dual_and_b32 v9, 0x1ff, v11
	s_branch .LBB50_40
.LBB50_39:                              ;   in Loop: Header=BB50_40 Depth=2
	s_or_b32 exec_lo, exec_lo, s17
	s_xor_b32 s17, s18, -1
	s_delay_alu instid0(SALU_CYCLE_1) | instskip(NEXT) | instid1(SALU_CYCLE_1)
	s_and_b32 s17, exec_lo, s17
	s_or_b32 s16, s17, s16
	s_delay_alu instid0(SALU_CYCLE_1)
	s_and_not1_b32 exec_lo, exec_lo, s16
	s_cbranch_execz .LBB50_37
.LBB50_40:                              ;   Parent Loop BB50_38 Depth=1
                                        ; =>  This Inner Loop Header: Depth=2
	s_delay_alu instid0(VALU_DEP_1)
	v_lshl_add_u32 v10, v9, 2, 0
	s_mov_b32 s17, exec_lo
                                        ; implicit-def: $sgpr18
	ds_load_b32 v11, v10
	s_waitcnt lgkmcnt(0)
	v_cmpx_ne_u32_e64 v11, v2
	s_xor_b32 s17, exec_lo, s17
	s_cbranch_execz .LBB50_48
; %bb.41:                               ;   in Loop: Header=BB50_40 Depth=2
	s_mov_b32 s19, exec_lo
                                        ; implicit-def: $sgpr18
	v_cmpx_ne_u32_e64 s20, v11
	s_xor_b32 s19, exec_lo, s19
; %bb.42:                               ;   in Loop: Header=BB50_40 Depth=2
	v_add_nc_u32_e32 v9, 1, v9
	s_mov_b32 s18, -1
                                        ; implicit-def: $vgpr10
	s_delay_alu instid0(VALU_DEP_1)
	v_and_b32_e32 v9, 0x1ff, v9
; %bb.43:                               ;   in Loop: Header=BB50_40 Depth=2
	s_and_not1_saveexec_b32 s19, s19
	s_cbranch_execz .LBB50_47
; %bb.44:                               ;   in Loop: Header=BB50_40 Depth=2
	v_mov_b32_e32 v11, s20
	s_mov_b32 s21, -1
	s_mov_b32 s22, exec_lo
	ds_cmpstore_rtn_b32 v11, v10, v2, v11
	s_waitcnt lgkmcnt(0)
	v_cmpx_eq_u32_e64 s20, v11
	s_cbranch_execz .LBB50_46
; %bb.45:                               ;   in Loop: Header=BB50_40 Depth=2
	v_lshl_add_u32 v10, v9, 2, v10
	s_xor_b32 s21, exec_lo, -1
	ds_add_f32 v10, v3 offset:2048
	ds_add_f32 v10, v4 offset:2052
.LBB50_46:                              ;   in Loop: Header=BB50_40 Depth=2
	s_or_b32 exec_lo, exec_lo, s22
	s_delay_alu instid0(SALU_CYCLE_1) | instskip(SKIP_1) | instid1(SALU_CYCLE_1)
	s_and_not1_b32 s18, s18, exec_lo
	s_and_b32 s21, s21, exec_lo
	s_or_b32 s18, s18, s21
.LBB50_47:                              ;   in Loop: Header=BB50_40 Depth=2
	s_or_b32 exec_lo, exec_lo, s19
	s_delay_alu instid0(SALU_CYCLE_1)
	s_and_b32 s18, s18, exec_lo
                                        ; implicit-def: $vgpr10
.LBB50_48:                              ;   in Loop: Header=BB50_40 Depth=2
	s_and_not1_saveexec_b32 s17, s17
	s_cbranch_execz .LBB50_39
; %bb.49:                               ;   in Loop: Header=BB50_40 Depth=2
	v_lshl_add_u32 v10, v9, 2, v10
	s_and_not1_b32 s18, s18, exec_lo
	ds_add_f32 v10, v3 offset:2048
	ds_add_f32 v10, v4 offset:2052
	s_branch .LBB50_39
.LBB50_50:
	s_or_b32 exec_lo, exec_lo, s3
.LBB50_51:
	s_waitcnt lgkmcnt(0)
	s_barrier
	buffer_gl0_inv
	s_and_saveexec_b32 s15, s0
	s_cbranch_execz .LBB50_72
; %bb.52:
	v_mbcnt_lo_u32_b32 v1, -1, 0
	v_lshl_add_u32 v4, v8, 2, 0
	v_cmp_eq_u32_e32 vcc_lo, 0xff, v0
	v_cmp_lt_u32_e64 s0, 31, v0
	v_cmp_lt_u32_e64 s1, 63, v0
	v_xor_b32_e32 v1, 63, v1
	v_cmp_lt_u32_e64 s2, 0x5f, v0
	v_cmp_lt_u32_e64 s3, 0x7f, v0
	;; [unrolled: 1-line block ×4, first 2 shown]
	v_lshrrev_b64 v[1:2], v1, -1
	v_cmp_lt_u32_e64 s6, 0xdf, v0
	v_add3_u32 v7, v7, 0, 0x800
	v_dual_mov_b32 v8, 0 :: v_dual_mov_b32 v9, 0
	s_mov_b32 s16, 0
	s_branch .LBB50_54
.LBB50_53:                              ;   in Loop: Header=BB50_54 Depth=1
	s_or_b32 exec_lo, exec_lo, s7
	s_waitcnt lgkmcnt(0)
	s_barrier
	buffer_gl0_inv
	ds_load_b32 v2, v8 offset:6172
	v_add_co_u32 v5, s7, 0x100, v5
	s_delay_alu instid0(VALU_DEP_1) | instskip(SKIP_3) | instid1(SALU_CYCLE_1)
	s_xor_b32 s7, s7, -1
	v_add_nc_u32_e32 v7, 0x800, v7
	v_add_nc_u32_e32 v6, 0x400, v6
	s_and_b32 s7, exec_lo, s7
	s_or_b32 s16, s7, s16
	s_waitcnt lgkmcnt(0)
	v_add_nc_u32_e32 v9, v2, v9
	s_and_not1_b32 exec_lo, exec_lo, s16
	s_cbranch_execz .LBB50_72
.LBB50_54:                              ; =>This Inner Loop Header: Depth=1
	ds_load_b32 v10, v6
	ds_load_2addr_b32 v[2:3], v7 offset1:1
	s_waitcnt lgkmcnt(0)
	s_barrier
	buffer_gl0_inv
	v_cmp_gt_i32_e64 s7, s20, v10
	s_delay_alu instid0(VALU_DEP_1) | instskip(NEXT) | instid1(SALU_CYCLE_1)
	s_bcnt1_i32_b32 s17, s7
	v_dual_mov_b32 v12, s17 :: v_dual_and_b32 v11, s7, v1
	s_delay_alu instid0(VALU_DEP_1)
	v_bcnt_u32_b32 v11, v11, 0
	ds_store_b32 v4, v12 offset:6144
	s_waitcnt lgkmcnt(0)
	s_barrier
	buffer_gl0_inv
	s_and_saveexec_b32 s17, s0
	s_cbranch_execnz .LBB50_63
; %bb.55:                               ;   in Loop: Header=BB50_54 Depth=1
	s_or_b32 exec_lo, exec_lo, s17
	s_and_saveexec_b32 s17, s1
	s_cbranch_execnz .LBB50_64
.LBB50_56:                              ;   in Loop: Header=BB50_54 Depth=1
	s_or_b32 exec_lo, exec_lo, s17
	s_and_saveexec_b32 s17, s2
	s_cbranch_execnz .LBB50_65
.LBB50_57:                              ;   in Loop: Header=BB50_54 Depth=1
	s_or_b32 exec_lo, exec_lo, s17
	s_and_saveexec_b32 s17, s3
	s_cbranch_execnz .LBB50_66
.LBB50_58:                              ;   in Loop: Header=BB50_54 Depth=1
	s_or_b32 exec_lo, exec_lo, s17
	s_and_saveexec_b32 s17, s4
	s_cbranch_execnz .LBB50_67
.LBB50_59:                              ;   in Loop: Header=BB50_54 Depth=1
	s_or_b32 exec_lo, exec_lo, s17
	s_and_saveexec_b32 s17, s5
	s_cbranch_execnz .LBB50_68
.LBB50_60:                              ;   in Loop: Header=BB50_54 Depth=1
	s_or_b32 exec_lo, exec_lo, s17
	s_and_saveexec_b32 s17, s6
	s_cbranch_execnz .LBB50_69
.LBB50_61:                              ;   in Loop: Header=BB50_54 Depth=1
	s_or_b32 exec_lo, exec_lo, s17
	s_and_saveexec_b32 s17, s7
	s_cbranch_execnz .LBB50_70
.LBB50_62:                              ;   in Loop: Header=BB50_54 Depth=1
	s_or_b32 exec_lo, exec_lo, s17
	s_and_saveexec_b32 s7, vcc_lo
	s_cbranch_execz .LBB50_53
	s_branch .LBB50_71
.LBB50_63:                              ;   in Loop: Header=BB50_54 Depth=1
	ds_load_b32 v12, v8 offset:6144
	s_waitcnt lgkmcnt(0)
	v_add_nc_u32_e32 v11, v12, v11
	s_or_b32 exec_lo, exec_lo, s17
	s_and_saveexec_b32 s17, s1
	s_cbranch_execz .LBB50_56
.LBB50_64:                              ;   in Loop: Header=BB50_54 Depth=1
	ds_load_b32 v12, v8 offset:6148
	s_waitcnt lgkmcnt(0)
	v_add_nc_u32_e32 v11, v12, v11
	s_or_b32 exec_lo, exec_lo, s17
	s_and_saveexec_b32 s17, s2
	s_cbranch_execz .LBB50_57
.LBB50_65:                              ;   in Loop: Header=BB50_54 Depth=1
	ds_load_b32 v12, v8 offset:6152
	s_waitcnt lgkmcnt(0)
	v_add_nc_u32_e32 v11, v12, v11
	s_or_b32 exec_lo, exec_lo, s17
	s_and_saveexec_b32 s17, s3
	s_cbranch_execz .LBB50_58
.LBB50_66:                              ;   in Loop: Header=BB50_54 Depth=1
	ds_load_b32 v12, v8 offset:6156
	s_waitcnt lgkmcnt(0)
	v_add_nc_u32_e32 v11, v12, v11
	s_or_b32 exec_lo, exec_lo, s17
	s_and_saveexec_b32 s17, s4
	s_cbranch_execz .LBB50_59
.LBB50_67:                              ;   in Loop: Header=BB50_54 Depth=1
	ds_load_b32 v12, v8 offset:6160
	s_waitcnt lgkmcnt(0)
	v_add_nc_u32_e32 v11, v12, v11
	s_or_b32 exec_lo, exec_lo, s17
	s_and_saveexec_b32 s17, s5
	s_cbranch_execz .LBB50_60
.LBB50_68:                              ;   in Loop: Header=BB50_54 Depth=1
	ds_load_b32 v12, v8 offset:6164
	s_waitcnt lgkmcnt(0)
	v_add_nc_u32_e32 v11, v12, v11
	s_or_b32 exec_lo, exec_lo, s17
	s_and_saveexec_b32 s17, s6
	s_cbranch_execz .LBB50_61
.LBB50_69:                              ;   in Loop: Header=BB50_54 Depth=1
	ds_load_b32 v12, v8 offset:6168
	s_waitcnt lgkmcnt(0)
	v_add_nc_u32_e32 v11, v12, v11
	s_or_b32 exec_lo, exec_lo, s17
	s_and_saveexec_b32 s17, s7
	s_cbranch_execz .LBB50_62
.LBB50_70:                              ;   in Loop: Header=BB50_54 Depth=1
	s_delay_alu instid0(VALU_DEP_1) | instskip(NEXT) | instid1(VALU_DEP_1)
	v_add3_u32 v12, v9, -1, v11
	v_lshlrev_b32_e32 v13, 3, v12
	v_lshl_add_u32 v12, v12, 2, 0
	s_delay_alu instid0(VALU_DEP_2)
	v_add3_u32 v13, 0, v13, 0x800
	ds_store_b32 v12, v10
	ds_store_2addr_b32 v13, v2, v3 offset1:1
	s_or_b32 exec_lo, exec_lo, s17
	s_and_saveexec_b32 s7, vcc_lo
	s_cbranch_execz .LBB50_53
.LBB50_71:                              ;   in Loop: Header=BB50_54 Depth=1
	ds_store_b32 v8, v11 offset:6172
	s_branch .LBB50_53
.LBB50_72:
	s_or_b32 exec_lo, exec_lo, s15
	s_ashr_i32 s15, s14, 31
	s_mov_b32 s3, exec_lo
	s_lshl_b64 s[0:1], s[14:15], 2
	s_delay_alu instid0(SALU_CYCLE_1) | instskip(SKIP_4) | instid1(SALU_CYCLE_1)
	s_add_u32 s0, s8, s0
	s_addc_u32 s1, s9, s1
	s_load_b64 s[0:1], s[0:1], 0x0
	s_waitcnt lgkmcnt(0)
	s_sub_i32 s2, s1, s0
	v_cmpx_gt_i32_e64 s2, v0
	s_cbranch_execz .LBB50_82
; %bb.73:
	s_sub_i32 s3, s0, s38
	s_sub_i32 s0, s0, s1
	s_and_b32 s1, s2, 7
	s_cmp_lt_u32 s0, -7
	s_mov_b32 s7, 0
	s_cselect_b32 s4, -1, 0
	s_and_b32 s5, s2, -8
	s_cmp_lg_u32 s1, 0
	s_cselect_b32 s6, -1, 0
	s_branch .LBB50_75
.LBB50_74:                              ;   in Loop: Header=BB50_75 Depth=1
	s_delay_alu instid0(VALU_DEP_1) | instskip(SKIP_3) | instid1(VALU_DEP_3)
	v_ashrrev_i32_e32 v4, 31, v3
	v_add_nc_u32_e32 v0, 0x100, v0
	s_waitcnt lgkmcnt(1)
	v_add_nc_u32_e32 v8, s38, v5
	v_lshlrev_b64 v[6:7], 2, v[3:4]
	v_lshlrev_b64 v[3:4], 3, v[3:4]
	v_cmp_le_i32_e32 vcc_lo, s2, v0
	s_delay_alu instid0(VALU_DEP_3) | instskip(NEXT) | instid1(VALU_DEP_1)
	v_add_co_u32 v5, s0, s10, v6
	v_add_co_ci_u32_e64 v6, s0, s11, v7, s0
	s_delay_alu instid0(VALU_DEP_4) | instskip(NEXT) | instid1(VALU_DEP_1)
	v_add_co_u32 v3, s0, s12, v3
	v_add_co_ci_u32_e64 v4, s0, s13, v4, s0
	s_or_b32 s7, vcc_lo, s7
	global_store_b32 v[5:6], v8, off
	s_waitcnt lgkmcnt(0)
	global_store_b64 v[3:4], v[1:2], off
	s_and_not1_b32 exec_lo, exec_lo, s7
	s_cbranch_execz .LBB50_82
.LBB50_75:                              ; =>This Loop Header: Depth=1
                                        ;     Child Loop BB50_77 Depth 2
                                        ;     Child Loop BB50_81 Depth 2
	v_lshlrev_b32_e32 v1, 2, v0
	s_and_not1_b32 vcc_lo, exec_lo, s4
	s_mov_b32 s0, 0
	s_delay_alu instid0(VALU_DEP_1) | instskip(NEXT) | instid1(VALU_DEP_1)
	v_dual_mov_b32 v3, s3 :: v_dual_add_nc_u32 v2, 0, v1
	v_add3_u32 v1, v2, v1, 0x800
	ds_load_b32 v5, v2
	ds_load_2addr_b32 v[1:2], v1 offset1:1
	s_cbranch_vccnz .LBB50_79
; %bb.76:                               ;   in Loop: Header=BB50_75 Depth=1
	v_mov_b32_e32 v3, s3
	s_mov_b32 s8, 0
	s_set_inst_prefetch_distance 0x1
	.p2align	6
.LBB50_77:                              ;   Parent Loop BB50_75 Depth=1
                                        ; =>  This Inner Loop Header: Depth=2
	v_mov_b32_e32 v4, s8
	s_add_i32 s0, s0, 8
	s_add_i32 s8, s8, 32
	s_cmp_eq_u32 s5, s0
	ds_load_2addr_b32 v[6:7], v4 offset1:1
	ds_load_2addr_b32 v[8:9], v4 offset0:2 offset1:3
	ds_load_2addr_b32 v[10:11], v4 offset0:4 offset1:5
	;; [unrolled: 1-line block ×3, first 2 shown]
	s_waitcnt lgkmcnt(3)
	v_cmp_gt_i32_e32 vcc_lo, v5, v6
	v_cndmask_b32_e64 v4, 0, 1, vcc_lo
	s_waitcnt lgkmcnt(2)
	v_cmp_gt_i32_e32 vcc_lo, v5, v8
	v_cndmask_b32_e64 v6, 0, 1, vcc_lo
	v_cmp_gt_i32_e32 vcc_lo, v5, v7
	v_add_co_ci_u32_e32 v3, vcc_lo, v3, v4, vcc_lo
	s_waitcnt lgkmcnt(1)
	v_cmp_gt_i32_e32 vcc_lo, v5, v10
	v_cndmask_b32_e64 v4, 0, 1, vcc_lo
	v_cmp_gt_i32_e32 vcc_lo, v5, v9
	v_add_co_ci_u32_e32 v3, vcc_lo, v3, v6, vcc_lo
	;; [unrolled: 5-line block ×3, first 2 shown]
	v_cmp_gt_i32_e32 vcc_lo, v5, v13
	s_delay_alu instid0(VALU_DEP_2)
	v_add_co_ci_u32_e32 v3, vcc_lo, v3, v6, vcc_lo
	s_cbranch_scc0 .LBB50_77
; %bb.78:                               ;   in Loop: Header=BB50_75 Depth=1
	s_set_inst_prefetch_distance 0x2
	s_mov_b32 s0, s5
.LBB50_79:                              ;   in Loop: Header=BB50_75 Depth=1
	s_and_not1_b32 vcc_lo, exec_lo, s6
	s_cbranch_vccnz .LBB50_74
; %bb.80:                               ;   in Loop: Header=BB50_75 Depth=1
	s_lshl_b32 s0, s0, 2
	s_mov_b32 s8, s1
	s_add_i32 s0, s0, 0
.LBB50_81:                              ;   Parent Loop BB50_75 Depth=1
                                        ; =>  This Inner Loop Header: Depth=2
	s_delay_alu instid0(SALU_CYCLE_1)
	v_mov_b32_e32 v4, s0
	s_add_i32 s8, s8, -1
	s_add_i32 s0, s0, 4
	s_cmp_lg_u32 s8, 0
	ds_load_b32 v4, v4
	s_waitcnt lgkmcnt(0)
	v_cmp_gt_i32_e32 vcc_lo, v5, v4
	v_add_co_ci_u32_e32 v3, vcc_lo, 0, v3, vcc_lo
	s_cbranch_scc1 .LBB50_81
	s_branch .LBB50_74
.LBB50_82:
	s_nop 0
	s_sendmsg sendmsg(MSG_DEALLOC_VGPRS)
	s_endpgm
	.section	.rodata,"a",@progbits
	.p2align	6, 0x0
	.amdhsa_kernel _ZN9rocsparseL26csrgemm_fill_block_per_rowILj256ELj32ELj512ELj137ELj32Eii21rocsparse_complex_numIfEEEvT5_PKS3_S5_NS_24const_host_device_scalarIT6_EEPKT4_S5_PKS7_SB_S5_SD_S8_SB_S5_SD_SB_PS3_PS7_21rocsparse_index_base_SG_SG_SG_bbb
		.amdhsa_group_segment_fixed_size 0
		.amdhsa_private_segment_fixed_size 0
		.amdhsa_kernarg_size 156
		.amdhsa_user_sgpr_count 15
		.amdhsa_user_sgpr_dispatch_ptr 0
		.amdhsa_user_sgpr_queue_ptr 0
		.amdhsa_user_sgpr_kernarg_segment_ptr 1
		.amdhsa_user_sgpr_dispatch_id 0
		.amdhsa_user_sgpr_private_segment_size 0
		.amdhsa_wavefront_size32 1
		.amdhsa_uses_dynamic_stack 0
		.amdhsa_enable_private_segment 0
		.amdhsa_system_sgpr_workgroup_id_x 1
		.amdhsa_system_sgpr_workgroup_id_y 0
		.amdhsa_system_sgpr_workgroup_id_z 0
		.amdhsa_system_sgpr_workgroup_info 0
		.amdhsa_system_vgpr_workitem_id 0
		.amdhsa_next_free_vgpr 17
		.amdhsa_next_free_sgpr 46
		.amdhsa_reserve_vcc 1
		.amdhsa_float_round_mode_32 0
		.amdhsa_float_round_mode_16_64 0
		.amdhsa_float_denorm_mode_32 3
		.amdhsa_float_denorm_mode_16_64 3
		.amdhsa_dx10_clamp 1
		.amdhsa_ieee_mode 1
		.amdhsa_fp16_overflow 0
		.amdhsa_workgroup_processor_mode 1
		.amdhsa_memory_ordered 1
		.amdhsa_forward_progress 0
		.amdhsa_shared_vgpr_count 0
		.amdhsa_exception_fp_ieee_invalid_op 0
		.amdhsa_exception_fp_denorm_src 0
		.amdhsa_exception_fp_ieee_div_zero 0
		.amdhsa_exception_fp_ieee_overflow 0
		.amdhsa_exception_fp_ieee_underflow 0
		.amdhsa_exception_fp_ieee_inexact 0
		.amdhsa_exception_int_div_zero 0
	.end_amdhsa_kernel
	.section	.text._ZN9rocsparseL26csrgemm_fill_block_per_rowILj256ELj32ELj512ELj137ELj32Eii21rocsparse_complex_numIfEEEvT5_PKS3_S5_NS_24const_host_device_scalarIT6_EEPKT4_S5_PKS7_SB_S5_SD_S8_SB_S5_SD_SB_PS3_PS7_21rocsparse_index_base_SG_SG_SG_bbb,"axG",@progbits,_ZN9rocsparseL26csrgemm_fill_block_per_rowILj256ELj32ELj512ELj137ELj32Eii21rocsparse_complex_numIfEEEvT5_PKS3_S5_NS_24const_host_device_scalarIT6_EEPKT4_S5_PKS7_SB_S5_SD_S8_SB_S5_SD_SB_PS3_PS7_21rocsparse_index_base_SG_SG_SG_bbb,comdat
.Lfunc_end50:
	.size	_ZN9rocsparseL26csrgemm_fill_block_per_rowILj256ELj32ELj512ELj137ELj32Eii21rocsparse_complex_numIfEEEvT5_PKS3_S5_NS_24const_host_device_scalarIT6_EEPKT4_S5_PKS7_SB_S5_SD_S8_SB_S5_SD_SB_PS3_PS7_21rocsparse_index_base_SG_SG_SG_bbb, .Lfunc_end50-_ZN9rocsparseL26csrgemm_fill_block_per_rowILj256ELj32ELj512ELj137ELj32Eii21rocsparse_complex_numIfEEEvT5_PKS3_S5_NS_24const_host_device_scalarIT6_EEPKT4_S5_PKS7_SB_S5_SD_S8_SB_S5_SD_SB_PS3_PS7_21rocsparse_index_base_SG_SG_SG_bbb
                                        ; -- End function
	.section	.AMDGPU.csdata,"",@progbits
; Kernel info:
; codeLenInByte = 2968
; NumSgprs: 48
; NumVgprs: 17
; ScratchSize: 0
; MemoryBound: 0
; FloatMode: 240
; IeeeMode: 1
; LDSByteSize: 0 bytes/workgroup (compile time only)
; SGPRBlocks: 5
; VGPRBlocks: 2
; NumSGPRsForWavesPerEU: 48
; NumVGPRsForWavesPerEU: 17
; Occupancy: 16
; WaveLimiterHint : 1
; COMPUTE_PGM_RSRC2:SCRATCH_EN: 0
; COMPUTE_PGM_RSRC2:USER_SGPR: 15
; COMPUTE_PGM_RSRC2:TRAP_HANDLER: 0
; COMPUTE_PGM_RSRC2:TGID_X_EN: 1
; COMPUTE_PGM_RSRC2:TGID_Y_EN: 0
; COMPUTE_PGM_RSRC2:TGID_Z_EN: 0
; COMPUTE_PGM_RSRC2:TIDIG_COMP_CNT: 0
	.section	.text._ZN9rocsparseL26csrgemm_fill_block_per_rowILj256ELj32ELj512ELj137ELj64Eii21rocsparse_complex_numIfEEEvT5_PKS3_S5_NS_24const_host_device_scalarIT6_EEPKT4_S5_PKS7_SB_S5_SD_S8_SB_S5_SD_SB_PS3_PS7_21rocsparse_index_base_SG_SG_SG_bbb,"axG",@progbits,_ZN9rocsparseL26csrgemm_fill_block_per_rowILj256ELj32ELj512ELj137ELj64Eii21rocsparse_complex_numIfEEEvT5_PKS3_S5_NS_24const_host_device_scalarIT6_EEPKT4_S5_PKS7_SB_S5_SD_S8_SB_S5_SD_SB_PS3_PS7_21rocsparse_index_base_SG_SG_SG_bbb,comdat
	.globl	_ZN9rocsparseL26csrgemm_fill_block_per_rowILj256ELj32ELj512ELj137ELj64Eii21rocsparse_complex_numIfEEEvT5_PKS3_S5_NS_24const_host_device_scalarIT6_EEPKT4_S5_PKS7_SB_S5_SD_S8_SB_S5_SD_SB_PS3_PS7_21rocsparse_index_base_SG_SG_SG_bbb ; -- Begin function _ZN9rocsparseL26csrgemm_fill_block_per_rowILj256ELj32ELj512ELj137ELj64Eii21rocsparse_complex_numIfEEEvT5_PKS3_S5_NS_24const_host_device_scalarIT6_EEPKT4_S5_PKS7_SB_S5_SD_S8_SB_S5_SD_SB_PS3_PS7_21rocsparse_index_base_SG_SG_SG_bbb
	.p2align	8
	.type	_ZN9rocsparseL26csrgemm_fill_block_per_rowILj256ELj32ELj512ELj137ELj64Eii21rocsparse_complex_numIfEEEvT5_PKS3_S5_NS_24const_host_device_scalarIT6_EEPKT4_S5_PKS7_SB_S5_SD_S8_SB_S5_SD_SB_PS3_PS7_21rocsparse_index_base_SG_SG_SG_bbb,@function
_ZN9rocsparseL26csrgemm_fill_block_per_rowILj256ELj32ELj512ELj137ELj64Eii21rocsparse_complex_numIfEEEvT5_PKS3_S5_NS_24const_host_device_scalarIT6_EEPKT4_S5_PKS7_SB_S5_SD_S8_SB_S5_SD_SB_PS3_PS7_21rocsparse_index_base_SG_SG_SG_bbb: ; @_ZN9rocsparseL26csrgemm_fill_block_per_rowILj256ELj32ELj512ELj137ELj64Eii21rocsparse_complex_numIfEEEvT5_PKS3_S5_NS_24const_host_device_scalarIT6_EEPKT4_S5_PKS7_SB_S5_SD_S8_SB_S5_SD_SB_PS3_PS7_21rocsparse_index_base_SG_SG_SG_bbb
; %bb.0:
	s_clause 0x6
	s_load_b32 s14, s[0:1], 0x98
	s_load_b256 s[4:11], s[0:1], 0x60
	s_load_b256 s[16:23], s[0:1], 0x40
	s_load_b128 s[40:43], s[0:1], 0x8
	s_load_b256 s[24:31], s[0:1], 0x20
	s_load_b64 s[12:13], s[0:1], 0x80
	s_load_b128 s[36:39], s[0:1], 0x88
	s_mov_b32 s3, 0
	s_mov_b32 s34, 0
	s_waitcnt lgkmcnt(0)
	s_bitcmp1_b32 s14, 0
	s_cselect_b32 s44, -1, 0
	s_bitcmp1_b32 s14, 16
	s_cselect_b32 s2, -1, 0
	s_delay_alu instid0(SALU_CYCLE_1) | instskip(SKIP_2) | instid1(VALU_DEP_1)
	s_xor_b32 s33, s2, -1
	s_bitcmp0_b32 s14, 0
	v_cndmask_b32_e64 v1, 0, 1, s33
	v_cmp_ne_u32_e32 vcc_lo, 1, v1
	s_cbranch_scc1 .LBB51_5
; %bb.1:
	s_load_b64 s[2:3], s[0:1], 0x18
	s_and_b32 vcc_lo, exec_lo, vcc_lo
	s_waitcnt lgkmcnt(0)
	s_mov_b32 s34, s2
	s_cbranch_vccnz .LBB51_3
; %bb.2:
	s_load_b32 s34, s[2:3], 0x0
.LBB51_3:
	s_and_not1_b32 vcc_lo, exec_lo, s33
	s_cbranch_vccnz .LBB51_5
; %bb.4:
	s_load_b32 s3, s[2:3], 0x4
.LBB51_5:
	s_bitcmp1_b32 s14, 8
	s_mov_b32 s33, 0
	s_cselect_b32 s35, -1, 0
	s_bfe_u32 s2, s14, 0x10008
	s_delay_alu instid0(SALU_CYCLE_1)
	s_cmp_eq_u32 s2, 0
	s_mov_b32 s2, 0
	s_cbranch_scc1 .LBB51_11
; %bb.6:
	v_cmp_ne_u32_e32 vcc_lo, 1, v1
	s_mov_b32 s2, s20
	s_cbranch_vccnz .LBB51_8
; %bb.7:
	s_load_b32 s2, s[20:21], 0x0
.LBB51_8:
	v_cmp_ne_u32_e32 vcc_lo, 1, v1
	s_cbranch_vccnz .LBB51_10
; %bb.9:
	s_load_b32 s21, s[20:21], 0x4
.LBB51_10:
	s_waitcnt lgkmcnt(0)
	s_mov_b32 s33, s21
.LBB51_11:
	s_load_b32 s20, s[0:1], 0x0
	v_cmp_gt_u32_e64 s0, 0x200, v0
	v_lshlrev_b32_e32 v7, 3, v0
	v_or_b32_e32 v5, 0xffffff00, v0
	v_lshl_add_u32 v6, v0, 2, 0
	s_delay_alu instid0(VALU_DEP_4)
	s_and_saveexec_b32 s1, s0
	s_cbranch_execz .LBB51_14
; %bb.12:
	v_add3_u32 v1, v7, 0, 0x800
	v_or_b32_e32 v2, 0xffffff00, v0
	v_lshl_add_u32 v3, v0, 2, 0
	s_waitcnt lgkmcnt(0)
	v_mov_b32_e32 v4, s20
	v_mov_b32_e32 v8, 0
	s_mov_b32 s14, 0
.LBB51_13:                              ; =>This Inner Loop Header: Depth=1
	v_add_co_u32 v2, s21, 0x100, v2
	s_delay_alu instid0(VALU_DEP_1)
	s_xor_b32 s21, s21, -1
	ds_store_b32 v3, v4
	ds_store_2addr_b32 v1, v8, v8 offset1:1
	v_add_nc_u32_e32 v1, 0x800, v1
	v_add_nc_u32_e32 v3, 0x400, v3
	s_and_b32 s21, exec_lo, s21
	s_delay_alu instid0(SALU_CYCLE_1) | instskip(NEXT) | instid1(SALU_CYCLE_1)
	s_or_b32 s14, s21, s14
	s_and_not1_b32 exec_lo, exec_lo, s14
	s_cbranch_execnz .LBB51_13
.LBB51_14:
	s_or_b32 exec_lo, exec_lo, s1
	s_waitcnt lgkmcnt(0)
	s_barrier
	buffer_gl0_inv
	s_load_b32 s1, s[40:41], 0x0
	s_waitcnt lgkmcnt(0)
	s_add_i32 s14, s1, s15
	s_mov_b32 s15, 0
	s_delay_alu instid0(SALU_CYCLE_1) | instskip(NEXT) | instid1(SALU_CYCLE_1)
	s_lshl_b64 s[14:15], s[14:15], 2
	s_add_u32 s14, s42, s14
	s_addc_u32 s15, s43, s15
	s_and_b32 vcc_lo, exec_lo, s44
	s_load_b32 s14, s[14:15], 0x0
	s_cbranch_vccz .LBB51_34
; %bb.15:
	s_waitcnt lgkmcnt(0)
	s_ashr_i32 s15, s14, 31
	v_lshrrev_b32_e32 v1, 5, v0
	s_lshl_b64 s[40:41], s[14:15], 2
	s_mov_b32 s15, exec_lo
	s_add_u32 s24, s24, s40
	s_addc_u32 s25, s25, s41
	v_subrev_nc_u32_e32 v1, s36, v1
	s_load_b64 s[24:25], s[24:25], 0x0
	s_waitcnt lgkmcnt(0)
	s_delay_alu instid0(VALU_DEP_1)
	v_add_nc_u32_e32 v1, s24, v1
	s_sub_i32 s1, s25, s36
	s_delay_alu instid0(VALU_DEP_1) | instid1(SALU_CYCLE_1)
	v_cmpx_gt_i32_e64 s1, v1
	s_cbranch_execz .LBB51_33
; %bb.16:
	v_and_b32_e32 v2, 31, v0
	s_mov_b32 s21, 0
	s_delay_alu instid0(VALU_DEP_1)
	v_subrev_nc_u32_e32 v8, s37, v2
	s_branch .LBB51_18
.LBB51_17:                              ;   in Loop: Header=BB51_18 Depth=1
	s_or_b32 exec_lo, exec_lo, s24
	v_add_nc_u32_e32 v1, 8, v1
	s_delay_alu instid0(VALU_DEP_1) | instskip(SKIP_1) | instid1(SALU_CYCLE_1)
	v_cmp_le_i32_e32 vcc_lo, s1, v1
	s_or_b32 s21, vcc_lo, s21
	s_and_not1_b32 exec_lo, exec_lo, s21
	s_cbranch_execz .LBB51_33
.LBB51_18:                              ; =>This Loop Header: Depth=1
                                        ;     Child Loop BB51_21 Depth 2
                                        ;       Child Loop BB51_23 Depth 3
	v_ashrrev_i32_e32 v2, 31, v1
	s_mov_b32 s24, exec_lo
	s_delay_alu instid0(VALU_DEP_1) | instskip(NEXT) | instid1(VALU_DEP_1)
	v_lshlrev_b64 v[3:4], 2, v[1:2]
	v_add_co_u32 v3, vcc_lo, s26, v3
	s_delay_alu instid0(VALU_DEP_2) | instskip(SKIP_3) | instid1(VALU_DEP_1)
	v_add_co_ci_u32_e32 v4, vcc_lo, s27, v4, vcc_lo
	global_load_b32 v3, v[3:4], off
	s_waitcnt vmcnt(0)
	v_subrev_nc_u32_e32 v3, s36, v3
	v_ashrrev_i32_e32 v4, 31, v3
	s_delay_alu instid0(VALU_DEP_1) | instskip(NEXT) | instid1(VALU_DEP_1)
	v_lshlrev_b64 v[3:4], 2, v[3:4]
	v_add_co_u32 v3, vcc_lo, s30, v3
	s_delay_alu instid0(VALU_DEP_2) | instskip(SKIP_4) | instid1(VALU_DEP_1)
	v_add_co_ci_u32_e32 v4, vcc_lo, s31, v4, vcc_lo
	global_load_b64 v[3:4], v[3:4], off
	s_waitcnt vmcnt(0)
	v_subrev_nc_u32_e32 v9, s37, v4
	v_add_nc_u32_e32 v3, v3, v8
	v_cmpx_lt_i32_e64 v3, v9
	s_cbranch_execz .LBB51_17
; %bb.19:                               ;   in Loop: Header=BB51_18 Depth=1
	v_lshlrev_b64 v[10:11], 3, v[1:2]
	s_mov_b32 s25, 0
	s_delay_alu instid0(VALU_DEP_1) | instskip(NEXT) | instid1(VALU_DEP_2)
	v_add_co_u32 v10, vcc_lo, s28, v10
	v_add_co_ci_u32_e32 v11, vcc_lo, s29, v11, vcc_lo
	global_load_b64 v[11:12], v[10:11], off
	s_waitcnt vmcnt(0)
	v_mul_f32_e64 v2, v12, -s3
	v_mul_f32_e32 v10, s34, v12
	s_delay_alu instid0(VALU_DEP_2) | instskip(NEXT) | instid1(VALU_DEP_2)
	v_fmac_f32_e32 v2, s34, v11
	v_fmac_f32_e32 v10, s3, v11
	s_branch .LBB51_21
.LBB51_20:                              ;   in Loop: Header=BB51_21 Depth=2
	s_or_b32 exec_lo, exec_lo, s40
	v_add_nc_u32_e32 v3, 32, v3
	s_delay_alu instid0(VALU_DEP_1) | instskip(SKIP_1) | instid1(SALU_CYCLE_1)
	v_cmp_ge_i32_e32 vcc_lo, v3, v9
	s_or_b32 s25, vcc_lo, s25
	s_and_not1_b32 exec_lo, exec_lo, s25
	s_cbranch_execz .LBB51_17
.LBB51_21:                              ;   Parent Loop BB51_18 Depth=1
                                        ; =>  This Loop Header: Depth=2
                                        ;       Child Loop BB51_23 Depth 3
	v_ashrrev_i32_e32 v4, 31, v3
	s_mov_b32 s40, 0
	s_delay_alu instid0(VALU_DEP_1) | instskip(SKIP_1) | instid1(VALU_DEP_2)
	v_lshlrev_b64 v[11:12], 2, v[3:4]
	v_lshlrev_b64 v[13:14], 3, v[3:4]
	v_add_co_u32 v11, vcc_lo, s16, v11
	s_delay_alu instid0(VALU_DEP_3)
	v_add_co_ci_u32_e32 v12, vcc_lo, s17, v12, vcc_lo
	global_load_b32 v4, v[11:12], off
	v_add_co_u32 v11, vcc_lo, s18, v13
	v_add_co_ci_u32_e32 v12, vcc_lo, s19, v14, vcc_lo
	global_load_b64 v[13:14], v[11:12], off
	s_waitcnt vmcnt(1)
	v_subrev_nc_u32_e32 v4, s37, v4
	s_delay_alu instid0(VALU_DEP_1) | instskip(SKIP_3) | instid1(VALU_DEP_2)
	v_mul_lo_u32 v15, 0x89, v4
	s_waitcnt vmcnt(0)
	v_mul_f32_e64 v11, v14, -v10
	v_mul_f32_e32 v12, v2, v14
	v_fmac_f32_e32 v11, v2, v13
	s_delay_alu instid0(VALU_DEP_2)
	v_dual_fmac_f32 v12, v10, v13 :: v_dual_and_b32 v13, 0x1ff, v15
	s_branch .LBB51_23
.LBB51_22:                              ;   in Loop: Header=BB51_23 Depth=3
	s_or_b32 exec_lo, exec_lo, s41
	s_xor_b32 s41, s42, -1
	s_delay_alu instid0(SALU_CYCLE_1) | instskip(NEXT) | instid1(SALU_CYCLE_1)
	s_and_b32 s41, exec_lo, s41
	s_or_b32 s40, s41, s40
	s_delay_alu instid0(SALU_CYCLE_1)
	s_and_not1_b32 exec_lo, exec_lo, s40
	s_cbranch_execz .LBB51_20
.LBB51_23:                              ;   Parent Loop BB51_18 Depth=1
                                        ;     Parent Loop BB51_21 Depth=2
                                        ; =>    This Inner Loop Header: Depth=3
	s_delay_alu instid0(VALU_DEP_1)
	v_lshl_add_u32 v14, v13, 2, 0
	s_mov_b32 s41, exec_lo
                                        ; implicit-def: $sgpr42
	ds_load_b32 v15, v14
	s_waitcnt lgkmcnt(0)
	v_cmpx_ne_u32_e64 v15, v4
	s_xor_b32 s41, exec_lo, s41
	s_cbranch_execz .LBB51_31
; %bb.24:                               ;   in Loop: Header=BB51_23 Depth=3
	s_mov_b32 s43, exec_lo
                                        ; implicit-def: $sgpr42
	v_cmpx_ne_u32_e64 s20, v15
	s_xor_b32 s43, exec_lo, s43
; %bb.25:                               ;   in Loop: Header=BB51_23 Depth=3
	v_add_nc_u32_e32 v13, 1, v13
	s_mov_b32 s42, -1
                                        ; implicit-def: $vgpr14
	s_delay_alu instid0(VALU_DEP_1)
	v_and_b32_e32 v13, 0x1ff, v13
; %bb.26:                               ;   in Loop: Header=BB51_23 Depth=3
	s_and_not1_saveexec_b32 s43, s43
	s_cbranch_execz .LBB51_30
; %bb.27:                               ;   in Loop: Header=BB51_23 Depth=3
	v_mov_b32_e32 v15, s20
	s_mov_b32 s44, -1
	s_mov_b32 s45, exec_lo
	ds_cmpstore_rtn_b32 v15, v14, v4, v15
	s_waitcnt lgkmcnt(0)
	v_cmpx_eq_u32_e64 s20, v15
	s_cbranch_execz .LBB51_29
; %bb.28:                               ;   in Loop: Header=BB51_23 Depth=3
	v_lshl_add_u32 v14, v13, 2, v14
	s_xor_b32 s44, exec_lo, -1
	ds_add_f32 v14, v11 offset:2048
	ds_add_f32 v14, v12 offset:2052
.LBB51_29:                              ;   in Loop: Header=BB51_23 Depth=3
	s_or_b32 exec_lo, exec_lo, s45
	s_delay_alu instid0(SALU_CYCLE_1) | instskip(SKIP_1) | instid1(SALU_CYCLE_1)
	s_and_not1_b32 s42, s42, exec_lo
	s_and_b32 s44, s44, exec_lo
	s_or_b32 s42, s42, s44
.LBB51_30:                              ;   in Loop: Header=BB51_23 Depth=3
	s_or_b32 exec_lo, exec_lo, s43
	s_delay_alu instid0(SALU_CYCLE_1)
	s_and_b32 s42, s42, exec_lo
                                        ; implicit-def: $vgpr14
.LBB51_31:                              ;   in Loop: Header=BB51_23 Depth=3
	s_and_not1_saveexec_b32 s41, s41
	s_cbranch_execz .LBB51_22
; %bb.32:                               ;   in Loop: Header=BB51_23 Depth=3
	v_lshl_add_u32 v14, v13, 2, v14
	s_and_not1_b32 s42, s42, exec_lo
	ds_add_f32 v14, v11 offset:2048
	ds_add_f32 v14, v12 offset:2052
	s_branch .LBB51_22
.LBB51_33:
	s_or_b32 exec_lo, exec_lo, s15
.LBB51_34:
	s_delay_alu instid0(SALU_CYCLE_1)
	s_and_not1_b32 vcc_lo, exec_lo, s35
	s_cbranch_vccnz .LBB51_51
; %bb.35:
	s_waitcnt lgkmcnt(0)
	s_ashr_i32 s15, s14, 31
	v_subrev_nc_u32_e32 v1, s39, v0
	s_lshl_b64 s[16:17], s[14:15], 2
	s_mov_b32 s3, exec_lo
	s_add_u32 s16, s22, s16
	s_addc_u32 s17, s23, s17
	s_load_b64 s[16:17], s[16:17], 0x0
	s_waitcnt lgkmcnt(0)
	v_add_nc_u32_e32 v1, s16, v1
	s_sub_i32 s1, s17, s39
	s_delay_alu instid0(VALU_DEP_1) | instid1(SALU_CYCLE_1)
	v_cmpx_gt_i32_e64 s1, v1
	s_cbranch_execz .LBB51_50
; %bb.36:
	s_mov_b32 s15, 0
	s_branch .LBB51_38
.LBB51_37:                              ;   in Loop: Header=BB51_38 Depth=1
	s_or_b32 exec_lo, exec_lo, s16
	v_add_nc_u32_e32 v1, 0x100, v1
	s_delay_alu instid0(VALU_DEP_1) | instskip(SKIP_1) | instid1(SALU_CYCLE_1)
	v_cmp_le_i32_e32 vcc_lo, s1, v1
	s_or_b32 s15, vcc_lo, s15
	s_and_not1_b32 exec_lo, exec_lo, s15
	s_cbranch_execz .LBB51_50
.LBB51_38:                              ; =>This Loop Header: Depth=1
                                        ;     Child Loop BB51_40 Depth 2
	v_ashrrev_i32_e32 v2, 31, v1
	s_mov_b32 s16, 0
	s_delay_alu instid0(VALU_DEP_1) | instskip(SKIP_1) | instid1(VALU_DEP_2)
	v_lshlrev_b64 v[3:4], 2, v[1:2]
	v_lshlrev_b64 v[8:9], 3, v[1:2]
	v_add_co_u32 v3, vcc_lo, s4, v3
	s_delay_alu instid0(VALU_DEP_3) | instskip(NEXT) | instid1(VALU_DEP_3)
	v_add_co_ci_u32_e32 v4, vcc_lo, s5, v4, vcc_lo
	v_add_co_u32 v2, vcc_lo, s6, v8
	global_load_b32 v4, v[3:4], off
	v_add_co_ci_u32_e32 v3, vcc_lo, s7, v9, vcc_lo
	global_load_b64 v[8:9], v[2:3], off
	s_waitcnt vmcnt(1)
	v_subrev_nc_u32_e32 v2, s39, v4
	s_delay_alu instid0(VALU_DEP_1) | instskip(SKIP_2) | instid1(VALU_DEP_1)
	v_mul_lo_u32 v10, 0x89, v2
	s_waitcnt vmcnt(0)
	v_mul_f32_e64 v3, v9, -s33
	v_dual_mul_f32 v4, s2, v9 :: v_dual_fmac_f32 v3, s2, v8
	s_delay_alu instid0(VALU_DEP_1) | instskip(NEXT) | instid1(VALU_DEP_4)
	v_fmac_f32_e32 v4, s33, v8
	v_and_b32_e32 v8, 0x1ff, v10
	s_branch .LBB51_40
.LBB51_39:                              ;   in Loop: Header=BB51_40 Depth=2
	s_or_b32 exec_lo, exec_lo, s17
	s_xor_b32 s17, s18, -1
	s_delay_alu instid0(SALU_CYCLE_1) | instskip(NEXT) | instid1(SALU_CYCLE_1)
	s_and_b32 s17, exec_lo, s17
	s_or_b32 s16, s17, s16
	s_delay_alu instid0(SALU_CYCLE_1)
	s_and_not1_b32 exec_lo, exec_lo, s16
	s_cbranch_execz .LBB51_37
.LBB51_40:                              ;   Parent Loop BB51_38 Depth=1
                                        ; =>  This Inner Loop Header: Depth=2
	s_delay_alu instid0(VALU_DEP_1)
	v_lshl_add_u32 v9, v8, 2, 0
	s_mov_b32 s17, exec_lo
                                        ; implicit-def: $sgpr18
	ds_load_b32 v10, v9
	s_waitcnt lgkmcnt(0)
	v_cmpx_ne_u32_e64 v10, v2
	s_xor_b32 s17, exec_lo, s17
	s_cbranch_execz .LBB51_48
; %bb.41:                               ;   in Loop: Header=BB51_40 Depth=2
	s_mov_b32 s19, exec_lo
                                        ; implicit-def: $sgpr18
	v_cmpx_ne_u32_e64 s20, v10
	s_xor_b32 s19, exec_lo, s19
; %bb.42:                               ;   in Loop: Header=BB51_40 Depth=2
	v_add_nc_u32_e32 v8, 1, v8
	s_mov_b32 s18, -1
                                        ; implicit-def: $vgpr9
	s_delay_alu instid0(VALU_DEP_1)
	v_and_b32_e32 v8, 0x1ff, v8
; %bb.43:                               ;   in Loop: Header=BB51_40 Depth=2
	s_and_not1_saveexec_b32 s19, s19
	s_cbranch_execz .LBB51_47
; %bb.44:                               ;   in Loop: Header=BB51_40 Depth=2
	v_mov_b32_e32 v10, s20
	s_mov_b32 s21, -1
	s_mov_b32 s22, exec_lo
	ds_cmpstore_rtn_b32 v10, v9, v2, v10
	s_waitcnt lgkmcnt(0)
	v_cmpx_eq_u32_e64 s20, v10
	s_cbranch_execz .LBB51_46
; %bb.45:                               ;   in Loop: Header=BB51_40 Depth=2
	v_lshl_add_u32 v9, v8, 2, v9
	s_xor_b32 s21, exec_lo, -1
	ds_add_f32 v9, v3 offset:2048
	ds_add_f32 v9, v4 offset:2052
.LBB51_46:                              ;   in Loop: Header=BB51_40 Depth=2
	s_or_b32 exec_lo, exec_lo, s22
	s_delay_alu instid0(SALU_CYCLE_1) | instskip(SKIP_1) | instid1(SALU_CYCLE_1)
	s_and_not1_b32 s18, s18, exec_lo
	s_and_b32 s21, s21, exec_lo
	s_or_b32 s18, s18, s21
.LBB51_47:                              ;   in Loop: Header=BB51_40 Depth=2
	s_or_b32 exec_lo, exec_lo, s19
	s_delay_alu instid0(SALU_CYCLE_1)
	s_and_b32 s18, s18, exec_lo
                                        ; implicit-def: $vgpr9
.LBB51_48:                              ;   in Loop: Header=BB51_40 Depth=2
	s_and_not1_saveexec_b32 s17, s17
	s_cbranch_execz .LBB51_39
; %bb.49:                               ;   in Loop: Header=BB51_40 Depth=2
	v_lshl_add_u32 v9, v8, 2, v9
	s_and_not1_b32 s18, s18, exec_lo
	ds_add_f32 v9, v3 offset:2048
	ds_add_f32 v9, v4 offset:2052
	s_branch .LBB51_39
.LBB51_50:
	s_or_b32 exec_lo, exec_lo, s3
.LBB51_51:
	s_waitcnt lgkmcnt(0)
	s_barrier
	buffer_gl0_inv
	s_and_saveexec_b32 s4, s0
	s_cbranch_execz .LBB51_64
; %bb.52:
	v_mbcnt_lo_u32_b32 v1, -1, 0
	v_lshrrev_b32_e32 v2, 4, v0
	v_cmp_eq_u32_e32 vcc_lo, 0xff, v0
	v_cmp_lt_u32_e64 s0, 63, v0
	v_cmp_lt_u32_e64 s1, 0x7f, v0
	v_xor_b32_e32 v1, 63, v1
	v_dual_mov_b32 v8, 0 :: v_dual_and_b32 v3, 12, v2
	v_cmp_lt_u32_e64 s2, 0xbf, v0
	v_add3_u32 v4, v7, 0, 0x800
	s_delay_alu instid0(VALU_DEP_4) | instskip(NEXT) | instid1(VALU_DEP_4)
	v_lshrrev_b64 v[1:2], v1, -1
	v_add_nc_u32_e32 v7, 0, v3
	v_mov_b32_e32 v9, 0
	s_mov_b32 s5, 0
	s_branch .LBB51_54
.LBB51_53:                              ;   in Loop: Header=BB51_54 Depth=1
	s_or_b32 exec_lo, exec_lo, s3
	s_waitcnt lgkmcnt(0)
	s_barrier
	buffer_gl0_inv
	ds_load_b32 v2, v8 offset:6156
	v_add_co_u32 v5, s3, 0x100, v5
	s_delay_alu instid0(VALU_DEP_1) | instskip(SKIP_3) | instid1(SALU_CYCLE_1)
	s_xor_b32 s3, s3, -1
	v_add_nc_u32_e32 v4, 0x800, v4
	v_add_nc_u32_e32 v6, 0x400, v6
	s_and_b32 s3, exec_lo, s3
	s_or_b32 s5, s3, s5
	s_waitcnt lgkmcnt(0)
	v_add_nc_u32_e32 v9, v2, v9
	s_and_not1_b32 exec_lo, exec_lo, s5
	s_cbranch_execz .LBB51_64
.LBB51_54:                              ; =>This Inner Loop Header: Depth=1
	ds_load_b32 v10, v6
	ds_load_2addr_b32 v[2:3], v4 offset1:1
	s_waitcnt lgkmcnt(0)
	s_barrier
	buffer_gl0_inv
	v_cmp_gt_i32_e64 s3, s20, v10
	s_delay_alu instid0(VALU_DEP_1) | instskip(NEXT) | instid1(SALU_CYCLE_1)
	s_bcnt1_i32_b32 s6, s3
	v_dual_mov_b32 v12, s6 :: v_dual_and_b32 v11, s3, v1
	s_delay_alu instid0(VALU_DEP_1)
	v_bcnt_u32_b32 v11, v11, 0
	ds_store_b32 v7, v12 offset:6144
	s_waitcnt lgkmcnt(0)
	s_barrier
	buffer_gl0_inv
	s_and_saveexec_b32 s6, s0
	s_cbranch_execnz .LBB51_59
; %bb.55:                               ;   in Loop: Header=BB51_54 Depth=1
	s_or_b32 exec_lo, exec_lo, s6
	s_and_saveexec_b32 s6, s1
	s_cbranch_execnz .LBB51_60
.LBB51_56:                              ;   in Loop: Header=BB51_54 Depth=1
	s_or_b32 exec_lo, exec_lo, s6
	s_and_saveexec_b32 s6, s2
	s_cbranch_execnz .LBB51_61
.LBB51_57:                              ;   in Loop: Header=BB51_54 Depth=1
	s_or_b32 exec_lo, exec_lo, s6
	s_and_saveexec_b32 s6, s3
	s_cbranch_execnz .LBB51_62
.LBB51_58:                              ;   in Loop: Header=BB51_54 Depth=1
	s_or_b32 exec_lo, exec_lo, s6
	s_and_saveexec_b32 s3, vcc_lo
	s_cbranch_execz .LBB51_53
	s_branch .LBB51_63
.LBB51_59:                              ;   in Loop: Header=BB51_54 Depth=1
	ds_load_b32 v12, v8 offset:6144
	s_waitcnt lgkmcnt(0)
	v_add_nc_u32_e32 v11, v12, v11
	s_or_b32 exec_lo, exec_lo, s6
	s_and_saveexec_b32 s6, s1
	s_cbranch_execz .LBB51_56
.LBB51_60:                              ;   in Loop: Header=BB51_54 Depth=1
	ds_load_b32 v12, v8 offset:6148
	s_waitcnt lgkmcnt(0)
	v_add_nc_u32_e32 v11, v12, v11
	s_or_b32 exec_lo, exec_lo, s6
	s_and_saveexec_b32 s6, s2
	s_cbranch_execz .LBB51_57
.LBB51_61:                              ;   in Loop: Header=BB51_54 Depth=1
	ds_load_b32 v12, v8 offset:6152
	s_waitcnt lgkmcnt(0)
	v_add_nc_u32_e32 v11, v12, v11
	s_or_b32 exec_lo, exec_lo, s6
	s_and_saveexec_b32 s6, s3
	s_cbranch_execz .LBB51_58
.LBB51_62:                              ;   in Loop: Header=BB51_54 Depth=1
	s_delay_alu instid0(VALU_DEP_1) | instskip(NEXT) | instid1(VALU_DEP_1)
	v_add3_u32 v12, v9, -1, v11
	v_lshlrev_b32_e32 v13, 3, v12
	v_lshl_add_u32 v12, v12, 2, 0
	s_delay_alu instid0(VALU_DEP_2)
	v_add3_u32 v13, 0, v13, 0x800
	ds_store_b32 v12, v10
	ds_store_2addr_b32 v13, v2, v3 offset1:1
	s_or_b32 exec_lo, exec_lo, s6
	s_and_saveexec_b32 s3, vcc_lo
	s_cbranch_execz .LBB51_53
.LBB51_63:                              ;   in Loop: Header=BB51_54 Depth=1
	ds_store_b32 v8, v11 offset:6156
	s_branch .LBB51_53
.LBB51_64:
	s_or_b32 exec_lo, exec_lo, s4
	s_ashr_i32 s15, s14, 31
	s_mov_b32 s3, exec_lo
	s_lshl_b64 s[0:1], s[14:15], 2
	s_delay_alu instid0(SALU_CYCLE_1) | instskip(SKIP_4) | instid1(SALU_CYCLE_1)
	s_add_u32 s0, s8, s0
	s_addc_u32 s1, s9, s1
	s_load_b64 s[0:1], s[0:1], 0x0
	s_waitcnt lgkmcnt(0)
	s_sub_i32 s2, s1, s0
	v_cmpx_gt_i32_e64 s2, v0
	s_cbranch_execz .LBB51_74
; %bb.65:
	s_sub_i32 s3, s0, s38
	s_sub_i32 s0, s0, s1
	s_and_b32 s1, s2, 7
	s_cmp_lt_u32 s0, -7
	s_mov_b32 s7, 0
	s_cselect_b32 s4, -1, 0
	s_and_b32 s5, s2, -8
	s_cmp_lg_u32 s1, 0
	s_cselect_b32 s6, -1, 0
	s_branch .LBB51_67
.LBB51_66:                              ;   in Loop: Header=BB51_67 Depth=1
	s_delay_alu instid0(VALU_DEP_1) | instskip(SKIP_3) | instid1(VALU_DEP_3)
	v_ashrrev_i32_e32 v4, 31, v3
	v_add_nc_u32_e32 v0, 0x100, v0
	s_waitcnt lgkmcnt(1)
	v_add_nc_u32_e32 v8, s38, v5
	v_lshlrev_b64 v[6:7], 2, v[3:4]
	v_lshlrev_b64 v[3:4], 3, v[3:4]
	v_cmp_le_i32_e32 vcc_lo, s2, v0
	s_delay_alu instid0(VALU_DEP_3) | instskip(NEXT) | instid1(VALU_DEP_1)
	v_add_co_u32 v5, s0, s10, v6
	v_add_co_ci_u32_e64 v6, s0, s11, v7, s0
	s_delay_alu instid0(VALU_DEP_4) | instskip(NEXT) | instid1(VALU_DEP_1)
	v_add_co_u32 v3, s0, s12, v3
	v_add_co_ci_u32_e64 v4, s0, s13, v4, s0
	s_or_b32 s7, vcc_lo, s7
	global_store_b32 v[5:6], v8, off
	s_waitcnt lgkmcnt(0)
	global_store_b64 v[3:4], v[1:2], off
	s_and_not1_b32 exec_lo, exec_lo, s7
	s_cbranch_execz .LBB51_74
.LBB51_67:                              ; =>This Loop Header: Depth=1
                                        ;     Child Loop BB51_69 Depth 2
                                        ;     Child Loop BB51_73 Depth 2
	v_lshlrev_b32_e32 v1, 2, v0
	s_and_not1_b32 vcc_lo, exec_lo, s4
	s_mov_b32 s0, 0
	s_delay_alu instid0(VALU_DEP_1) | instskip(NEXT) | instid1(VALU_DEP_1)
	v_dual_mov_b32 v3, s3 :: v_dual_add_nc_u32 v2, 0, v1
	v_add3_u32 v1, v2, v1, 0x800
	ds_load_b32 v5, v2
	ds_load_2addr_b32 v[1:2], v1 offset1:1
	s_cbranch_vccnz .LBB51_71
; %bb.68:                               ;   in Loop: Header=BB51_67 Depth=1
	v_mov_b32_e32 v3, s3
	s_mov_b32 s8, 0
	s_set_inst_prefetch_distance 0x1
	.p2align	6
.LBB51_69:                              ;   Parent Loop BB51_67 Depth=1
                                        ; =>  This Inner Loop Header: Depth=2
	v_mov_b32_e32 v4, s8
	s_add_i32 s0, s0, 8
	s_add_i32 s8, s8, 32
	s_cmp_eq_u32 s5, s0
	ds_load_2addr_b32 v[6:7], v4 offset1:1
	ds_load_2addr_b32 v[8:9], v4 offset0:2 offset1:3
	ds_load_2addr_b32 v[10:11], v4 offset0:4 offset1:5
	;; [unrolled: 1-line block ×3, first 2 shown]
	s_waitcnt lgkmcnt(3)
	v_cmp_gt_i32_e32 vcc_lo, v5, v6
	v_cndmask_b32_e64 v4, 0, 1, vcc_lo
	s_waitcnt lgkmcnt(2)
	v_cmp_gt_i32_e32 vcc_lo, v5, v8
	v_cndmask_b32_e64 v6, 0, 1, vcc_lo
	v_cmp_gt_i32_e32 vcc_lo, v5, v7
	v_add_co_ci_u32_e32 v3, vcc_lo, v3, v4, vcc_lo
	s_waitcnt lgkmcnt(1)
	v_cmp_gt_i32_e32 vcc_lo, v5, v10
	v_cndmask_b32_e64 v4, 0, 1, vcc_lo
	v_cmp_gt_i32_e32 vcc_lo, v5, v9
	v_add_co_ci_u32_e32 v3, vcc_lo, v3, v6, vcc_lo
	;; [unrolled: 5-line block ×3, first 2 shown]
	v_cmp_gt_i32_e32 vcc_lo, v5, v13
	s_delay_alu instid0(VALU_DEP_2)
	v_add_co_ci_u32_e32 v3, vcc_lo, v3, v6, vcc_lo
	s_cbranch_scc0 .LBB51_69
; %bb.70:                               ;   in Loop: Header=BB51_67 Depth=1
	s_set_inst_prefetch_distance 0x2
	s_mov_b32 s0, s5
.LBB51_71:                              ;   in Loop: Header=BB51_67 Depth=1
	s_and_not1_b32 vcc_lo, exec_lo, s6
	s_cbranch_vccnz .LBB51_66
; %bb.72:                               ;   in Loop: Header=BB51_67 Depth=1
	s_lshl_b32 s0, s0, 2
	s_mov_b32 s8, s1
	s_add_i32 s0, s0, 0
.LBB51_73:                              ;   Parent Loop BB51_67 Depth=1
                                        ; =>  This Inner Loop Header: Depth=2
	s_delay_alu instid0(SALU_CYCLE_1)
	v_mov_b32_e32 v4, s0
	s_add_i32 s8, s8, -1
	s_add_i32 s0, s0, 4
	s_cmp_lg_u32 s8, 0
	ds_load_b32 v4, v4
	s_waitcnt lgkmcnt(0)
	v_cmp_gt_i32_e32 vcc_lo, v5, v4
	v_add_co_ci_u32_e32 v3, vcc_lo, 0, v3, vcc_lo
	s_cbranch_scc1 .LBB51_73
	s_branch .LBB51_66
.LBB51_74:
	s_nop 0
	s_sendmsg sendmsg(MSG_DEALLOC_VGPRS)
	s_endpgm
	.section	.rodata,"a",@progbits
	.p2align	6, 0x0
	.amdhsa_kernel _ZN9rocsparseL26csrgemm_fill_block_per_rowILj256ELj32ELj512ELj137ELj64Eii21rocsparse_complex_numIfEEEvT5_PKS3_S5_NS_24const_host_device_scalarIT6_EEPKT4_S5_PKS7_SB_S5_SD_S8_SB_S5_SD_SB_PS3_PS7_21rocsparse_index_base_SG_SG_SG_bbb
		.amdhsa_group_segment_fixed_size 0
		.amdhsa_private_segment_fixed_size 0
		.amdhsa_kernarg_size 156
		.amdhsa_user_sgpr_count 15
		.amdhsa_user_sgpr_dispatch_ptr 0
		.amdhsa_user_sgpr_queue_ptr 0
		.amdhsa_user_sgpr_kernarg_segment_ptr 1
		.amdhsa_user_sgpr_dispatch_id 0
		.amdhsa_user_sgpr_private_segment_size 0
		.amdhsa_wavefront_size32 1
		.amdhsa_uses_dynamic_stack 0
		.amdhsa_enable_private_segment 0
		.amdhsa_system_sgpr_workgroup_id_x 1
		.amdhsa_system_sgpr_workgroup_id_y 0
		.amdhsa_system_sgpr_workgroup_id_z 0
		.amdhsa_system_sgpr_workgroup_info 0
		.amdhsa_system_vgpr_workitem_id 0
		.amdhsa_next_free_vgpr 16
		.amdhsa_next_free_sgpr 46
		.amdhsa_reserve_vcc 1
		.amdhsa_float_round_mode_32 0
		.amdhsa_float_round_mode_16_64 0
		.amdhsa_float_denorm_mode_32 3
		.amdhsa_float_denorm_mode_16_64 3
		.amdhsa_dx10_clamp 1
		.amdhsa_ieee_mode 1
		.amdhsa_fp16_overflow 0
		.amdhsa_workgroup_processor_mode 1
		.amdhsa_memory_ordered 1
		.amdhsa_forward_progress 0
		.amdhsa_shared_vgpr_count 0
		.amdhsa_exception_fp_ieee_invalid_op 0
		.amdhsa_exception_fp_denorm_src 0
		.amdhsa_exception_fp_ieee_div_zero 0
		.amdhsa_exception_fp_ieee_overflow 0
		.amdhsa_exception_fp_ieee_underflow 0
		.amdhsa_exception_fp_ieee_inexact 0
		.amdhsa_exception_int_div_zero 0
	.end_amdhsa_kernel
	.section	.text._ZN9rocsparseL26csrgemm_fill_block_per_rowILj256ELj32ELj512ELj137ELj64Eii21rocsparse_complex_numIfEEEvT5_PKS3_S5_NS_24const_host_device_scalarIT6_EEPKT4_S5_PKS7_SB_S5_SD_S8_SB_S5_SD_SB_PS3_PS7_21rocsparse_index_base_SG_SG_SG_bbb,"axG",@progbits,_ZN9rocsparseL26csrgemm_fill_block_per_rowILj256ELj32ELj512ELj137ELj64Eii21rocsparse_complex_numIfEEEvT5_PKS3_S5_NS_24const_host_device_scalarIT6_EEPKT4_S5_PKS7_SB_S5_SD_S8_SB_S5_SD_SB_PS3_PS7_21rocsparse_index_base_SG_SG_SG_bbb,comdat
.Lfunc_end51:
	.size	_ZN9rocsparseL26csrgemm_fill_block_per_rowILj256ELj32ELj512ELj137ELj64Eii21rocsparse_complex_numIfEEEvT5_PKS3_S5_NS_24const_host_device_scalarIT6_EEPKT4_S5_PKS7_SB_S5_SD_S8_SB_S5_SD_SB_PS3_PS7_21rocsparse_index_base_SG_SG_SG_bbb, .Lfunc_end51-_ZN9rocsparseL26csrgemm_fill_block_per_rowILj256ELj32ELj512ELj137ELj64Eii21rocsparse_complex_numIfEEEvT5_PKS3_S5_NS_24const_host_device_scalarIT6_EEPKT4_S5_PKS7_SB_S5_SD_S8_SB_S5_SD_SB_PS3_PS7_21rocsparse_index_base_SG_SG_SG_bbb
                                        ; -- End function
	.section	.AMDGPU.csdata,"",@progbits
; Kernel info:
; codeLenInByte = 2776
; NumSgprs: 48
; NumVgprs: 16
; ScratchSize: 0
; MemoryBound: 0
; FloatMode: 240
; IeeeMode: 1
; LDSByteSize: 0 bytes/workgroup (compile time only)
; SGPRBlocks: 5
; VGPRBlocks: 1
; NumSGPRsForWavesPerEU: 48
; NumVGPRsForWavesPerEU: 16
; Occupancy: 16
; WaveLimiterHint : 1
; COMPUTE_PGM_RSRC2:SCRATCH_EN: 0
; COMPUTE_PGM_RSRC2:USER_SGPR: 15
; COMPUTE_PGM_RSRC2:TRAP_HANDLER: 0
; COMPUTE_PGM_RSRC2:TGID_X_EN: 1
; COMPUTE_PGM_RSRC2:TGID_Y_EN: 0
; COMPUTE_PGM_RSRC2:TGID_Z_EN: 0
; COMPUTE_PGM_RSRC2:TIDIG_COMP_CNT: 0
	.section	.text._ZN9rocsparseL26csrgemm_fill_block_per_rowILj512ELj32ELj1024ELj137ELj32Eii21rocsparse_complex_numIfEEEvT5_PKS3_S5_NS_24const_host_device_scalarIT6_EEPKT4_S5_PKS7_SB_S5_SD_S8_SB_S5_SD_SB_PS3_PS7_21rocsparse_index_base_SG_SG_SG_bbb,"axG",@progbits,_ZN9rocsparseL26csrgemm_fill_block_per_rowILj512ELj32ELj1024ELj137ELj32Eii21rocsparse_complex_numIfEEEvT5_PKS3_S5_NS_24const_host_device_scalarIT6_EEPKT4_S5_PKS7_SB_S5_SD_S8_SB_S5_SD_SB_PS3_PS7_21rocsparse_index_base_SG_SG_SG_bbb,comdat
	.globl	_ZN9rocsparseL26csrgemm_fill_block_per_rowILj512ELj32ELj1024ELj137ELj32Eii21rocsparse_complex_numIfEEEvT5_PKS3_S5_NS_24const_host_device_scalarIT6_EEPKT4_S5_PKS7_SB_S5_SD_S8_SB_S5_SD_SB_PS3_PS7_21rocsparse_index_base_SG_SG_SG_bbb ; -- Begin function _ZN9rocsparseL26csrgemm_fill_block_per_rowILj512ELj32ELj1024ELj137ELj32Eii21rocsparse_complex_numIfEEEvT5_PKS3_S5_NS_24const_host_device_scalarIT6_EEPKT4_S5_PKS7_SB_S5_SD_S8_SB_S5_SD_SB_PS3_PS7_21rocsparse_index_base_SG_SG_SG_bbb
	.p2align	8
	.type	_ZN9rocsparseL26csrgemm_fill_block_per_rowILj512ELj32ELj1024ELj137ELj32Eii21rocsparse_complex_numIfEEEvT5_PKS3_S5_NS_24const_host_device_scalarIT6_EEPKT4_S5_PKS7_SB_S5_SD_S8_SB_S5_SD_SB_PS3_PS7_21rocsparse_index_base_SG_SG_SG_bbb,@function
_ZN9rocsparseL26csrgemm_fill_block_per_rowILj512ELj32ELj1024ELj137ELj32Eii21rocsparse_complex_numIfEEEvT5_PKS3_S5_NS_24const_host_device_scalarIT6_EEPKT4_S5_PKS7_SB_S5_SD_S8_SB_S5_SD_SB_PS3_PS7_21rocsparse_index_base_SG_SG_SG_bbb: ; @_ZN9rocsparseL26csrgemm_fill_block_per_rowILj512ELj32ELj1024ELj137ELj32Eii21rocsparse_complex_numIfEEEvT5_PKS3_S5_NS_24const_host_device_scalarIT6_EEPKT4_S5_PKS7_SB_S5_SD_S8_SB_S5_SD_SB_PS3_PS7_21rocsparse_index_base_SG_SG_SG_bbb
; %bb.0:
	s_clause 0x6
	s_load_b32 s12, s[0:1], 0x98
	s_load_b256 s[16:23], s[0:1], 0x60
	s_load_b256 s[4:11], s[0:1], 0x40
	s_load_b128 s[40:43], s[0:1], 0x8
	s_load_b256 s[24:31], s[0:1], 0x20
	s_load_b64 s[34:35], s[0:1], 0x80
	s_load_b128 s[36:39], s[0:1], 0x88
	s_mov_b32 s3, 0
	s_mov_b32 s13, 0
	s_waitcnt lgkmcnt(0)
	s_bitcmp1_b32 s12, 0
	s_cselect_b32 s44, -1, 0
	s_bitcmp1_b32 s12, 16
	s_cselect_b32 s2, -1, 0
	s_delay_alu instid0(SALU_CYCLE_1) | instskip(SKIP_2) | instid1(VALU_DEP_1)
	s_xor_b32 s14, s2, -1
	s_bitcmp0_b32 s12, 0
	v_cndmask_b32_e64 v1, 0, 1, s14
	v_cmp_ne_u32_e32 vcc_lo, 1, v1
	s_cbranch_scc1 .LBB52_5
; %bb.1:
	s_load_b64 s[2:3], s[0:1], 0x18
	s_and_b32 vcc_lo, exec_lo, vcc_lo
	s_waitcnt lgkmcnt(0)
	s_mov_b32 s13, s2
	s_cbranch_vccnz .LBB52_3
; %bb.2:
	s_load_b32 s13, s[2:3], 0x0
.LBB52_3:
	s_and_not1_b32 vcc_lo, exec_lo, s14
	s_cbranch_vccnz .LBB52_5
; %bb.4:
	s_load_b32 s3, s[2:3], 0x4
.LBB52_5:
	s_bitcmp1_b32 s12, 8
	s_cselect_b32 s14, -1, 0
	s_bfe_u32 s2, s12, 0x10008
	s_mov_b32 s12, 0
	s_cmp_eq_u32 s2, 0
	s_mov_b32 s2, 0
	s_cbranch_scc1 .LBB52_11
; %bb.6:
	v_cmp_ne_u32_e32 vcc_lo, 1, v1
	s_mov_b32 s2, s8
	s_cbranch_vccnz .LBB52_8
; %bb.7:
	s_load_b32 s2, s[8:9], 0x0
.LBB52_8:
	v_cmp_ne_u32_e32 vcc_lo, 1, v1
	s_cbranch_vccnz .LBB52_10
; %bb.9:
	s_load_b32 s9, s[8:9], 0x4
.LBB52_10:
	s_waitcnt lgkmcnt(0)
	s_mov_b32 s12, s9
.LBB52_11:
	s_load_b32 s33, s[0:1], 0x0
	v_lshl_add_u32 v5, v0, 2, 0
	v_lshlrev_b32_e32 v1, 3, v0
	v_or_b32_e32 v6, 0xfffffe00, v0
	s_mov_b32 s0, 0
	s_delay_alu instid0(VALU_DEP_3) | instskip(NEXT) | instid1(VALU_DEP_3)
	v_mov_b32_e32 v2, v5
	v_add3_u32 v7, v1, 0, 0x1000
	v_mov_b32_e32 v1, 0
	s_delay_alu instid0(VALU_DEP_2)
	v_dual_mov_b32 v3, v6 :: v_dual_mov_b32 v8, v7
	s_waitcnt lgkmcnt(0)
	v_mov_b32_e32 v4, s33
.LBB52_12:                              ; =>This Inner Loop Header: Depth=1
	s_delay_alu instid0(VALU_DEP_2) | instskip(NEXT) | instid1(VALU_DEP_1)
	v_add_co_u32 v3, s1, 0x200, v3
	s_xor_b32 s1, s1, -1
	ds_store_b32 v2, v4
	ds_store_2addr_b32 v8, v1, v1 offset1:1
	v_add_nc_u32_e32 v8, 0x1000, v8
	v_add_nc_u32_e32 v2, 0x800, v2
	s_and_b32 s1, exec_lo, s1
	s_delay_alu instid0(SALU_CYCLE_1) | instskip(NEXT) | instid1(SALU_CYCLE_1)
	s_or_b32 s0, s1, s0
	s_and_not1_b32 exec_lo, exec_lo, s0
	s_cbranch_execnz .LBB52_12
; %bb.13:
	s_or_b32 exec_lo, exec_lo, s0
	s_waitcnt lgkmcnt(0)
	s_barrier
	buffer_gl0_inv
	s_load_b32 s0, s[40:41], 0x0
	s_mov_b32 s1, 0
	v_lshrrev_b32_e32 v8, 5, v0
	s_waitcnt lgkmcnt(0)
	s_add_i32 s0, s0, s15
	s_delay_alu instid0(SALU_CYCLE_1) | instskip(NEXT) | instid1(SALU_CYCLE_1)
	s_lshl_b64 s[0:1], s[0:1], 2
	s_add_u32 s0, s42, s0
	s_addc_u32 s1, s43, s1
	s_and_b32 vcc_lo, exec_lo, s44
	s_load_b32 s40, s[0:1], 0x0
	s_cbranch_vccz .LBB52_33
; %bb.14:
	s_waitcnt lgkmcnt(0)
	s_ashr_i32 s41, s40, 31
	v_subrev_nc_u32_e32 v1, s36, v8
	s_lshl_b64 s[0:1], s[40:41], 2
	s_delay_alu instid0(SALU_CYCLE_1)
	s_add_u32 s0, s24, s0
	s_addc_u32 s1, s25, s1
	s_load_b64 s[0:1], s[0:1], 0x0
	s_waitcnt lgkmcnt(0)
	v_add_nc_u32_e32 v1, s0, v1
	s_sub_i32 s0, s1, s36
	s_mov_b32 s1, exec_lo
	s_delay_alu instid0(VALU_DEP_1)
	v_cmpx_gt_i32_e64 s0, v1
	s_cbranch_execz .LBB52_32
; %bb.15:
	v_and_b32_e32 v2, 31, v0
	s_mov_b32 s8, 0
	s_delay_alu instid0(VALU_DEP_1)
	v_subrev_nc_u32_e32 v9, s37, v2
	s_branch .LBB52_17
.LBB52_16:                              ;   in Loop: Header=BB52_17 Depth=1
	s_or_b32 exec_lo, exec_lo, s9
	v_add_nc_u32_e32 v1, 16, v1
	s_delay_alu instid0(VALU_DEP_1) | instskip(SKIP_1) | instid1(SALU_CYCLE_1)
	v_cmp_le_i32_e32 vcc_lo, s0, v1
	s_or_b32 s8, vcc_lo, s8
	s_and_not1_b32 exec_lo, exec_lo, s8
	s_cbranch_execz .LBB52_32
.LBB52_17:                              ; =>This Loop Header: Depth=1
                                        ;     Child Loop BB52_20 Depth 2
                                        ;       Child Loop BB52_22 Depth 3
	v_ashrrev_i32_e32 v2, 31, v1
	s_mov_b32 s9, exec_lo
	s_delay_alu instid0(VALU_DEP_1) | instskip(NEXT) | instid1(VALU_DEP_1)
	v_lshlrev_b64 v[3:4], 2, v[1:2]
	v_add_co_u32 v3, vcc_lo, s26, v3
	s_delay_alu instid0(VALU_DEP_2) | instskip(SKIP_3) | instid1(VALU_DEP_1)
	v_add_co_ci_u32_e32 v4, vcc_lo, s27, v4, vcc_lo
	global_load_b32 v3, v[3:4], off
	s_waitcnt vmcnt(0)
	v_subrev_nc_u32_e32 v3, s36, v3
	v_ashrrev_i32_e32 v4, 31, v3
	s_delay_alu instid0(VALU_DEP_1) | instskip(NEXT) | instid1(VALU_DEP_1)
	v_lshlrev_b64 v[3:4], 2, v[3:4]
	v_add_co_u32 v3, vcc_lo, s30, v3
	s_delay_alu instid0(VALU_DEP_2) | instskip(SKIP_4) | instid1(VALU_DEP_1)
	v_add_co_ci_u32_e32 v4, vcc_lo, s31, v4, vcc_lo
	global_load_b64 v[3:4], v[3:4], off
	s_waitcnt vmcnt(0)
	v_subrev_nc_u32_e32 v10, s37, v4
	v_add_nc_u32_e32 v3, v3, v9
	v_cmpx_lt_i32_e64 v3, v10
	s_cbranch_execz .LBB52_16
; %bb.18:                               ;   in Loop: Header=BB52_17 Depth=1
	v_lshlrev_b64 v[11:12], 3, v[1:2]
	s_mov_b32 s15, 0
	s_delay_alu instid0(VALU_DEP_1) | instskip(NEXT) | instid1(VALU_DEP_2)
	v_add_co_u32 v11, vcc_lo, s28, v11
	v_add_co_ci_u32_e32 v12, vcc_lo, s29, v12, vcc_lo
	global_load_b64 v[12:13], v[11:12], off
	s_waitcnt vmcnt(0)
	v_mul_f32_e64 v2, v13, -s3
	s_delay_alu instid0(VALU_DEP_1) | instskip(NEXT) | instid1(VALU_DEP_1)
	v_dual_mul_f32 v11, s13, v13 :: v_dual_fmac_f32 v2, s13, v12
	v_fmac_f32_e32 v11, s3, v12
	s_branch .LBB52_20
.LBB52_19:                              ;   in Loop: Header=BB52_20 Depth=2
	s_or_b32 exec_lo, exec_lo, s24
	v_add_nc_u32_e32 v3, 32, v3
	s_delay_alu instid0(VALU_DEP_1) | instskip(SKIP_1) | instid1(SALU_CYCLE_1)
	v_cmp_ge_i32_e32 vcc_lo, v3, v10
	s_or_b32 s15, vcc_lo, s15
	s_and_not1_b32 exec_lo, exec_lo, s15
	s_cbranch_execz .LBB52_16
.LBB52_20:                              ;   Parent Loop BB52_17 Depth=1
                                        ; =>  This Loop Header: Depth=2
                                        ;       Child Loop BB52_22 Depth 3
	v_ashrrev_i32_e32 v4, 31, v3
	s_mov_b32 s24, 0
	s_delay_alu instid0(VALU_DEP_1) | instskip(SKIP_1) | instid1(VALU_DEP_2)
	v_lshlrev_b64 v[12:13], 2, v[3:4]
	v_lshlrev_b64 v[14:15], 3, v[3:4]
	v_add_co_u32 v12, vcc_lo, s4, v12
	s_delay_alu instid0(VALU_DEP_3)
	v_add_co_ci_u32_e32 v13, vcc_lo, s5, v13, vcc_lo
	global_load_b32 v4, v[12:13], off
	v_add_co_u32 v12, vcc_lo, s6, v14
	v_add_co_ci_u32_e32 v13, vcc_lo, s7, v15, vcc_lo
	global_load_b64 v[14:15], v[12:13], off
	s_waitcnt vmcnt(1)
	v_subrev_nc_u32_e32 v4, s37, v4
	s_delay_alu instid0(VALU_DEP_1) | instskip(SKIP_3) | instid1(VALU_DEP_2)
	v_mul_lo_u32 v16, 0x89, v4
	s_waitcnt vmcnt(0)
	v_mul_f32_e64 v12, v15, -v11
	v_mul_f32_e32 v13, v2, v15
	v_fmac_f32_e32 v12, v2, v14
	s_delay_alu instid0(VALU_DEP_2)
	v_dual_fmac_f32 v13, v11, v14 :: v_dual_and_b32 v14, 0x3ff, v16
	s_branch .LBB52_22
.LBB52_21:                              ;   in Loop: Header=BB52_22 Depth=3
	s_or_b32 exec_lo, exec_lo, s25
	s_xor_b32 s25, s41, -1
	s_delay_alu instid0(SALU_CYCLE_1) | instskip(NEXT) | instid1(SALU_CYCLE_1)
	s_and_b32 s25, exec_lo, s25
	s_or_b32 s24, s25, s24
	s_delay_alu instid0(SALU_CYCLE_1)
	s_and_not1_b32 exec_lo, exec_lo, s24
	s_cbranch_execz .LBB52_19
.LBB52_22:                              ;   Parent Loop BB52_17 Depth=1
                                        ;     Parent Loop BB52_20 Depth=2
                                        ; =>    This Inner Loop Header: Depth=3
	s_delay_alu instid0(VALU_DEP_1)
	v_lshl_add_u32 v15, v14, 2, 0
	s_mov_b32 s25, exec_lo
                                        ; implicit-def: $sgpr41
	ds_load_b32 v16, v15
	s_waitcnt lgkmcnt(0)
	v_cmpx_ne_u32_e64 v16, v4
	s_xor_b32 s25, exec_lo, s25
	s_cbranch_execz .LBB52_30
; %bb.23:                               ;   in Loop: Header=BB52_22 Depth=3
	s_mov_b32 s42, exec_lo
                                        ; implicit-def: $sgpr41
	v_cmpx_ne_u32_e64 s33, v16
	s_xor_b32 s42, exec_lo, s42
; %bb.24:                               ;   in Loop: Header=BB52_22 Depth=3
	v_add_nc_u32_e32 v14, 1, v14
	s_mov_b32 s41, -1
                                        ; implicit-def: $vgpr15
	s_delay_alu instid0(VALU_DEP_1)
	v_and_b32_e32 v14, 0x3ff, v14
; %bb.25:                               ;   in Loop: Header=BB52_22 Depth=3
	s_and_not1_saveexec_b32 s42, s42
	s_cbranch_execz .LBB52_29
; %bb.26:                               ;   in Loop: Header=BB52_22 Depth=3
	v_mov_b32_e32 v16, s33
	s_mov_b32 s43, -1
	s_mov_b32 s44, exec_lo
	ds_cmpstore_rtn_b32 v16, v15, v4, v16
	s_waitcnt lgkmcnt(0)
	v_cmpx_eq_u32_e64 s33, v16
	s_cbranch_execz .LBB52_28
; %bb.27:                               ;   in Loop: Header=BB52_22 Depth=3
	v_lshl_add_u32 v15, v14, 2, v15
	s_xor_b32 s43, exec_lo, -1
	ds_add_f32 v15, v12 offset:4096
	ds_add_f32 v15, v13 offset:4100
.LBB52_28:                              ;   in Loop: Header=BB52_22 Depth=3
	s_or_b32 exec_lo, exec_lo, s44
	s_delay_alu instid0(SALU_CYCLE_1) | instskip(SKIP_1) | instid1(SALU_CYCLE_1)
	s_and_not1_b32 s41, s41, exec_lo
	s_and_b32 s43, s43, exec_lo
	s_or_b32 s41, s41, s43
.LBB52_29:                              ;   in Loop: Header=BB52_22 Depth=3
	s_or_b32 exec_lo, exec_lo, s42
	s_delay_alu instid0(SALU_CYCLE_1)
	s_and_b32 s41, s41, exec_lo
                                        ; implicit-def: $vgpr15
.LBB52_30:                              ;   in Loop: Header=BB52_22 Depth=3
	s_and_not1_saveexec_b32 s25, s25
	s_cbranch_execz .LBB52_21
; %bb.31:                               ;   in Loop: Header=BB52_22 Depth=3
	v_lshl_add_u32 v15, v14, 2, v15
	s_and_not1_b32 s41, s41, exec_lo
	ds_add_f32 v15, v12 offset:4096
	ds_add_f32 v15, v13 offset:4100
	s_branch .LBB52_21
.LBB52_32:
	s_or_b32 exec_lo, exec_lo, s1
.LBB52_33:
	s_delay_alu instid0(SALU_CYCLE_1)
	s_and_not1_b32 vcc_lo, exec_lo, s14
	s_cbranch_vccnz .LBB52_50
; %bb.34:
	s_waitcnt lgkmcnt(0)
	s_ashr_i32 s41, s40, 31
	v_subrev_nc_u32_e32 v1, s39, v0
	s_lshl_b64 s[0:1], s[40:41], 2
	s_delay_alu instid0(SALU_CYCLE_1)
	s_add_u32 s0, s10, s0
	s_addc_u32 s1, s11, s1
	s_load_b64 s[0:1], s[0:1], 0x0
	s_waitcnt lgkmcnt(0)
	v_add_nc_u32_e32 v1, s0, v1
	s_sub_i32 s0, s1, s39
	s_mov_b32 s1, exec_lo
	s_delay_alu instid0(VALU_DEP_1)
	v_cmpx_gt_i32_e64 s0, v1
	s_cbranch_execz .LBB52_49
; %bb.35:
	s_mov_b32 s3, 0
	s_branch .LBB52_37
.LBB52_36:                              ;   in Loop: Header=BB52_37 Depth=1
	s_or_b32 exec_lo, exec_lo, s4
	v_add_nc_u32_e32 v1, 0x200, v1
	s_delay_alu instid0(VALU_DEP_1) | instskip(SKIP_1) | instid1(SALU_CYCLE_1)
	v_cmp_le_i32_e32 vcc_lo, s0, v1
	s_or_b32 s3, vcc_lo, s3
	s_and_not1_b32 exec_lo, exec_lo, s3
	s_cbranch_execz .LBB52_49
.LBB52_37:                              ; =>This Loop Header: Depth=1
                                        ;     Child Loop BB52_39 Depth 2
	v_ashrrev_i32_e32 v2, 31, v1
	s_mov_b32 s4, 0
	s_delay_alu instid0(VALU_DEP_1) | instskip(SKIP_1) | instid1(VALU_DEP_2)
	v_lshlrev_b64 v[3:4], 2, v[1:2]
	v_lshlrev_b64 v[9:10], 3, v[1:2]
	v_add_co_u32 v3, vcc_lo, s16, v3
	s_delay_alu instid0(VALU_DEP_3) | instskip(NEXT) | instid1(VALU_DEP_3)
	v_add_co_ci_u32_e32 v4, vcc_lo, s17, v4, vcc_lo
	v_add_co_u32 v2, vcc_lo, s18, v9
	global_load_b32 v4, v[3:4], off
	v_add_co_ci_u32_e32 v3, vcc_lo, s19, v10, vcc_lo
	global_load_b64 v[9:10], v[2:3], off
	s_waitcnt vmcnt(1)
	v_subrev_nc_u32_e32 v2, s39, v4
	s_delay_alu instid0(VALU_DEP_1) | instskip(SKIP_2) | instid1(VALU_DEP_1)
	v_mul_lo_u32 v11, 0x89, v2
	s_waitcnt vmcnt(0)
	v_mul_f32_e64 v3, v10, -s12
	v_dual_mul_f32 v4, s2, v10 :: v_dual_fmac_f32 v3, s2, v9
	s_delay_alu instid0(VALU_DEP_1)
	v_dual_fmac_f32 v4, s12, v9 :: v_dual_and_b32 v9, 0x3ff, v11
	s_branch .LBB52_39
.LBB52_38:                              ;   in Loop: Header=BB52_39 Depth=2
	s_or_b32 exec_lo, exec_lo, s5
	s_xor_b32 s5, s6, -1
	s_delay_alu instid0(SALU_CYCLE_1) | instskip(NEXT) | instid1(SALU_CYCLE_1)
	s_and_b32 s5, exec_lo, s5
	s_or_b32 s4, s5, s4
	s_delay_alu instid0(SALU_CYCLE_1)
	s_and_not1_b32 exec_lo, exec_lo, s4
	s_cbranch_execz .LBB52_36
.LBB52_39:                              ;   Parent Loop BB52_37 Depth=1
                                        ; =>  This Inner Loop Header: Depth=2
	s_delay_alu instid0(VALU_DEP_1)
	v_lshl_add_u32 v10, v9, 2, 0
	s_mov_b32 s5, exec_lo
                                        ; implicit-def: $sgpr6
	ds_load_b32 v11, v10
	s_waitcnt lgkmcnt(0)
	v_cmpx_ne_u32_e64 v11, v2
	s_xor_b32 s5, exec_lo, s5
	s_cbranch_execz .LBB52_47
; %bb.40:                               ;   in Loop: Header=BB52_39 Depth=2
	s_mov_b32 s7, exec_lo
                                        ; implicit-def: $sgpr6
	v_cmpx_ne_u32_e64 s33, v11
	s_xor_b32 s7, exec_lo, s7
; %bb.41:                               ;   in Loop: Header=BB52_39 Depth=2
	v_add_nc_u32_e32 v9, 1, v9
	s_mov_b32 s6, -1
                                        ; implicit-def: $vgpr10
	s_delay_alu instid0(VALU_DEP_1)
	v_and_b32_e32 v9, 0x3ff, v9
; %bb.42:                               ;   in Loop: Header=BB52_39 Depth=2
	s_and_not1_saveexec_b32 s7, s7
	s_cbranch_execz .LBB52_46
; %bb.43:                               ;   in Loop: Header=BB52_39 Depth=2
	v_mov_b32_e32 v11, s33
	s_mov_b32 s8, -1
	s_mov_b32 s9, exec_lo
	ds_cmpstore_rtn_b32 v11, v10, v2, v11
	s_waitcnt lgkmcnt(0)
	v_cmpx_eq_u32_e64 s33, v11
	s_cbranch_execz .LBB52_45
; %bb.44:                               ;   in Loop: Header=BB52_39 Depth=2
	v_lshl_add_u32 v10, v9, 2, v10
	s_xor_b32 s8, exec_lo, -1
	ds_add_f32 v10, v3 offset:4096
	ds_add_f32 v10, v4 offset:4100
.LBB52_45:                              ;   in Loop: Header=BB52_39 Depth=2
	s_or_b32 exec_lo, exec_lo, s9
	s_delay_alu instid0(SALU_CYCLE_1) | instskip(SKIP_1) | instid1(SALU_CYCLE_1)
	s_and_not1_b32 s6, s6, exec_lo
	s_and_b32 s8, s8, exec_lo
	s_or_b32 s6, s6, s8
.LBB52_46:                              ;   in Loop: Header=BB52_39 Depth=2
	s_or_b32 exec_lo, exec_lo, s7
	s_delay_alu instid0(SALU_CYCLE_1)
	s_and_b32 s6, s6, exec_lo
                                        ; implicit-def: $vgpr10
.LBB52_47:                              ;   in Loop: Header=BB52_39 Depth=2
	s_and_not1_saveexec_b32 s5, s5
	s_cbranch_execz .LBB52_38
; %bb.48:                               ;   in Loop: Header=BB52_39 Depth=2
	v_lshl_add_u32 v10, v9, 2, v10
	s_and_not1_b32 s6, s6, exec_lo
	ds_add_f32 v10, v3 offset:4096
	ds_add_f32 v10, v4 offset:4100
	s_branch .LBB52_38
.LBB52_49:
	s_or_b32 exec_lo, exec_lo, s1
.LBB52_50:
	v_mbcnt_lo_u32_b32 v1, -1, 0
	v_lshl_add_u32 v4, v8, 2, 0
	v_cmp_eq_u32_e32 vcc_lo, 0x1ff, v0
	v_cmp_lt_u32_e64 s0, 31, v0
	v_cmp_lt_u32_e64 s1, 63, v0
	v_xor_b32_e32 v1, 63, v1
	v_cmp_lt_u32_e64 s2, 0x5f, v0
	v_cmp_lt_u32_e64 s3, 0x7f, v0
	;; [unrolled: 1-line block ×4, first 2 shown]
	v_lshrrev_b64 v[1:2], v1, -1
	v_cmp_lt_u32_e64 s6, 0xdf, v0
	v_cmp_lt_u32_e64 s7, 0xff, v0
	;; [unrolled: 1-line block ×9, first 2 shown]
	v_dual_mov_b32 v8, 0 :: v_dual_mov_b32 v9, 0
	s_mov_b32 s16, 0
	s_waitcnt lgkmcnt(0)
	s_barrier
	buffer_gl0_inv
	s_branch .LBB52_52
.LBB52_51:                              ;   in Loop: Header=BB52_52 Depth=1
	s_or_b32 exec_lo, exec_lo, s15
	s_waitcnt lgkmcnt(0)
	s_barrier
	buffer_gl0_inv
	ds_load_b32 v2, v8 offset:12348
	v_add_co_u32 v6, s15, 0x200, v6
	s_delay_alu instid0(VALU_DEP_1) | instskip(SKIP_3) | instid1(SALU_CYCLE_1)
	s_xor_b32 s15, s15, -1
	v_add_nc_u32_e32 v7, 0x1000, v7
	v_add_nc_u32_e32 v5, 0x800, v5
	s_and_b32 s15, exec_lo, s15
	s_or_b32 s16, s15, s16
	s_waitcnt lgkmcnt(0)
	v_add_nc_u32_e32 v9, v2, v9
	s_and_not1_b32 exec_lo, exec_lo, s16
	s_cbranch_execz .LBB52_86
.LBB52_52:                              ; =>This Inner Loop Header: Depth=1
	ds_load_b32 v10, v5
	ds_load_2addr_b32 v[2:3], v7 offset1:1
	s_waitcnt lgkmcnt(0)
	s_barrier
	buffer_gl0_inv
	v_cmp_gt_i32_e64 s15, s33, v10
	s_delay_alu instid0(VALU_DEP_1) | instskip(NEXT) | instid1(SALU_CYCLE_1)
	s_bcnt1_i32_b32 s17, s15
	v_dual_mov_b32 v12, s17 :: v_dual_and_b32 v11, s15, v1
	s_delay_alu instid0(VALU_DEP_1)
	v_bcnt_u32_b32 v11, v11, 0
	ds_store_b32 v4, v12 offset:12288
	s_waitcnt lgkmcnt(0)
	s_barrier
	buffer_gl0_inv
	s_and_saveexec_b32 s17, s0
	s_cbranch_execnz .LBB52_69
; %bb.53:                               ;   in Loop: Header=BB52_52 Depth=1
	s_or_b32 exec_lo, exec_lo, s17
	s_and_saveexec_b32 s17, s1
	s_cbranch_execnz .LBB52_70
.LBB52_54:                              ;   in Loop: Header=BB52_52 Depth=1
	s_or_b32 exec_lo, exec_lo, s17
	s_and_saveexec_b32 s17, s2
	s_cbranch_execnz .LBB52_71
.LBB52_55:                              ;   in Loop: Header=BB52_52 Depth=1
	s_or_b32 exec_lo, exec_lo, s17
	s_and_saveexec_b32 s17, s3
	s_cbranch_execnz .LBB52_72
.LBB52_56:                              ;   in Loop: Header=BB52_52 Depth=1
	s_or_b32 exec_lo, exec_lo, s17
	s_and_saveexec_b32 s17, s4
	s_cbranch_execnz .LBB52_73
.LBB52_57:                              ;   in Loop: Header=BB52_52 Depth=1
	s_or_b32 exec_lo, exec_lo, s17
	s_and_saveexec_b32 s17, s5
	s_cbranch_execnz .LBB52_74
.LBB52_58:                              ;   in Loop: Header=BB52_52 Depth=1
	s_or_b32 exec_lo, exec_lo, s17
	s_and_saveexec_b32 s17, s6
	s_cbranch_execnz .LBB52_75
.LBB52_59:                              ;   in Loop: Header=BB52_52 Depth=1
	s_or_b32 exec_lo, exec_lo, s17
	s_and_saveexec_b32 s17, s7
	s_cbranch_execnz .LBB52_76
.LBB52_60:                              ;   in Loop: Header=BB52_52 Depth=1
	s_or_b32 exec_lo, exec_lo, s17
	s_and_saveexec_b32 s17, s8
	s_cbranch_execnz .LBB52_77
.LBB52_61:                              ;   in Loop: Header=BB52_52 Depth=1
	s_or_b32 exec_lo, exec_lo, s17
	s_and_saveexec_b32 s17, s9
	s_cbranch_execnz .LBB52_78
.LBB52_62:                              ;   in Loop: Header=BB52_52 Depth=1
	s_or_b32 exec_lo, exec_lo, s17
	s_and_saveexec_b32 s17, s10
	s_cbranch_execnz .LBB52_79
.LBB52_63:                              ;   in Loop: Header=BB52_52 Depth=1
	s_or_b32 exec_lo, exec_lo, s17
	s_and_saveexec_b32 s17, s11
	s_cbranch_execnz .LBB52_80
.LBB52_64:                              ;   in Loop: Header=BB52_52 Depth=1
	s_or_b32 exec_lo, exec_lo, s17
	s_and_saveexec_b32 s17, s12
	s_cbranch_execnz .LBB52_81
.LBB52_65:                              ;   in Loop: Header=BB52_52 Depth=1
	s_or_b32 exec_lo, exec_lo, s17
	s_and_saveexec_b32 s17, s13
	s_cbranch_execnz .LBB52_82
.LBB52_66:                              ;   in Loop: Header=BB52_52 Depth=1
	s_or_b32 exec_lo, exec_lo, s17
	s_and_saveexec_b32 s17, s14
	s_cbranch_execnz .LBB52_83
.LBB52_67:                              ;   in Loop: Header=BB52_52 Depth=1
	s_or_b32 exec_lo, exec_lo, s17
	s_and_saveexec_b32 s17, s15
	s_cbranch_execnz .LBB52_84
.LBB52_68:                              ;   in Loop: Header=BB52_52 Depth=1
	s_or_b32 exec_lo, exec_lo, s17
	s_and_saveexec_b32 s15, vcc_lo
	s_cbranch_execz .LBB52_51
	s_branch .LBB52_85
.LBB52_69:                              ;   in Loop: Header=BB52_52 Depth=1
	ds_load_b32 v12, v8 offset:12288
	s_waitcnt lgkmcnt(0)
	v_add_nc_u32_e32 v11, v12, v11
	s_or_b32 exec_lo, exec_lo, s17
	s_and_saveexec_b32 s17, s1
	s_cbranch_execz .LBB52_54
.LBB52_70:                              ;   in Loop: Header=BB52_52 Depth=1
	ds_load_b32 v12, v8 offset:12292
	s_waitcnt lgkmcnt(0)
	v_add_nc_u32_e32 v11, v12, v11
	s_or_b32 exec_lo, exec_lo, s17
	s_and_saveexec_b32 s17, s2
	s_cbranch_execz .LBB52_55
.LBB52_71:                              ;   in Loop: Header=BB52_52 Depth=1
	ds_load_b32 v12, v8 offset:12296
	s_waitcnt lgkmcnt(0)
	v_add_nc_u32_e32 v11, v12, v11
	s_or_b32 exec_lo, exec_lo, s17
	s_and_saveexec_b32 s17, s3
	s_cbranch_execz .LBB52_56
.LBB52_72:                              ;   in Loop: Header=BB52_52 Depth=1
	ds_load_b32 v12, v8 offset:12300
	s_waitcnt lgkmcnt(0)
	v_add_nc_u32_e32 v11, v12, v11
	s_or_b32 exec_lo, exec_lo, s17
	s_and_saveexec_b32 s17, s4
	s_cbranch_execz .LBB52_57
.LBB52_73:                              ;   in Loop: Header=BB52_52 Depth=1
	ds_load_b32 v12, v8 offset:12304
	s_waitcnt lgkmcnt(0)
	v_add_nc_u32_e32 v11, v12, v11
	s_or_b32 exec_lo, exec_lo, s17
	s_and_saveexec_b32 s17, s5
	s_cbranch_execz .LBB52_58
.LBB52_74:                              ;   in Loop: Header=BB52_52 Depth=1
	ds_load_b32 v12, v8 offset:12308
	s_waitcnt lgkmcnt(0)
	v_add_nc_u32_e32 v11, v12, v11
	s_or_b32 exec_lo, exec_lo, s17
	s_and_saveexec_b32 s17, s6
	s_cbranch_execz .LBB52_59
.LBB52_75:                              ;   in Loop: Header=BB52_52 Depth=1
	ds_load_b32 v12, v8 offset:12312
	s_waitcnt lgkmcnt(0)
	v_add_nc_u32_e32 v11, v12, v11
	s_or_b32 exec_lo, exec_lo, s17
	s_and_saveexec_b32 s17, s7
	s_cbranch_execz .LBB52_60
.LBB52_76:                              ;   in Loop: Header=BB52_52 Depth=1
	ds_load_b32 v12, v8 offset:12316
	s_waitcnt lgkmcnt(0)
	v_add_nc_u32_e32 v11, v12, v11
	s_or_b32 exec_lo, exec_lo, s17
	s_and_saveexec_b32 s17, s8
	s_cbranch_execz .LBB52_61
.LBB52_77:                              ;   in Loop: Header=BB52_52 Depth=1
	ds_load_b32 v12, v8 offset:12320
	s_waitcnt lgkmcnt(0)
	v_add_nc_u32_e32 v11, v12, v11
	s_or_b32 exec_lo, exec_lo, s17
	s_and_saveexec_b32 s17, s9
	s_cbranch_execz .LBB52_62
.LBB52_78:                              ;   in Loop: Header=BB52_52 Depth=1
	ds_load_b32 v12, v8 offset:12324
	s_waitcnt lgkmcnt(0)
	v_add_nc_u32_e32 v11, v12, v11
	s_or_b32 exec_lo, exec_lo, s17
	s_and_saveexec_b32 s17, s10
	s_cbranch_execz .LBB52_63
.LBB52_79:                              ;   in Loop: Header=BB52_52 Depth=1
	ds_load_b32 v12, v8 offset:12328
	s_waitcnt lgkmcnt(0)
	v_add_nc_u32_e32 v11, v12, v11
	s_or_b32 exec_lo, exec_lo, s17
	s_and_saveexec_b32 s17, s11
	s_cbranch_execz .LBB52_64
.LBB52_80:                              ;   in Loop: Header=BB52_52 Depth=1
	ds_load_b32 v12, v8 offset:12332
	s_waitcnt lgkmcnt(0)
	v_add_nc_u32_e32 v11, v12, v11
	s_or_b32 exec_lo, exec_lo, s17
	s_and_saveexec_b32 s17, s12
	s_cbranch_execz .LBB52_65
.LBB52_81:                              ;   in Loop: Header=BB52_52 Depth=1
	ds_load_b32 v12, v8 offset:12336
	s_waitcnt lgkmcnt(0)
	v_add_nc_u32_e32 v11, v12, v11
	s_or_b32 exec_lo, exec_lo, s17
	s_and_saveexec_b32 s17, s13
	s_cbranch_execz .LBB52_66
.LBB52_82:                              ;   in Loop: Header=BB52_52 Depth=1
	ds_load_b32 v12, v8 offset:12340
	s_waitcnt lgkmcnt(0)
	v_add_nc_u32_e32 v11, v12, v11
	s_or_b32 exec_lo, exec_lo, s17
	s_and_saveexec_b32 s17, s14
	s_cbranch_execz .LBB52_67
.LBB52_83:                              ;   in Loop: Header=BB52_52 Depth=1
	ds_load_b32 v12, v8 offset:12344
	s_waitcnt lgkmcnt(0)
	v_add_nc_u32_e32 v11, v12, v11
	s_or_b32 exec_lo, exec_lo, s17
	s_and_saveexec_b32 s17, s15
	s_cbranch_execz .LBB52_68
.LBB52_84:                              ;   in Loop: Header=BB52_52 Depth=1
	s_delay_alu instid0(VALU_DEP_1) | instskip(NEXT) | instid1(VALU_DEP_1)
	v_add3_u32 v12, v9, -1, v11
	v_lshlrev_b32_e32 v13, 3, v12
	v_lshl_add_u32 v12, v12, 2, 0
	s_delay_alu instid0(VALU_DEP_2)
	v_add3_u32 v13, 0, v13, 0x1000
	ds_store_b32 v12, v10
	ds_store_2addr_b32 v13, v2, v3 offset1:1
	s_or_b32 exec_lo, exec_lo, s17
	s_and_saveexec_b32 s15, vcc_lo
	s_cbranch_execz .LBB52_51
.LBB52_85:                              ;   in Loop: Header=BB52_52 Depth=1
	ds_store_b32 v8, v11 offset:12348
	s_branch .LBB52_51
.LBB52_86:
	s_or_b32 exec_lo, exec_lo, s16
	s_ashr_i32 s41, s40, 31
	s_mov_b32 s3, exec_lo
	s_lshl_b64 s[0:1], s[40:41], 2
	s_delay_alu instid0(SALU_CYCLE_1) | instskip(SKIP_4) | instid1(SALU_CYCLE_1)
	s_add_u32 s0, s20, s0
	s_addc_u32 s1, s21, s1
	s_load_b64 s[0:1], s[0:1], 0x0
	s_waitcnt lgkmcnt(0)
	s_sub_i32 s2, s1, s0
	v_cmpx_gt_i32_e64 s2, v0
	s_cbranch_execz .LBB52_96
; %bb.87:
	s_sub_i32 s3, s0, s38
	s_sub_i32 s0, s0, s1
	s_and_b32 s1, s2, 7
	s_cmp_lt_u32 s0, -7
	s_mov_b32 s7, 0
	s_cselect_b32 s4, -1, 0
	s_and_b32 s5, s2, -8
	s_cmp_lg_u32 s1, 0
	s_cselect_b32 s6, -1, 0
	s_branch .LBB52_89
.LBB52_88:                              ;   in Loop: Header=BB52_89 Depth=1
	s_delay_alu instid0(VALU_DEP_1) | instskip(SKIP_3) | instid1(VALU_DEP_3)
	v_ashrrev_i32_e32 v4, 31, v3
	v_add_nc_u32_e32 v0, 0x200, v0
	s_waitcnt lgkmcnt(1)
	v_add_nc_u32_e32 v8, s38, v5
	v_lshlrev_b64 v[6:7], 2, v[3:4]
	v_lshlrev_b64 v[3:4], 3, v[3:4]
	v_cmp_le_i32_e32 vcc_lo, s2, v0
	s_delay_alu instid0(VALU_DEP_3) | instskip(NEXT) | instid1(VALU_DEP_1)
	v_add_co_u32 v5, s0, s22, v6
	v_add_co_ci_u32_e64 v6, s0, s23, v7, s0
	s_delay_alu instid0(VALU_DEP_4) | instskip(NEXT) | instid1(VALU_DEP_1)
	v_add_co_u32 v3, s0, s34, v3
	v_add_co_ci_u32_e64 v4, s0, s35, v4, s0
	s_or_b32 s7, vcc_lo, s7
	global_store_b32 v[5:6], v8, off
	s_waitcnt lgkmcnt(0)
	global_store_b64 v[3:4], v[1:2], off
	s_and_not1_b32 exec_lo, exec_lo, s7
	s_cbranch_execz .LBB52_96
.LBB52_89:                              ; =>This Loop Header: Depth=1
                                        ;     Child Loop BB52_91 Depth 2
                                        ;     Child Loop BB52_95 Depth 2
	v_lshlrev_b32_e32 v1, 2, v0
	s_and_not1_b32 vcc_lo, exec_lo, s4
	s_mov_b32 s0, 0
	s_delay_alu instid0(VALU_DEP_1) | instskip(NEXT) | instid1(VALU_DEP_1)
	v_dual_mov_b32 v3, s3 :: v_dual_add_nc_u32 v2, 0, v1
	v_add3_u32 v1, v2, v1, 0x1000
	ds_load_b32 v5, v2
	ds_load_2addr_b32 v[1:2], v1 offset1:1
	s_cbranch_vccnz .LBB52_93
; %bb.90:                               ;   in Loop: Header=BB52_89 Depth=1
	v_mov_b32_e32 v3, s3
	s_mov_b32 s8, 0
	s_set_inst_prefetch_distance 0x1
	.p2align	6
.LBB52_91:                              ;   Parent Loop BB52_89 Depth=1
                                        ; =>  This Inner Loop Header: Depth=2
	v_mov_b32_e32 v4, s8
	s_add_i32 s0, s0, 8
	s_add_i32 s8, s8, 32
	s_cmp_eq_u32 s5, s0
	ds_load_2addr_b32 v[6:7], v4 offset1:1
	ds_load_2addr_b32 v[8:9], v4 offset0:2 offset1:3
	ds_load_2addr_b32 v[10:11], v4 offset0:4 offset1:5
	;; [unrolled: 1-line block ×3, first 2 shown]
	s_waitcnt lgkmcnt(3)
	v_cmp_gt_i32_e32 vcc_lo, v5, v6
	v_cndmask_b32_e64 v4, 0, 1, vcc_lo
	s_waitcnt lgkmcnt(2)
	v_cmp_gt_i32_e32 vcc_lo, v5, v8
	v_cndmask_b32_e64 v6, 0, 1, vcc_lo
	v_cmp_gt_i32_e32 vcc_lo, v5, v7
	v_add_co_ci_u32_e32 v3, vcc_lo, v3, v4, vcc_lo
	s_waitcnt lgkmcnt(1)
	v_cmp_gt_i32_e32 vcc_lo, v5, v10
	v_cndmask_b32_e64 v4, 0, 1, vcc_lo
	v_cmp_gt_i32_e32 vcc_lo, v5, v9
	v_add_co_ci_u32_e32 v3, vcc_lo, v3, v6, vcc_lo
	s_waitcnt lgkmcnt(0)
	v_cmp_gt_i32_e32 vcc_lo, v5, v12
	v_cndmask_b32_e64 v6, 0, 1, vcc_lo
	v_cmp_gt_i32_e32 vcc_lo, v5, v11
	v_add_co_ci_u32_e32 v3, vcc_lo, v3, v4, vcc_lo
	v_cmp_gt_i32_e32 vcc_lo, v5, v13
	s_delay_alu instid0(VALU_DEP_2)
	v_add_co_ci_u32_e32 v3, vcc_lo, v3, v6, vcc_lo
	s_cbranch_scc0 .LBB52_91
; %bb.92:                               ;   in Loop: Header=BB52_89 Depth=1
	s_set_inst_prefetch_distance 0x2
	s_mov_b32 s0, s5
.LBB52_93:                              ;   in Loop: Header=BB52_89 Depth=1
	s_and_not1_b32 vcc_lo, exec_lo, s6
	s_cbranch_vccnz .LBB52_88
; %bb.94:                               ;   in Loop: Header=BB52_89 Depth=1
	s_lshl_b32 s0, s0, 2
	s_mov_b32 s8, s1
	s_add_i32 s0, s0, 0
.LBB52_95:                              ;   Parent Loop BB52_89 Depth=1
                                        ; =>  This Inner Loop Header: Depth=2
	s_delay_alu instid0(SALU_CYCLE_1)
	v_mov_b32_e32 v4, s0
	s_add_i32 s8, s8, -1
	s_add_i32 s0, s0, 4
	s_cmp_lg_u32 s8, 0
	ds_load_b32 v4, v4
	s_waitcnt lgkmcnt(0)
	v_cmp_gt_i32_e32 vcc_lo, v5, v4
	v_add_co_ci_u32_e32 v3, vcc_lo, 0, v3, vcc_lo
	s_cbranch_scc1 .LBB52_95
	s_branch .LBB52_88
.LBB52_96:
	s_nop 0
	s_sendmsg sendmsg(MSG_DEALLOC_VGPRS)
	s_endpgm
	.section	.rodata,"a",@progbits
	.p2align	6, 0x0
	.amdhsa_kernel _ZN9rocsparseL26csrgemm_fill_block_per_rowILj512ELj32ELj1024ELj137ELj32Eii21rocsparse_complex_numIfEEEvT5_PKS3_S5_NS_24const_host_device_scalarIT6_EEPKT4_S5_PKS7_SB_S5_SD_S8_SB_S5_SD_SB_PS3_PS7_21rocsparse_index_base_SG_SG_SG_bbb
		.amdhsa_group_segment_fixed_size 0
		.amdhsa_private_segment_fixed_size 0
		.amdhsa_kernarg_size 156
		.amdhsa_user_sgpr_count 15
		.amdhsa_user_sgpr_dispatch_ptr 0
		.amdhsa_user_sgpr_queue_ptr 0
		.amdhsa_user_sgpr_kernarg_segment_ptr 1
		.amdhsa_user_sgpr_dispatch_id 0
		.amdhsa_user_sgpr_private_segment_size 0
		.amdhsa_wavefront_size32 1
		.amdhsa_uses_dynamic_stack 0
		.amdhsa_enable_private_segment 0
		.amdhsa_system_sgpr_workgroup_id_x 1
		.amdhsa_system_sgpr_workgroup_id_y 0
		.amdhsa_system_sgpr_workgroup_id_z 0
		.amdhsa_system_sgpr_workgroup_info 0
		.amdhsa_system_vgpr_workitem_id 0
		.amdhsa_next_free_vgpr 17
		.amdhsa_next_free_sgpr 45
		.amdhsa_reserve_vcc 1
		.amdhsa_float_round_mode_32 0
		.amdhsa_float_round_mode_16_64 0
		.amdhsa_float_denorm_mode_32 3
		.amdhsa_float_denorm_mode_16_64 3
		.amdhsa_dx10_clamp 1
		.amdhsa_ieee_mode 1
		.amdhsa_fp16_overflow 0
		.amdhsa_workgroup_processor_mode 1
		.amdhsa_memory_ordered 1
		.amdhsa_forward_progress 0
		.amdhsa_shared_vgpr_count 0
		.amdhsa_exception_fp_ieee_invalid_op 0
		.amdhsa_exception_fp_denorm_src 0
		.amdhsa_exception_fp_ieee_div_zero 0
		.amdhsa_exception_fp_ieee_overflow 0
		.amdhsa_exception_fp_ieee_underflow 0
		.amdhsa_exception_fp_ieee_inexact 0
		.amdhsa_exception_int_div_zero 0
	.end_amdhsa_kernel
	.section	.text._ZN9rocsparseL26csrgemm_fill_block_per_rowILj512ELj32ELj1024ELj137ELj32Eii21rocsparse_complex_numIfEEEvT5_PKS3_S5_NS_24const_host_device_scalarIT6_EEPKT4_S5_PKS7_SB_S5_SD_S8_SB_S5_SD_SB_PS3_PS7_21rocsparse_index_base_SG_SG_SG_bbb,"axG",@progbits,_ZN9rocsparseL26csrgemm_fill_block_per_rowILj512ELj32ELj1024ELj137ELj32Eii21rocsparse_complex_numIfEEEvT5_PKS3_S5_NS_24const_host_device_scalarIT6_EEPKT4_S5_PKS7_SB_S5_SD_S8_SB_S5_SD_SB_PS3_PS7_21rocsparse_index_base_SG_SG_SG_bbb,comdat
.Lfunc_end52:
	.size	_ZN9rocsparseL26csrgemm_fill_block_per_rowILj512ELj32ELj1024ELj137ELj32Eii21rocsparse_complex_numIfEEEvT5_PKS3_S5_NS_24const_host_device_scalarIT6_EEPKT4_S5_PKS7_SB_S5_SD_S8_SB_S5_SD_SB_PS3_PS7_21rocsparse_index_base_SG_SG_SG_bbb, .Lfunc_end52-_ZN9rocsparseL26csrgemm_fill_block_per_rowILj512ELj32ELj1024ELj137ELj32Eii21rocsparse_complex_numIfEEEvT5_PKS3_S5_NS_24const_host_device_scalarIT6_EEPKT4_S5_PKS7_SB_S5_SD_S8_SB_S5_SD_SB_PS3_PS7_21rocsparse_index_base_SG_SG_SG_bbb
                                        ; -- End function
	.section	.AMDGPU.csdata,"",@progbits
; Kernel info:
; codeLenInByte = 3348
; NumSgprs: 47
; NumVgprs: 17
; ScratchSize: 0
; MemoryBound: 0
; FloatMode: 240
; IeeeMode: 1
; LDSByteSize: 0 bytes/workgroup (compile time only)
; SGPRBlocks: 5
; VGPRBlocks: 2
; NumSGPRsForWavesPerEU: 47
; NumVGPRsForWavesPerEU: 17
; Occupancy: 16
; WaveLimiterHint : 1
; COMPUTE_PGM_RSRC2:SCRATCH_EN: 0
; COMPUTE_PGM_RSRC2:USER_SGPR: 15
; COMPUTE_PGM_RSRC2:TRAP_HANDLER: 0
; COMPUTE_PGM_RSRC2:TGID_X_EN: 1
; COMPUTE_PGM_RSRC2:TGID_Y_EN: 0
; COMPUTE_PGM_RSRC2:TGID_Z_EN: 0
; COMPUTE_PGM_RSRC2:TIDIG_COMP_CNT: 0
	.section	.text._ZN9rocsparseL26csrgemm_fill_block_per_rowILj512ELj32ELj1024ELj137ELj64Eii21rocsparse_complex_numIfEEEvT5_PKS3_S5_NS_24const_host_device_scalarIT6_EEPKT4_S5_PKS7_SB_S5_SD_S8_SB_S5_SD_SB_PS3_PS7_21rocsparse_index_base_SG_SG_SG_bbb,"axG",@progbits,_ZN9rocsparseL26csrgemm_fill_block_per_rowILj512ELj32ELj1024ELj137ELj64Eii21rocsparse_complex_numIfEEEvT5_PKS3_S5_NS_24const_host_device_scalarIT6_EEPKT4_S5_PKS7_SB_S5_SD_S8_SB_S5_SD_SB_PS3_PS7_21rocsparse_index_base_SG_SG_SG_bbb,comdat
	.globl	_ZN9rocsparseL26csrgemm_fill_block_per_rowILj512ELj32ELj1024ELj137ELj64Eii21rocsparse_complex_numIfEEEvT5_PKS3_S5_NS_24const_host_device_scalarIT6_EEPKT4_S5_PKS7_SB_S5_SD_S8_SB_S5_SD_SB_PS3_PS7_21rocsparse_index_base_SG_SG_SG_bbb ; -- Begin function _ZN9rocsparseL26csrgemm_fill_block_per_rowILj512ELj32ELj1024ELj137ELj64Eii21rocsparse_complex_numIfEEEvT5_PKS3_S5_NS_24const_host_device_scalarIT6_EEPKT4_S5_PKS7_SB_S5_SD_S8_SB_S5_SD_SB_PS3_PS7_21rocsparse_index_base_SG_SG_SG_bbb
	.p2align	8
	.type	_ZN9rocsparseL26csrgemm_fill_block_per_rowILj512ELj32ELj1024ELj137ELj64Eii21rocsparse_complex_numIfEEEvT5_PKS3_S5_NS_24const_host_device_scalarIT6_EEPKT4_S5_PKS7_SB_S5_SD_S8_SB_S5_SD_SB_PS3_PS7_21rocsparse_index_base_SG_SG_SG_bbb,@function
_ZN9rocsparseL26csrgemm_fill_block_per_rowILj512ELj32ELj1024ELj137ELj64Eii21rocsparse_complex_numIfEEEvT5_PKS3_S5_NS_24const_host_device_scalarIT6_EEPKT4_S5_PKS7_SB_S5_SD_S8_SB_S5_SD_SB_PS3_PS7_21rocsparse_index_base_SG_SG_SG_bbb: ; @_ZN9rocsparseL26csrgemm_fill_block_per_rowILj512ELj32ELj1024ELj137ELj64Eii21rocsparse_complex_numIfEEEvT5_PKS3_S5_NS_24const_host_device_scalarIT6_EEPKT4_S5_PKS7_SB_S5_SD_S8_SB_S5_SD_SB_PS3_PS7_21rocsparse_index_base_SG_SG_SG_bbb
; %bb.0:
	s_clause 0x6
	s_load_b32 s14, s[0:1], 0x98
	s_load_b256 s[4:11], s[0:1], 0x60
	s_load_b256 s[16:23], s[0:1], 0x40
	s_load_b128 s[40:43], s[0:1], 0x8
	s_load_b256 s[24:31], s[0:1], 0x20
	s_load_b64 s[12:13], s[0:1], 0x80
	s_load_b128 s[36:39], s[0:1], 0x88
	s_mov_b32 s3, 0
	s_mov_b32 s34, 0
	s_waitcnt lgkmcnt(0)
	s_bitcmp1_b32 s14, 0
	s_cselect_b32 s44, -1, 0
	s_bitcmp1_b32 s14, 16
	s_cselect_b32 s2, -1, 0
	s_delay_alu instid0(SALU_CYCLE_1) | instskip(SKIP_2) | instid1(VALU_DEP_1)
	s_xor_b32 s33, s2, -1
	s_bitcmp0_b32 s14, 0
	v_cndmask_b32_e64 v1, 0, 1, s33
	v_cmp_ne_u32_e32 vcc_lo, 1, v1
	s_cbranch_scc1 .LBB53_5
; %bb.1:
	s_load_b64 s[2:3], s[0:1], 0x18
	s_and_b32 vcc_lo, exec_lo, vcc_lo
	s_waitcnt lgkmcnt(0)
	s_mov_b32 s34, s2
	s_cbranch_vccnz .LBB53_3
; %bb.2:
	s_load_b32 s34, s[2:3], 0x0
.LBB53_3:
	s_and_not1_b32 vcc_lo, exec_lo, s33
	s_cbranch_vccnz .LBB53_5
; %bb.4:
	s_load_b32 s3, s[2:3], 0x4
.LBB53_5:
	s_bitcmp1_b32 s14, 8
	s_mov_b32 s33, 0
	s_cselect_b32 s35, -1, 0
	s_bfe_u32 s2, s14, 0x10008
	s_delay_alu instid0(SALU_CYCLE_1)
	s_cmp_eq_u32 s2, 0
	s_mov_b32 s2, 0
	s_cbranch_scc1 .LBB53_11
; %bb.6:
	v_cmp_ne_u32_e32 vcc_lo, 1, v1
	s_mov_b32 s2, s20
	s_cbranch_vccnz .LBB53_8
; %bb.7:
	s_load_b32 s2, s[20:21], 0x0
.LBB53_8:
	v_cmp_ne_u32_e32 vcc_lo, 1, v1
	s_cbranch_vccnz .LBB53_10
; %bb.9:
	s_load_b32 s21, s[20:21], 0x4
.LBB53_10:
	s_waitcnt lgkmcnt(0)
	s_mov_b32 s33, s21
.LBB53_11:
	s_load_b32 s20, s[0:1], 0x0
	v_lshl_add_u32 v5, v0, 2, 0
	v_lshlrev_b32_e32 v1, 3, v0
	v_or_b32_e32 v6, 0xfffffe00, v0
	s_mov_b32 s0, 0
	s_delay_alu instid0(VALU_DEP_3) | instskip(NEXT) | instid1(VALU_DEP_3)
	v_mov_b32_e32 v2, v5
	v_add3_u32 v7, v1, 0, 0x1000
	v_mov_b32_e32 v1, 0
	s_delay_alu instid0(VALU_DEP_2)
	v_dual_mov_b32 v3, v6 :: v_dual_mov_b32 v8, v7
	s_waitcnt lgkmcnt(0)
	v_mov_b32_e32 v4, s20
.LBB53_12:                              ; =>This Inner Loop Header: Depth=1
	s_delay_alu instid0(VALU_DEP_2) | instskip(NEXT) | instid1(VALU_DEP_1)
	v_add_co_u32 v3, s1, 0x200, v3
	s_xor_b32 s1, s1, -1
	ds_store_b32 v2, v4
	ds_store_2addr_b32 v8, v1, v1 offset1:1
	v_add_nc_u32_e32 v8, 0x1000, v8
	v_add_nc_u32_e32 v2, 0x800, v2
	s_and_b32 s1, exec_lo, s1
	s_delay_alu instid0(SALU_CYCLE_1) | instskip(NEXT) | instid1(SALU_CYCLE_1)
	s_or_b32 s0, s1, s0
	s_and_not1_b32 exec_lo, exec_lo, s0
	s_cbranch_execnz .LBB53_12
; %bb.13:
	s_or_b32 exec_lo, exec_lo, s0
	s_waitcnt lgkmcnt(0)
	s_barrier
	buffer_gl0_inv
	s_load_b32 s0, s[40:41], 0x0
	s_mov_b32 s1, 0
	s_waitcnt lgkmcnt(0)
	s_add_i32 s0, s0, s15
	s_delay_alu instid0(SALU_CYCLE_1) | instskip(NEXT) | instid1(SALU_CYCLE_1)
	s_lshl_b64 s[0:1], s[0:1], 2
	s_add_u32 s0, s42, s0
	s_addc_u32 s1, s43, s1
	s_and_b32 vcc_lo, exec_lo, s44
	s_load_b32 s14, s[0:1], 0x0
	s_cbranch_vccz .LBB53_33
; %bb.14:
	s_waitcnt lgkmcnt(0)
	s_ashr_i32 s15, s14, 31
	v_lshrrev_b32_e32 v1, 5, v0
	s_lshl_b64 s[0:1], s[14:15], 2
	s_delay_alu instid0(SALU_CYCLE_1) | instskip(SKIP_1) | instid1(VALU_DEP_1)
	s_add_u32 s0, s24, s0
	s_addc_u32 s1, s25, s1
	v_subrev_nc_u32_e32 v1, s36, v1
	s_load_b64 s[0:1], s[0:1], 0x0
	s_waitcnt lgkmcnt(0)
	s_delay_alu instid0(VALU_DEP_1) | instskip(SKIP_2) | instid1(VALU_DEP_1)
	v_add_nc_u32_e32 v1, s0, v1
	s_sub_i32 s0, s1, s36
	s_mov_b32 s1, exec_lo
	v_cmpx_gt_i32_e64 s0, v1
	s_cbranch_execz .LBB53_32
; %bb.15:
	v_and_b32_e32 v2, 31, v0
	s_mov_b32 s15, 0
	s_delay_alu instid0(VALU_DEP_1)
	v_subrev_nc_u32_e32 v8, s37, v2
	s_branch .LBB53_17
.LBB53_16:                              ;   in Loop: Header=BB53_17 Depth=1
	s_or_b32 exec_lo, exec_lo, s21
	v_add_nc_u32_e32 v1, 16, v1
	s_delay_alu instid0(VALU_DEP_1) | instskip(SKIP_1) | instid1(SALU_CYCLE_1)
	v_cmp_le_i32_e32 vcc_lo, s0, v1
	s_or_b32 s15, vcc_lo, s15
	s_and_not1_b32 exec_lo, exec_lo, s15
	s_cbranch_execz .LBB53_32
.LBB53_17:                              ; =>This Loop Header: Depth=1
                                        ;     Child Loop BB53_20 Depth 2
                                        ;       Child Loop BB53_22 Depth 3
	v_ashrrev_i32_e32 v2, 31, v1
	s_mov_b32 s21, exec_lo
	s_delay_alu instid0(VALU_DEP_1) | instskip(NEXT) | instid1(VALU_DEP_1)
	v_lshlrev_b64 v[3:4], 2, v[1:2]
	v_add_co_u32 v3, vcc_lo, s26, v3
	s_delay_alu instid0(VALU_DEP_2) | instskip(SKIP_3) | instid1(VALU_DEP_1)
	v_add_co_ci_u32_e32 v4, vcc_lo, s27, v4, vcc_lo
	global_load_b32 v3, v[3:4], off
	s_waitcnt vmcnt(0)
	v_subrev_nc_u32_e32 v3, s36, v3
	v_ashrrev_i32_e32 v4, 31, v3
	s_delay_alu instid0(VALU_DEP_1) | instskip(NEXT) | instid1(VALU_DEP_1)
	v_lshlrev_b64 v[3:4], 2, v[3:4]
	v_add_co_u32 v3, vcc_lo, s30, v3
	s_delay_alu instid0(VALU_DEP_2) | instskip(SKIP_4) | instid1(VALU_DEP_1)
	v_add_co_ci_u32_e32 v4, vcc_lo, s31, v4, vcc_lo
	global_load_b64 v[3:4], v[3:4], off
	s_waitcnt vmcnt(0)
	v_subrev_nc_u32_e32 v9, s37, v4
	v_add_nc_u32_e32 v3, v3, v8
	v_cmpx_lt_i32_e64 v3, v9
	s_cbranch_execz .LBB53_16
; %bb.18:                               ;   in Loop: Header=BB53_17 Depth=1
	v_lshlrev_b64 v[10:11], 3, v[1:2]
	s_mov_b32 s24, 0
	s_delay_alu instid0(VALU_DEP_1) | instskip(NEXT) | instid1(VALU_DEP_2)
	v_add_co_u32 v10, vcc_lo, s28, v10
	v_add_co_ci_u32_e32 v11, vcc_lo, s29, v11, vcc_lo
	global_load_b64 v[11:12], v[10:11], off
	s_waitcnt vmcnt(0)
	v_mul_f32_e64 v2, v12, -s3
	v_mul_f32_e32 v10, s34, v12
	s_delay_alu instid0(VALU_DEP_2) | instskip(NEXT) | instid1(VALU_DEP_2)
	v_fmac_f32_e32 v2, s34, v11
	v_fmac_f32_e32 v10, s3, v11
	s_branch .LBB53_20
.LBB53_19:                              ;   in Loop: Header=BB53_20 Depth=2
	s_or_b32 exec_lo, exec_lo, s25
	v_add_nc_u32_e32 v3, 32, v3
	s_delay_alu instid0(VALU_DEP_1) | instskip(SKIP_1) | instid1(SALU_CYCLE_1)
	v_cmp_ge_i32_e32 vcc_lo, v3, v9
	s_or_b32 s24, vcc_lo, s24
	s_and_not1_b32 exec_lo, exec_lo, s24
	s_cbranch_execz .LBB53_16
.LBB53_20:                              ;   Parent Loop BB53_17 Depth=1
                                        ; =>  This Loop Header: Depth=2
                                        ;       Child Loop BB53_22 Depth 3
	v_ashrrev_i32_e32 v4, 31, v3
	s_mov_b32 s25, 0
	s_delay_alu instid0(VALU_DEP_1) | instskip(SKIP_1) | instid1(VALU_DEP_2)
	v_lshlrev_b64 v[11:12], 2, v[3:4]
	v_lshlrev_b64 v[13:14], 3, v[3:4]
	v_add_co_u32 v11, vcc_lo, s16, v11
	s_delay_alu instid0(VALU_DEP_3)
	v_add_co_ci_u32_e32 v12, vcc_lo, s17, v12, vcc_lo
	global_load_b32 v4, v[11:12], off
	v_add_co_u32 v11, vcc_lo, s18, v13
	v_add_co_ci_u32_e32 v12, vcc_lo, s19, v14, vcc_lo
	global_load_b64 v[13:14], v[11:12], off
	s_waitcnt vmcnt(1)
	v_subrev_nc_u32_e32 v4, s37, v4
	s_delay_alu instid0(VALU_DEP_1) | instskip(SKIP_3) | instid1(VALU_DEP_2)
	v_mul_lo_u32 v15, 0x89, v4
	s_waitcnt vmcnt(0)
	v_mul_f32_e64 v11, v14, -v10
	v_mul_f32_e32 v12, v2, v14
	v_fmac_f32_e32 v11, v2, v13
	s_delay_alu instid0(VALU_DEP_2)
	v_dual_fmac_f32 v12, v10, v13 :: v_dual_and_b32 v13, 0x3ff, v15
	s_branch .LBB53_22
.LBB53_21:                              ;   in Loop: Header=BB53_22 Depth=3
	s_or_b32 exec_lo, exec_lo, s40
	s_xor_b32 s40, s41, -1
	s_delay_alu instid0(SALU_CYCLE_1) | instskip(NEXT) | instid1(SALU_CYCLE_1)
	s_and_b32 s40, exec_lo, s40
	s_or_b32 s25, s40, s25
	s_delay_alu instid0(SALU_CYCLE_1)
	s_and_not1_b32 exec_lo, exec_lo, s25
	s_cbranch_execz .LBB53_19
.LBB53_22:                              ;   Parent Loop BB53_17 Depth=1
                                        ;     Parent Loop BB53_20 Depth=2
                                        ; =>    This Inner Loop Header: Depth=3
	s_delay_alu instid0(VALU_DEP_1)
	v_lshl_add_u32 v14, v13, 2, 0
	s_mov_b32 s40, exec_lo
                                        ; implicit-def: $sgpr41
	ds_load_b32 v15, v14
	s_waitcnt lgkmcnt(0)
	v_cmpx_ne_u32_e64 v15, v4
	s_xor_b32 s40, exec_lo, s40
	s_cbranch_execz .LBB53_30
; %bb.23:                               ;   in Loop: Header=BB53_22 Depth=3
	s_mov_b32 s42, exec_lo
                                        ; implicit-def: $sgpr41
	v_cmpx_ne_u32_e64 s20, v15
	s_xor_b32 s42, exec_lo, s42
; %bb.24:                               ;   in Loop: Header=BB53_22 Depth=3
	v_add_nc_u32_e32 v13, 1, v13
	s_mov_b32 s41, -1
                                        ; implicit-def: $vgpr14
	s_delay_alu instid0(VALU_DEP_1)
	v_and_b32_e32 v13, 0x3ff, v13
; %bb.25:                               ;   in Loop: Header=BB53_22 Depth=3
	s_and_not1_saveexec_b32 s42, s42
	s_cbranch_execz .LBB53_29
; %bb.26:                               ;   in Loop: Header=BB53_22 Depth=3
	v_mov_b32_e32 v15, s20
	s_mov_b32 s43, -1
	s_mov_b32 s44, exec_lo
	ds_cmpstore_rtn_b32 v15, v14, v4, v15
	s_waitcnt lgkmcnt(0)
	v_cmpx_eq_u32_e64 s20, v15
	s_cbranch_execz .LBB53_28
; %bb.27:                               ;   in Loop: Header=BB53_22 Depth=3
	v_lshl_add_u32 v14, v13, 2, v14
	s_xor_b32 s43, exec_lo, -1
	ds_add_f32 v14, v11 offset:4096
	ds_add_f32 v14, v12 offset:4100
.LBB53_28:                              ;   in Loop: Header=BB53_22 Depth=3
	s_or_b32 exec_lo, exec_lo, s44
	s_delay_alu instid0(SALU_CYCLE_1) | instskip(SKIP_1) | instid1(SALU_CYCLE_1)
	s_and_not1_b32 s41, s41, exec_lo
	s_and_b32 s43, s43, exec_lo
	s_or_b32 s41, s41, s43
.LBB53_29:                              ;   in Loop: Header=BB53_22 Depth=3
	s_or_b32 exec_lo, exec_lo, s42
	s_delay_alu instid0(SALU_CYCLE_1)
	s_and_b32 s41, s41, exec_lo
                                        ; implicit-def: $vgpr14
.LBB53_30:                              ;   in Loop: Header=BB53_22 Depth=3
	s_and_not1_saveexec_b32 s40, s40
	s_cbranch_execz .LBB53_21
; %bb.31:                               ;   in Loop: Header=BB53_22 Depth=3
	v_lshl_add_u32 v14, v13, 2, v14
	s_and_not1_b32 s41, s41, exec_lo
	ds_add_f32 v14, v11 offset:4096
	ds_add_f32 v14, v12 offset:4100
	s_branch .LBB53_21
.LBB53_32:
	s_or_b32 exec_lo, exec_lo, s1
.LBB53_33:
	s_delay_alu instid0(SALU_CYCLE_1)
	s_and_not1_b32 vcc_lo, exec_lo, s35
	s_cbranch_vccnz .LBB53_50
; %bb.34:
	s_waitcnt lgkmcnt(0)
	s_ashr_i32 s15, s14, 31
	v_subrev_nc_u32_e32 v1, s39, v0
	s_lshl_b64 s[0:1], s[14:15], 2
	s_delay_alu instid0(SALU_CYCLE_1)
	s_add_u32 s0, s22, s0
	s_addc_u32 s1, s23, s1
	s_load_b64 s[0:1], s[0:1], 0x0
	s_waitcnt lgkmcnt(0)
	v_add_nc_u32_e32 v1, s0, v1
	s_sub_i32 s0, s1, s39
	s_mov_b32 s1, exec_lo
	s_delay_alu instid0(VALU_DEP_1)
	v_cmpx_gt_i32_e64 s0, v1
	s_cbranch_execz .LBB53_49
; %bb.35:
	s_mov_b32 s3, 0
	s_branch .LBB53_37
.LBB53_36:                              ;   in Loop: Header=BB53_37 Depth=1
	s_or_b32 exec_lo, exec_lo, s15
	v_add_nc_u32_e32 v1, 0x200, v1
	s_delay_alu instid0(VALU_DEP_1) | instskip(SKIP_1) | instid1(SALU_CYCLE_1)
	v_cmp_le_i32_e32 vcc_lo, s0, v1
	s_or_b32 s3, vcc_lo, s3
	s_and_not1_b32 exec_lo, exec_lo, s3
	s_cbranch_execz .LBB53_49
.LBB53_37:                              ; =>This Loop Header: Depth=1
                                        ;     Child Loop BB53_39 Depth 2
	v_ashrrev_i32_e32 v2, 31, v1
	s_mov_b32 s15, 0
	s_delay_alu instid0(VALU_DEP_1) | instskip(SKIP_1) | instid1(VALU_DEP_2)
	v_lshlrev_b64 v[3:4], 2, v[1:2]
	v_lshlrev_b64 v[8:9], 3, v[1:2]
	v_add_co_u32 v3, vcc_lo, s4, v3
	s_delay_alu instid0(VALU_DEP_3) | instskip(NEXT) | instid1(VALU_DEP_3)
	v_add_co_ci_u32_e32 v4, vcc_lo, s5, v4, vcc_lo
	v_add_co_u32 v2, vcc_lo, s6, v8
	global_load_b32 v4, v[3:4], off
	v_add_co_ci_u32_e32 v3, vcc_lo, s7, v9, vcc_lo
	global_load_b64 v[8:9], v[2:3], off
	s_waitcnt vmcnt(1)
	v_subrev_nc_u32_e32 v2, s39, v4
	s_delay_alu instid0(VALU_DEP_1) | instskip(SKIP_2) | instid1(VALU_DEP_1)
	v_mul_lo_u32 v10, 0x89, v2
	s_waitcnt vmcnt(0)
	v_mul_f32_e64 v3, v9, -s33
	v_dual_mul_f32 v4, s2, v9 :: v_dual_fmac_f32 v3, s2, v8
	s_delay_alu instid0(VALU_DEP_1) | instskip(NEXT) | instid1(VALU_DEP_4)
	v_fmac_f32_e32 v4, s33, v8
	v_and_b32_e32 v8, 0x3ff, v10
	s_branch .LBB53_39
.LBB53_38:                              ;   in Loop: Header=BB53_39 Depth=2
	s_or_b32 exec_lo, exec_lo, s16
	s_xor_b32 s16, s17, -1
	s_delay_alu instid0(SALU_CYCLE_1) | instskip(NEXT) | instid1(SALU_CYCLE_1)
	s_and_b32 s16, exec_lo, s16
	s_or_b32 s15, s16, s15
	s_delay_alu instid0(SALU_CYCLE_1)
	s_and_not1_b32 exec_lo, exec_lo, s15
	s_cbranch_execz .LBB53_36
.LBB53_39:                              ;   Parent Loop BB53_37 Depth=1
                                        ; =>  This Inner Loop Header: Depth=2
	s_delay_alu instid0(VALU_DEP_1)
	v_lshl_add_u32 v9, v8, 2, 0
	s_mov_b32 s16, exec_lo
                                        ; implicit-def: $sgpr17
	ds_load_b32 v10, v9
	s_waitcnt lgkmcnt(0)
	v_cmpx_ne_u32_e64 v10, v2
	s_xor_b32 s16, exec_lo, s16
	s_cbranch_execz .LBB53_47
; %bb.40:                               ;   in Loop: Header=BB53_39 Depth=2
	s_mov_b32 s18, exec_lo
                                        ; implicit-def: $sgpr17
	v_cmpx_ne_u32_e64 s20, v10
	s_xor_b32 s18, exec_lo, s18
; %bb.41:                               ;   in Loop: Header=BB53_39 Depth=2
	v_add_nc_u32_e32 v8, 1, v8
	s_mov_b32 s17, -1
                                        ; implicit-def: $vgpr9
	s_delay_alu instid0(VALU_DEP_1)
	v_and_b32_e32 v8, 0x3ff, v8
; %bb.42:                               ;   in Loop: Header=BB53_39 Depth=2
	s_and_not1_saveexec_b32 s18, s18
	s_cbranch_execz .LBB53_46
; %bb.43:                               ;   in Loop: Header=BB53_39 Depth=2
	v_mov_b32_e32 v10, s20
	s_mov_b32 s19, -1
	s_mov_b32 s21, exec_lo
	ds_cmpstore_rtn_b32 v10, v9, v2, v10
	s_waitcnt lgkmcnt(0)
	v_cmpx_eq_u32_e64 s20, v10
	s_cbranch_execz .LBB53_45
; %bb.44:                               ;   in Loop: Header=BB53_39 Depth=2
	v_lshl_add_u32 v9, v8, 2, v9
	s_xor_b32 s19, exec_lo, -1
	ds_add_f32 v9, v3 offset:4096
	ds_add_f32 v9, v4 offset:4100
.LBB53_45:                              ;   in Loop: Header=BB53_39 Depth=2
	s_or_b32 exec_lo, exec_lo, s21
	s_delay_alu instid0(SALU_CYCLE_1) | instskip(SKIP_1) | instid1(SALU_CYCLE_1)
	s_and_not1_b32 s17, s17, exec_lo
	s_and_b32 s19, s19, exec_lo
	s_or_b32 s17, s17, s19
.LBB53_46:                              ;   in Loop: Header=BB53_39 Depth=2
	s_or_b32 exec_lo, exec_lo, s18
	s_delay_alu instid0(SALU_CYCLE_1)
	s_and_b32 s17, s17, exec_lo
                                        ; implicit-def: $vgpr9
.LBB53_47:                              ;   in Loop: Header=BB53_39 Depth=2
	s_and_not1_saveexec_b32 s16, s16
	s_cbranch_execz .LBB53_38
; %bb.48:                               ;   in Loop: Header=BB53_39 Depth=2
	v_lshl_add_u32 v9, v8, 2, v9
	s_and_not1_b32 s17, s17, exec_lo
	ds_add_f32 v9, v3 offset:4096
	ds_add_f32 v9, v4 offset:4100
	s_branch .LBB53_38
.LBB53_49:
	s_or_b32 exec_lo, exec_lo, s1
.LBB53_50:
	v_mbcnt_lo_u32_b32 v1, -1, 0
	v_lshrrev_b32_e32 v2, 4, v0
	v_cmp_eq_u32_e32 vcc_lo, 0x1ff, v0
	v_cmp_lt_u32_e64 s0, 63, v0
	v_cmp_lt_u32_e64 s1, 0x7f, v0
	v_xor_b32_e32 v1, 63, v1
	v_dual_mov_b32 v8, 0 :: v_dual_and_b32 v3, 28, v2
	v_cmp_lt_u32_e64 s2, 0xbf, v0
	v_cmp_lt_u32_e64 s3, 0xff, v0
	s_delay_alu instid0(VALU_DEP_4) | instskip(NEXT) | instid1(VALU_DEP_4)
	v_lshrrev_b64 v[1:2], v1, -1
	v_dual_mov_b32 v9, 0 :: v_dual_add_nc_u32 v4, 0, v3
	v_cmp_lt_u32_e64 s4, 0x13f, v0
	v_cmp_lt_u32_e64 s5, 0x17f, v0
	;; [unrolled: 1-line block ×3, first 2 shown]
	s_mov_b32 s15, 0
	s_waitcnt lgkmcnt(0)
	s_barrier
	buffer_gl0_inv
	s_branch .LBB53_52
.LBB53_51:                              ;   in Loop: Header=BB53_52 Depth=1
	s_or_b32 exec_lo, exec_lo, s7
	s_waitcnt lgkmcnt(0)
	s_barrier
	buffer_gl0_inv
	ds_load_b32 v2, v8 offset:12316
	v_add_co_u32 v6, s7, 0x200, v6
	s_delay_alu instid0(VALU_DEP_1) | instskip(SKIP_3) | instid1(SALU_CYCLE_1)
	s_xor_b32 s7, s7, -1
	v_add_nc_u32_e32 v7, 0x1000, v7
	v_add_nc_u32_e32 v5, 0x800, v5
	s_and_b32 s7, exec_lo, s7
	s_or_b32 s15, s7, s15
	s_waitcnt lgkmcnt(0)
	v_add_nc_u32_e32 v9, v2, v9
	s_and_not1_b32 exec_lo, exec_lo, s15
	s_cbranch_execz .LBB53_70
.LBB53_52:                              ; =>This Inner Loop Header: Depth=1
	ds_load_b32 v10, v5
	ds_load_2addr_b32 v[2:3], v7 offset1:1
	s_waitcnt lgkmcnt(0)
	s_barrier
	buffer_gl0_inv
	v_cmp_gt_i32_e64 s7, s20, v10
	s_delay_alu instid0(VALU_DEP_1) | instskip(NEXT) | instid1(SALU_CYCLE_1)
	s_bcnt1_i32_b32 s16, s7
	v_dual_mov_b32 v12, s16 :: v_dual_and_b32 v11, s7, v1
	s_delay_alu instid0(VALU_DEP_1)
	v_bcnt_u32_b32 v11, v11, 0
	ds_store_b32 v4, v12 offset:12288
	s_waitcnt lgkmcnt(0)
	s_barrier
	buffer_gl0_inv
	s_and_saveexec_b32 s16, s0
	s_cbranch_execnz .LBB53_61
; %bb.53:                               ;   in Loop: Header=BB53_52 Depth=1
	s_or_b32 exec_lo, exec_lo, s16
	s_and_saveexec_b32 s16, s1
	s_cbranch_execnz .LBB53_62
.LBB53_54:                              ;   in Loop: Header=BB53_52 Depth=1
	s_or_b32 exec_lo, exec_lo, s16
	s_and_saveexec_b32 s16, s2
	s_cbranch_execnz .LBB53_63
.LBB53_55:                              ;   in Loop: Header=BB53_52 Depth=1
	s_or_b32 exec_lo, exec_lo, s16
	s_and_saveexec_b32 s16, s3
	s_cbranch_execnz .LBB53_64
.LBB53_56:                              ;   in Loop: Header=BB53_52 Depth=1
	s_or_b32 exec_lo, exec_lo, s16
	s_and_saveexec_b32 s16, s4
	s_cbranch_execnz .LBB53_65
.LBB53_57:                              ;   in Loop: Header=BB53_52 Depth=1
	s_or_b32 exec_lo, exec_lo, s16
	s_and_saveexec_b32 s16, s5
	s_cbranch_execnz .LBB53_66
.LBB53_58:                              ;   in Loop: Header=BB53_52 Depth=1
	s_or_b32 exec_lo, exec_lo, s16
	s_and_saveexec_b32 s16, s6
	s_cbranch_execnz .LBB53_67
.LBB53_59:                              ;   in Loop: Header=BB53_52 Depth=1
	s_or_b32 exec_lo, exec_lo, s16
	s_and_saveexec_b32 s16, s7
	s_cbranch_execnz .LBB53_68
.LBB53_60:                              ;   in Loop: Header=BB53_52 Depth=1
	s_or_b32 exec_lo, exec_lo, s16
	s_and_saveexec_b32 s7, vcc_lo
	s_cbranch_execz .LBB53_51
	s_branch .LBB53_69
.LBB53_61:                              ;   in Loop: Header=BB53_52 Depth=1
	ds_load_b32 v12, v8 offset:12288
	s_waitcnt lgkmcnt(0)
	v_add_nc_u32_e32 v11, v12, v11
	s_or_b32 exec_lo, exec_lo, s16
	s_and_saveexec_b32 s16, s1
	s_cbranch_execz .LBB53_54
.LBB53_62:                              ;   in Loop: Header=BB53_52 Depth=1
	ds_load_b32 v12, v8 offset:12292
	s_waitcnt lgkmcnt(0)
	v_add_nc_u32_e32 v11, v12, v11
	s_or_b32 exec_lo, exec_lo, s16
	s_and_saveexec_b32 s16, s2
	s_cbranch_execz .LBB53_55
.LBB53_63:                              ;   in Loop: Header=BB53_52 Depth=1
	ds_load_b32 v12, v8 offset:12296
	s_waitcnt lgkmcnt(0)
	v_add_nc_u32_e32 v11, v12, v11
	s_or_b32 exec_lo, exec_lo, s16
	s_and_saveexec_b32 s16, s3
	s_cbranch_execz .LBB53_56
.LBB53_64:                              ;   in Loop: Header=BB53_52 Depth=1
	ds_load_b32 v12, v8 offset:12300
	s_waitcnt lgkmcnt(0)
	v_add_nc_u32_e32 v11, v12, v11
	s_or_b32 exec_lo, exec_lo, s16
	s_and_saveexec_b32 s16, s4
	s_cbranch_execz .LBB53_57
.LBB53_65:                              ;   in Loop: Header=BB53_52 Depth=1
	ds_load_b32 v12, v8 offset:12304
	s_waitcnt lgkmcnt(0)
	v_add_nc_u32_e32 v11, v12, v11
	s_or_b32 exec_lo, exec_lo, s16
	s_and_saveexec_b32 s16, s5
	s_cbranch_execz .LBB53_58
.LBB53_66:                              ;   in Loop: Header=BB53_52 Depth=1
	ds_load_b32 v12, v8 offset:12308
	s_waitcnt lgkmcnt(0)
	v_add_nc_u32_e32 v11, v12, v11
	s_or_b32 exec_lo, exec_lo, s16
	s_and_saveexec_b32 s16, s6
	s_cbranch_execz .LBB53_59
.LBB53_67:                              ;   in Loop: Header=BB53_52 Depth=1
	ds_load_b32 v12, v8 offset:12312
	s_waitcnt lgkmcnt(0)
	v_add_nc_u32_e32 v11, v12, v11
	s_or_b32 exec_lo, exec_lo, s16
	s_and_saveexec_b32 s16, s7
	s_cbranch_execz .LBB53_60
.LBB53_68:                              ;   in Loop: Header=BB53_52 Depth=1
	s_delay_alu instid0(VALU_DEP_1) | instskip(NEXT) | instid1(VALU_DEP_1)
	v_add3_u32 v12, v9, -1, v11
	v_lshlrev_b32_e32 v13, 3, v12
	v_lshl_add_u32 v12, v12, 2, 0
	s_delay_alu instid0(VALU_DEP_2)
	v_add3_u32 v13, 0, v13, 0x1000
	ds_store_b32 v12, v10
	ds_store_2addr_b32 v13, v2, v3 offset1:1
	s_or_b32 exec_lo, exec_lo, s16
	s_and_saveexec_b32 s7, vcc_lo
	s_cbranch_execz .LBB53_51
.LBB53_69:                              ;   in Loop: Header=BB53_52 Depth=1
	ds_store_b32 v8, v11 offset:12316
	s_branch .LBB53_51
.LBB53_70:
	s_or_b32 exec_lo, exec_lo, s15
	s_ashr_i32 s15, s14, 31
	s_mov_b32 s3, exec_lo
	s_lshl_b64 s[0:1], s[14:15], 2
	s_delay_alu instid0(SALU_CYCLE_1) | instskip(SKIP_4) | instid1(SALU_CYCLE_1)
	s_add_u32 s0, s8, s0
	s_addc_u32 s1, s9, s1
	s_load_b64 s[0:1], s[0:1], 0x0
	s_waitcnt lgkmcnt(0)
	s_sub_i32 s2, s1, s0
	v_cmpx_gt_i32_e64 s2, v0
	s_cbranch_execz .LBB53_80
; %bb.71:
	s_sub_i32 s3, s0, s38
	s_sub_i32 s0, s0, s1
	s_and_b32 s1, s2, 7
	s_cmp_lt_u32 s0, -7
	s_mov_b32 s7, 0
	s_cselect_b32 s4, -1, 0
	s_and_b32 s5, s2, -8
	s_cmp_lg_u32 s1, 0
	s_cselect_b32 s6, -1, 0
	s_branch .LBB53_73
.LBB53_72:                              ;   in Loop: Header=BB53_73 Depth=1
	s_delay_alu instid0(VALU_DEP_1) | instskip(SKIP_3) | instid1(VALU_DEP_3)
	v_ashrrev_i32_e32 v4, 31, v3
	v_add_nc_u32_e32 v0, 0x200, v0
	s_waitcnt lgkmcnt(1)
	v_add_nc_u32_e32 v8, s38, v5
	v_lshlrev_b64 v[6:7], 2, v[3:4]
	v_lshlrev_b64 v[3:4], 3, v[3:4]
	v_cmp_le_i32_e32 vcc_lo, s2, v0
	s_delay_alu instid0(VALU_DEP_3) | instskip(NEXT) | instid1(VALU_DEP_1)
	v_add_co_u32 v5, s0, s10, v6
	v_add_co_ci_u32_e64 v6, s0, s11, v7, s0
	s_delay_alu instid0(VALU_DEP_4) | instskip(NEXT) | instid1(VALU_DEP_1)
	v_add_co_u32 v3, s0, s12, v3
	v_add_co_ci_u32_e64 v4, s0, s13, v4, s0
	s_or_b32 s7, vcc_lo, s7
	global_store_b32 v[5:6], v8, off
	s_waitcnt lgkmcnt(0)
	global_store_b64 v[3:4], v[1:2], off
	s_and_not1_b32 exec_lo, exec_lo, s7
	s_cbranch_execz .LBB53_80
.LBB53_73:                              ; =>This Loop Header: Depth=1
                                        ;     Child Loop BB53_75 Depth 2
                                        ;     Child Loop BB53_79 Depth 2
	v_lshlrev_b32_e32 v1, 2, v0
	s_and_not1_b32 vcc_lo, exec_lo, s4
	s_mov_b32 s0, 0
	s_delay_alu instid0(VALU_DEP_1) | instskip(NEXT) | instid1(VALU_DEP_1)
	v_dual_mov_b32 v3, s3 :: v_dual_add_nc_u32 v2, 0, v1
	v_add3_u32 v1, v2, v1, 0x1000
	ds_load_b32 v5, v2
	ds_load_2addr_b32 v[1:2], v1 offset1:1
	s_cbranch_vccnz .LBB53_77
; %bb.74:                               ;   in Loop: Header=BB53_73 Depth=1
	v_mov_b32_e32 v3, s3
	s_mov_b32 s8, 0
	s_set_inst_prefetch_distance 0x1
	.p2align	6
.LBB53_75:                              ;   Parent Loop BB53_73 Depth=1
                                        ; =>  This Inner Loop Header: Depth=2
	v_mov_b32_e32 v4, s8
	s_add_i32 s0, s0, 8
	s_add_i32 s8, s8, 32
	s_cmp_eq_u32 s5, s0
	ds_load_2addr_b32 v[6:7], v4 offset1:1
	ds_load_2addr_b32 v[8:9], v4 offset0:2 offset1:3
	ds_load_2addr_b32 v[10:11], v4 offset0:4 offset1:5
	;; [unrolled: 1-line block ×3, first 2 shown]
	s_waitcnt lgkmcnt(3)
	v_cmp_gt_i32_e32 vcc_lo, v5, v6
	v_cndmask_b32_e64 v4, 0, 1, vcc_lo
	s_waitcnt lgkmcnt(2)
	v_cmp_gt_i32_e32 vcc_lo, v5, v8
	v_cndmask_b32_e64 v6, 0, 1, vcc_lo
	v_cmp_gt_i32_e32 vcc_lo, v5, v7
	v_add_co_ci_u32_e32 v3, vcc_lo, v3, v4, vcc_lo
	s_waitcnt lgkmcnt(1)
	v_cmp_gt_i32_e32 vcc_lo, v5, v10
	v_cndmask_b32_e64 v4, 0, 1, vcc_lo
	v_cmp_gt_i32_e32 vcc_lo, v5, v9
	v_add_co_ci_u32_e32 v3, vcc_lo, v3, v6, vcc_lo
	;; [unrolled: 5-line block ×3, first 2 shown]
	v_cmp_gt_i32_e32 vcc_lo, v5, v13
	s_delay_alu instid0(VALU_DEP_2)
	v_add_co_ci_u32_e32 v3, vcc_lo, v3, v6, vcc_lo
	s_cbranch_scc0 .LBB53_75
; %bb.76:                               ;   in Loop: Header=BB53_73 Depth=1
	s_set_inst_prefetch_distance 0x2
	s_mov_b32 s0, s5
.LBB53_77:                              ;   in Loop: Header=BB53_73 Depth=1
	s_and_not1_b32 vcc_lo, exec_lo, s6
	s_cbranch_vccnz .LBB53_72
; %bb.78:                               ;   in Loop: Header=BB53_73 Depth=1
	s_lshl_b32 s0, s0, 2
	s_mov_b32 s8, s1
	s_add_i32 s0, s0, 0
.LBB53_79:                              ;   Parent Loop BB53_73 Depth=1
                                        ; =>  This Inner Loop Header: Depth=2
	s_delay_alu instid0(SALU_CYCLE_1)
	v_mov_b32_e32 v4, s0
	s_add_i32 s8, s8, -1
	s_add_i32 s0, s0, 4
	s_cmp_lg_u32 s8, 0
	ds_load_b32 v4, v4
	s_waitcnt lgkmcnt(0)
	v_cmp_gt_i32_e32 vcc_lo, v5, v4
	v_add_co_ci_u32_e32 v3, vcc_lo, 0, v3, vcc_lo
	s_cbranch_scc1 .LBB53_79
	s_branch .LBB53_72
.LBB53_80:
	s_nop 0
	s_sendmsg sendmsg(MSG_DEALLOC_VGPRS)
	s_endpgm
	.section	.rodata,"a",@progbits
	.p2align	6, 0x0
	.amdhsa_kernel _ZN9rocsparseL26csrgemm_fill_block_per_rowILj512ELj32ELj1024ELj137ELj64Eii21rocsparse_complex_numIfEEEvT5_PKS3_S5_NS_24const_host_device_scalarIT6_EEPKT4_S5_PKS7_SB_S5_SD_S8_SB_S5_SD_SB_PS3_PS7_21rocsparse_index_base_SG_SG_SG_bbb
		.amdhsa_group_segment_fixed_size 0
		.amdhsa_private_segment_fixed_size 0
		.amdhsa_kernarg_size 156
		.amdhsa_user_sgpr_count 15
		.amdhsa_user_sgpr_dispatch_ptr 0
		.amdhsa_user_sgpr_queue_ptr 0
		.amdhsa_user_sgpr_kernarg_segment_ptr 1
		.amdhsa_user_sgpr_dispatch_id 0
		.amdhsa_user_sgpr_private_segment_size 0
		.amdhsa_wavefront_size32 1
		.amdhsa_uses_dynamic_stack 0
		.amdhsa_enable_private_segment 0
		.amdhsa_system_sgpr_workgroup_id_x 1
		.amdhsa_system_sgpr_workgroup_id_y 0
		.amdhsa_system_sgpr_workgroup_id_z 0
		.amdhsa_system_sgpr_workgroup_info 0
		.amdhsa_system_vgpr_workitem_id 0
		.amdhsa_next_free_vgpr 16
		.amdhsa_next_free_sgpr 45
		.amdhsa_reserve_vcc 1
		.amdhsa_float_round_mode_32 0
		.amdhsa_float_round_mode_16_64 0
		.amdhsa_float_denorm_mode_32 3
		.amdhsa_float_denorm_mode_16_64 3
		.amdhsa_dx10_clamp 1
		.amdhsa_ieee_mode 1
		.amdhsa_fp16_overflow 0
		.amdhsa_workgroup_processor_mode 1
		.amdhsa_memory_ordered 1
		.amdhsa_forward_progress 0
		.amdhsa_shared_vgpr_count 0
		.amdhsa_exception_fp_ieee_invalid_op 0
		.amdhsa_exception_fp_denorm_src 0
		.amdhsa_exception_fp_ieee_div_zero 0
		.amdhsa_exception_fp_ieee_overflow 0
		.amdhsa_exception_fp_ieee_underflow 0
		.amdhsa_exception_fp_ieee_inexact 0
		.amdhsa_exception_int_div_zero 0
	.end_amdhsa_kernel
	.section	.text._ZN9rocsparseL26csrgemm_fill_block_per_rowILj512ELj32ELj1024ELj137ELj64Eii21rocsparse_complex_numIfEEEvT5_PKS3_S5_NS_24const_host_device_scalarIT6_EEPKT4_S5_PKS7_SB_S5_SD_S8_SB_S5_SD_SB_PS3_PS7_21rocsparse_index_base_SG_SG_SG_bbb,"axG",@progbits,_ZN9rocsparseL26csrgemm_fill_block_per_rowILj512ELj32ELj1024ELj137ELj64Eii21rocsparse_complex_numIfEEEvT5_PKS3_S5_NS_24const_host_device_scalarIT6_EEPKT4_S5_PKS7_SB_S5_SD_S8_SB_S5_SD_SB_PS3_PS7_21rocsparse_index_base_SG_SG_SG_bbb,comdat
.Lfunc_end53:
	.size	_ZN9rocsparseL26csrgemm_fill_block_per_rowILj512ELj32ELj1024ELj137ELj64Eii21rocsparse_complex_numIfEEEvT5_PKS3_S5_NS_24const_host_device_scalarIT6_EEPKT4_S5_PKS7_SB_S5_SD_S8_SB_S5_SD_SB_PS3_PS7_21rocsparse_index_base_SG_SG_SG_bbb, .Lfunc_end53-_ZN9rocsparseL26csrgemm_fill_block_per_rowILj512ELj32ELj1024ELj137ELj64Eii21rocsparse_complex_numIfEEEvT5_PKS3_S5_NS_24const_host_device_scalarIT6_EEPKT4_S5_PKS7_SB_S5_SD_S8_SB_S5_SD_SB_PS3_PS7_21rocsparse_index_base_SG_SG_SG_bbb
                                        ; -- End function
	.section	.AMDGPU.csdata,"",@progbits
; Kernel info:
; codeLenInByte = 2948
; NumSgprs: 47
; NumVgprs: 16
; ScratchSize: 0
; MemoryBound: 0
; FloatMode: 240
; IeeeMode: 1
; LDSByteSize: 0 bytes/workgroup (compile time only)
; SGPRBlocks: 5
; VGPRBlocks: 1
; NumSGPRsForWavesPerEU: 47
; NumVGPRsForWavesPerEU: 16
; Occupancy: 16
; WaveLimiterHint : 1
; COMPUTE_PGM_RSRC2:SCRATCH_EN: 0
; COMPUTE_PGM_RSRC2:USER_SGPR: 15
; COMPUTE_PGM_RSRC2:TRAP_HANDLER: 0
; COMPUTE_PGM_RSRC2:TGID_X_EN: 1
; COMPUTE_PGM_RSRC2:TGID_Y_EN: 0
; COMPUTE_PGM_RSRC2:TGID_Z_EN: 0
; COMPUTE_PGM_RSRC2:TIDIG_COMP_CNT: 0
	.section	.text._ZN9rocsparseL26csrgemm_fill_block_per_rowILj1024ELj32ELj2048ELj137ELj32Eii21rocsparse_complex_numIfEEEvT5_PKS3_S5_NS_24const_host_device_scalarIT6_EEPKT4_S5_PKS7_SB_S5_SD_S8_SB_S5_SD_SB_PS3_PS7_21rocsparse_index_base_SG_SG_SG_bbb,"axG",@progbits,_ZN9rocsparseL26csrgemm_fill_block_per_rowILj1024ELj32ELj2048ELj137ELj32Eii21rocsparse_complex_numIfEEEvT5_PKS3_S5_NS_24const_host_device_scalarIT6_EEPKT4_S5_PKS7_SB_S5_SD_S8_SB_S5_SD_SB_PS3_PS7_21rocsparse_index_base_SG_SG_SG_bbb,comdat
	.globl	_ZN9rocsparseL26csrgemm_fill_block_per_rowILj1024ELj32ELj2048ELj137ELj32Eii21rocsparse_complex_numIfEEEvT5_PKS3_S5_NS_24const_host_device_scalarIT6_EEPKT4_S5_PKS7_SB_S5_SD_S8_SB_S5_SD_SB_PS3_PS7_21rocsparse_index_base_SG_SG_SG_bbb ; -- Begin function _ZN9rocsparseL26csrgemm_fill_block_per_rowILj1024ELj32ELj2048ELj137ELj32Eii21rocsparse_complex_numIfEEEvT5_PKS3_S5_NS_24const_host_device_scalarIT6_EEPKT4_S5_PKS7_SB_S5_SD_S8_SB_S5_SD_SB_PS3_PS7_21rocsparse_index_base_SG_SG_SG_bbb
	.p2align	8
	.type	_ZN9rocsparseL26csrgemm_fill_block_per_rowILj1024ELj32ELj2048ELj137ELj32Eii21rocsparse_complex_numIfEEEvT5_PKS3_S5_NS_24const_host_device_scalarIT6_EEPKT4_S5_PKS7_SB_S5_SD_S8_SB_S5_SD_SB_PS3_PS7_21rocsparse_index_base_SG_SG_SG_bbb,@function
_ZN9rocsparseL26csrgemm_fill_block_per_rowILj1024ELj32ELj2048ELj137ELj32Eii21rocsparse_complex_numIfEEEvT5_PKS3_S5_NS_24const_host_device_scalarIT6_EEPKT4_S5_PKS7_SB_S5_SD_S8_SB_S5_SD_SB_PS3_PS7_21rocsparse_index_base_SG_SG_SG_bbb: ; @_ZN9rocsparseL26csrgemm_fill_block_per_rowILj1024ELj32ELj2048ELj137ELj32Eii21rocsparse_complex_numIfEEEvT5_PKS3_S5_NS_24const_host_device_scalarIT6_EEPKT4_S5_PKS7_SB_S5_SD_S8_SB_S5_SD_SB_PS3_PS7_21rocsparse_index_base_SG_SG_SG_bbb
; %bb.0:
	s_clause 0x6
	s_load_b32 s12, s[0:1], 0x98
	s_load_b256 s[36:43], s[0:1], 0x60
	s_load_b256 s[4:11], s[0:1], 0x40
	s_load_b128 s[24:27], s[0:1], 0x8
	s_load_b256 s[16:23], s[0:1], 0x20
	s_load_b64 s[34:35], s[0:1], 0x80
	s_load_b128 s[44:47], s[0:1], 0x88
	s_mov_b32 s3, 0
	s_mov_b32 s13, 0
	s_waitcnt lgkmcnt(0)
	s_bitcmp1_b32 s12, 0
	s_cselect_b32 s28, -1, 0
	s_bitcmp1_b32 s12, 16
	s_cselect_b32 s2, -1, 0
	s_delay_alu instid0(SALU_CYCLE_1) | instskip(SKIP_2) | instid1(VALU_DEP_1)
	s_xor_b32 s14, s2, -1
	s_bitcmp0_b32 s12, 0
	v_cndmask_b32_e64 v1, 0, 1, s14
	v_cmp_ne_u32_e32 vcc_lo, 1, v1
	s_cbranch_scc1 .LBB54_5
; %bb.1:
	s_load_b64 s[2:3], s[0:1], 0x18
	s_and_b32 vcc_lo, exec_lo, vcc_lo
	s_waitcnt lgkmcnt(0)
	s_mov_b32 s13, s2
	s_cbranch_vccnz .LBB54_3
; %bb.2:
	s_load_b32 s13, s[2:3], 0x0
.LBB54_3:
	s_and_not1_b32 vcc_lo, exec_lo, s14
	s_cbranch_vccnz .LBB54_5
; %bb.4:
	s_load_b32 s3, s[2:3], 0x4
.LBB54_5:
	s_bitcmp1_b32 s12, 8
	s_cselect_b32 s14, -1, 0
	s_bfe_u32 s2, s12, 0x10008
	s_mov_b32 s12, 0
	s_cmp_eq_u32 s2, 0
	s_mov_b32 s2, 0
	s_cbranch_scc1 .LBB54_11
; %bb.6:
	v_cmp_ne_u32_e32 vcc_lo, 1, v1
	s_mov_b32 s2, s8
	s_cbranch_vccnz .LBB54_8
; %bb.7:
	s_load_b32 s2, s[8:9], 0x0
.LBB54_8:
	v_cmp_ne_u32_e32 vcc_lo, 1, v1
	s_cbranch_vccnz .LBB54_10
; %bb.9:
	s_load_b32 s9, s[8:9], 0x4
.LBB54_10:
	s_waitcnt lgkmcnt(0)
	s_mov_b32 s12, s9
.LBB54_11:
	s_load_b32 s33, s[0:1], 0x0
	v_lshl_add_u32 v5, v0, 2, 0
	v_lshlrev_b32_e32 v1, 3, v0
	v_or_b32_e32 v6, 0xfffffc00, v0
	s_mov_b32 s0, 0
	s_delay_alu instid0(VALU_DEP_3) | instskip(NEXT) | instid1(VALU_DEP_3)
	v_mov_b32_e32 v2, v5
	v_add3_u32 v7, v1, 0, 0x2000
	v_mov_b32_e32 v1, 0
	s_delay_alu instid0(VALU_DEP_2)
	v_dual_mov_b32 v3, v6 :: v_dual_mov_b32 v8, v7
	s_waitcnt lgkmcnt(0)
	v_mov_b32_e32 v4, s33
.LBB54_12:                              ; =>This Inner Loop Header: Depth=1
	s_delay_alu instid0(VALU_DEP_2) | instskip(NEXT) | instid1(VALU_DEP_1)
	v_add_co_u32 v3, s1, 0x400, v3
	s_xor_b32 s1, s1, -1
	ds_store_b32 v2, v4
	ds_store_2addr_b32 v8, v1, v1 offset1:1
	v_add_nc_u32_e32 v8, 0x2000, v8
	v_add_nc_u32_e32 v2, 0x1000, v2
	s_and_b32 s1, exec_lo, s1
	s_delay_alu instid0(SALU_CYCLE_1) | instskip(NEXT) | instid1(SALU_CYCLE_1)
	s_or_b32 s0, s1, s0
	s_and_not1_b32 exec_lo, exec_lo, s0
	s_cbranch_execnz .LBB54_12
; %bb.13:
	s_or_b32 exec_lo, exec_lo, s0
	s_waitcnt lgkmcnt(0)
	s_barrier
	buffer_gl0_inv
	s_load_b32 s0, s[24:25], 0x0
	s_mov_b32 s1, 0
	v_lshrrev_b32_e32 v8, 5, v0
	s_waitcnt lgkmcnt(0)
	s_add_i32 s0, s0, s15
	s_delay_alu instid0(SALU_CYCLE_1) | instskip(NEXT) | instid1(SALU_CYCLE_1)
	s_lshl_b64 s[0:1], s[0:1], 2
	s_add_u32 s0, s26, s0
	s_addc_u32 s1, s27, s1
	s_and_b32 vcc_lo, exec_lo, s28
	s_load_b32 s48, s[0:1], 0x0
	s_cbranch_vccz .LBB54_33
; %bb.14:
	s_waitcnt lgkmcnt(0)
	s_ashr_i32 s49, s48, 31
	v_subrev_nc_u32_e32 v1, s44, v8
	s_lshl_b64 s[0:1], s[48:49], 2
	s_delay_alu instid0(SALU_CYCLE_1)
	s_add_u32 s0, s16, s0
	s_addc_u32 s1, s17, s1
	s_load_b64 s[0:1], s[0:1], 0x0
	s_waitcnt lgkmcnt(0)
	v_add_nc_u32_e32 v1, s0, v1
	s_sub_i32 s0, s1, s44
	s_mov_b32 s1, exec_lo
	s_delay_alu instid0(VALU_DEP_1)
	v_cmpx_gt_i32_e64 s0, v1
	s_cbranch_execz .LBB54_32
; %bb.15:
	v_and_b32_e32 v2, 31, v0
	s_mov_b32 s8, 0
	s_delay_alu instid0(VALU_DEP_1)
	v_subrev_nc_u32_e32 v9, s45, v2
	s_branch .LBB54_17
.LBB54_16:                              ;   in Loop: Header=BB54_17 Depth=1
	s_or_b32 exec_lo, exec_lo, s9
	v_add_nc_u32_e32 v1, 32, v1
	s_delay_alu instid0(VALU_DEP_1) | instskip(SKIP_1) | instid1(SALU_CYCLE_1)
	v_cmp_le_i32_e32 vcc_lo, s0, v1
	s_or_b32 s8, vcc_lo, s8
	s_and_not1_b32 exec_lo, exec_lo, s8
	s_cbranch_execz .LBB54_32
.LBB54_17:                              ; =>This Loop Header: Depth=1
                                        ;     Child Loop BB54_20 Depth 2
                                        ;       Child Loop BB54_22 Depth 3
	v_ashrrev_i32_e32 v2, 31, v1
	s_mov_b32 s9, exec_lo
	s_delay_alu instid0(VALU_DEP_1) | instskip(NEXT) | instid1(VALU_DEP_1)
	v_lshlrev_b64 v[3:4], 2, v[1:2]
	v_add_co_u32 v3, vcc_lo, s18, v3
	s_delay_alu instid0(VALU_DEP_2) | instskip(SKIP_3) | instid1(VALU_DEP_1)
	v_add_co_ci_u32_e32 v4, vcc_lo, s19, v4, vcc_lo
	global_load_b32 v3, v[3:4], off
	s_waitcnt vmcnt(0)
	v_subrev_nc_u32_e32 v3, s44, v3
	v_ashrrev_i32_e32 v4, 31, v3
	s_delay_alu instid0(VALU_DEP_1) | instskip(NEXT) | instid1(VALU_DEP_1)
	v_lshlrev_b64 v[3:4], 2, v[3:4]
	v_add_co_u32 v3, vcc_lo, s22, v3
	s_delay_alu instid0(VALU_DEP_2) | instskip(SKIP_4) | instid1(VALU_DEP_1)
	v_add_co_ci_u32_e32 v4, vcc_lo, s23, v4, vcc_lo
	global_load_b64 v[3:4], v[3:4], off
	s_waitcnt vmcnt(0)
	v_subrev_nc_u32_e32 v10, s45, v4
	v_add_nc_u32_e32 v3, v3, v9
	v_cmpx_lt_i32_e64 v3, v10
	s_cbranch_execz .LBB54_16
; %bb.18:                               ;   in Loop: Header=BB54_17 Depth=1
	v_lshlrev_b64 v[11:12], 3, v[1:2]
	s_mov_b32 s15, 0
	s_delay_alu instid0(VALU_DEP_1) | instskip(NEXT) | instid1(VALU_DEP_2)
	v_add_co_u32 v11, vcc_lo, s20, v11
	v_add_co_ci_u32_e32 v12, vcc_lo, s21, v12, vcc_lo
	global_load_b64 v[12:13], v[11:12], off
	s_waitcnt vmcnt(0)
	v_mul_f32_e64 v2, v13, -s3
	s_delay_alu instid0(VALU_DEP_1) | instskip(NEXT) | instid1(VALU_DEP_1)
	v_dual_mul_f32 v11, s13, v13 :: v_dual_fmac_f32 v2, s13, v12
	v_fmac_f32_e32 v11, s3, v12
	s_branch .LBB54_20
.LBB54_19:                              ;   in Loop: Header=BB54_20 Depth=2
	s_or_b32 exec_lo, exec_lo, s16
	v_add_nc_u32_e32 v3, 32, v3
	s_delay_alu instid0(VALU_DEP_1) | instskip(SKIP_1) | instid1(SALU_CYCLE_1)
	v_cmp_ge_i32_e32 vcc_lo, v3, v10
	s_or_b32 s15, vcc_lo, s15
	s_and_not1_b32 exec_lo, exec_lo, s15
	s_cbranch_execz .LBB54_16
.LBB54_20:                              ;   Parent Loop BB54_17 Depth=1
                                        ; =>  This Loop Header: Depth=2
                                        ;       Child Loop BB54_22 Depth 3
	v_ashrrev_i32_e32 v4, 31, v3
	s_mov_b32 s16, 0
	s_delay_alu instid0(VALU_DEP_1) | instskip(SKIP_1) | instid1(VALU_DEP_2)
	v_lshlrev_b64 v[12:13], 2, v[3:4]
	v_lshlrev_b64 v[14:15], 3, v[3:4]
	v_add_co_u32 v12, vcc_lo, s4, v12
	s_delay_alu instid0(VALU_DEP_3)
	v_add_co_ci_u32_e32 v13, vcc_lo, s5, v13, vcc_lo
	global_load_b32 v4, v[12:13], off
	v_add_co_u32 v12, vcc_lo, s6, v14
	v_add_co_ci_u32_e32 v13, vcc_lo, s7, v15, vcc_lo
	global_load_b64 v[14:15], v[12:13], off
	s_waitcnt vmcnt(1)
	v_subrev_nc_u32_e32 v4, s45, v4
	s_delay_alu instid0(VALU_DEP_1) | instskip(SKIP_3) | instid1(VALU_DEP_2)
	v_mul_lo_u32 v16, 0x89, v4
	s_waitcnt vmcnt(0)
	v_mul_f32_e64 v12, v15, -v11
	v_mul_f32_e32 v13, v2, v15
	v_fmac_f32_e32 v12, v2, v14
	s_delay_alu instid0(VALU_DEP_2)
	v_dual_fmac_f32 v13, v11, v14 :: v_dual_and_b32 v14, 0x7ff, v16
	s_branch .LBB54_22
.LBB54_21:                              ;   in Loop: Header=BB54_22 Depth=3
	s_or_b32 exec_lo, exec_lo, s17
	s_xor_b32 s17, s24, -1
	s_delay_alu instid0(SALU_CYCLE_1) | instskip(NEXT) | instid1(SALU_CYCLE_1)
	s_and_b32 s17, exec_lo, s17
	s_or_b32 s16, s17, s16
	s_delay_alu instid0(SALU_CYCLE_1)
	s_and_not1_b32 exec_lo, exec_lo, s16
	s_cbranch_execz .LBB54_19
.LBB54_22:                              ;   Parent Loop BB54_17 Depth=1
                                        ;     Parent Loop BB54_20 Depth=2
                                        ; =>    This Inner Loop Header: Depth=3
	s_delay_alu instid0(VALU_DEP_1)
	v_lshl_add_u32 v15, v14, 2, 0
	s_mov_b32 s17, exec_lo
                                        ; implicit-def: $sgpr24
	ds_load_b32 v16, v15
	s_waitcnt lgkmcnt(0)
	v_cmpx_ne_u32_e64 v16, v4
	s_xor_b32 s17, exec_lo, s17
	s_cbranch_execz .LBB54_30
; %bb.23:                               ;   in Loop: Header=BB54_22 Depth=3
	s_mov_b32 s25, exec_lo
                                        ; implicit-def: $sgpr24
	v_cmpx_ne_u32_e64 s33, v16
	s_xor_b32 s25, exec_lo, s25
; %bb.24:                               ;   in Loop: Header=BB54_22 Depth=3
	v_add_nc_u32_e32 v14, 1, v14
	s_mov_b32 s24, -1
                                        ; implicit-def: $vgpr15
	s_delay_alu instid0(VALU_DEP_1)
	v_and_b32_e32 v14, 0x7ff, v14
; %bb.25:                               ;   in Loop: Header=BB54_22 Depth=3
	s_and_not1_saveexec_b32 s25, s25
	s_cbranch_execz .LBB54_29
; %bb.26:                               ;   in Loop: Header=BB54_22 Depth=3
	v_mov_b32_e32 v16, s33
	s_mov_b32 s26, -1
	s_mov_b32 s27, exec_lo
	ds_cmpstore_rtn_b32 v16, v15, v4, v16
	s_waitcnt lgkmcnt(0)
	v_cmpx_eq_u32_e64 s33, v16
	s_cbranch_execz .LBB54_28
; %bb.27:                               ;   in Loop: Header=BB54_22 Depth=3
	v_lshl_add_u32 v15, v14, 2, v15
	s_xor_b32 s26, exec_lo, -1
	ds_add_f32 v15, v12 offset:8192
	ds_add_f32 v15, v13 offset:8196
.LBB54_28:                              ;   in Loop: Header=BB54_22 Depth=3
	s_or_b32 exec_lo, exec_lo, s27
	s_delay_alu instid0(SALU_CYCLE_1) | instskip(SKIP_1) | instid1(SALU_CYCLE_1)
	s_and_not1_b32 s24, s24, exec_lo
	s_and_b32 s26, s26, exec_lo
	s_or_b32 s24, s24, s26
.LBB54_29:                              ;   in Loop: Header=BB54_22 Depth=3
	s_or_b32 exec_lo, exec_lo, s25
	s_delay_alu instid0(SALU_CYCLE_1)
	s_and_b32 s24, s24, exec_lo
                                        ; implicit-def: $vgpr15
.LBB54_30:                              ;   in Loop: Header=BB54_22 Depth=3
	s_and_not1_saveexec_b32 s17, s17
	s_cbranch_execz .LBB54_21
; %bb.31:                               ;   in Loop: Header=BB54_22 Depth=3
	v_lshl_add_u32 v15, v14, 2, v15
	s_and_not1_b32 s24, s24, exec_lo
	ds_add_f32 v15, v12 offset:8192
	ds_add_f32 v15, v13 offset:8196
	s_branch .LBB54_21
.LBB54_32:
	s_or_b32 exec_lo, exec_lo, s1
.LBB54_33:
	s_delay_alu instid0(SALU_CYCLE_1)
	s_and_not1_b32 vcc_lo, exec_lo, s14
	s_cbranch_vccnz .LBB54_50
; %bb.34:
	s_waitcnt lgkmcnt(0)
	s_ashr_i32 s49, s48, 31
	v_subrev_nc_u32_e32 v1, s47, v0
	s_lshl_b64 s[0:1], s[48:49], 2
	s_delay_alu instid0(SALU_CYCLE_1)
	s_add_u32 s0, s10, s0
	s_addc_u32 s1, s11, s1
	s_load_b64 s[0:1], s[0:1], 0x0
	s_waitcnt lgkmcnt(0)
	v_add_nc_u32_e32 v1, s0, v1
	s_sub_i32 s0, s1, s47
	s_mov_b32 s1, exec_lo
	s_delay_alu instid0(VALU_DEP_1)
	v_cmpx_gt_i32_e64 s0, v1
	s_cbranch_execz .LBB54_49
; %bb.35:
	s_mov_b32 s3, 0
	s_branch .LBB54_37
.LBB54_36:                              ;   in Loop: Header=BB54_37 Depth=1
	s_or_b32 exec_lo, exec_lo, s4
	v_add_nc_u32_e32 v1, 0x400, v1
	s_delay_alu instid0(VALU_DEP_1) | instskip(SKIP_1) | instid1(SALU_CYCLE_1)
	v_cmp_le_i32_e32 vcc_lo, s0, v1
	s_or_b32 s3, vcc_lo, s3
	s_and_not1_b32 exec_lo, exec_lo, s3
	s_cbranch_execz .LBB54_49
.LBB54_37:                              ; =>This Loop Header: Depth=1
                                        ;     Child Loop BB54_39 Depth 2
	v_ashrrev_i32_e32 v2, 31, v1
	s_mov_b32 s4, 0
	s_delay_alu instid0(VALU_DEP_1) | instskip(SKIP_1) | instid1(VALU_DEP_2)
	v_lshlrev_b64 v[3:4], 2, v[1:2]
	v_lshlrev_b64 v[9:10], 3, v[1:2]
	v_add_co_u32 v3, vcc_lo, s36, v3
	s_delay_alu instid0(VALU_DEP_3) | instskip(NEXT) | instid1(VALU_DEP_3)
	v_add_co_ci_u32_e32 v4, vcc_lo, s37, v4, vcc_lo
	v_add_co_u32 v2, vcc_lo, s38, v9
	global_load_b32 v4, v[3:4], off
	v_add_co_ci_u32_e32 v3, vcc_lo, s39, v10, vcc_lo
	global_load_b64 v[9:10], v[2:3], off
	s_waitcnt vmcnt(1)
	v_subrev_nc_u32_e32 v2, s47, v4
	s_delay_alu instid0(VALU_DEP_1) | instskip(SKIP_2) | instid1(VALU_DEP_1)
	v_mul_lo_u32 v11, 0x89, v2
	s_waitcnt vmcnt(0)
	v_mul_f32_e64 v3, v10, -s12
	v_dual_mul_f32 v4, s2, v10 :: v_dual_fmac_f32 v3, s2, v9
	s_delay_alu instid0(VALU_DEP_1)
	v_dual_fmac_f32 v4, s12, v9 :: v_dual_and_b32 v9, 0x7ff, v11
	s_branch .LBB54_39
.LBB54_38:                              ;   in Loop: Header=BB54_39 Depth=2
	s_or_b32 exec_lo, exec_lo, s5
	s_xor_b32 s5, s6, -1
	s_delay_alu instid0(SALU_CYCLE_1) | instskip(NEXT) | instid1(SALU_CYCLE_1)
	s_and_b32 s5, exec_lo, s5
	s_or_b32 s4, s5, s4
	s_delay_alu instid0(SALU_CYCLE_1)
	s_and_not1_b32 exec_lo, exec_lo, s4
	s_cbranch_execz .LBB54_36
.LBB54_39:                              ;   Parent Loop BB54_37 Depth=1
                                        ; =>  This Inner Loop Header: Depth=2
	s_delay_alu instid0(VALU_DEP_1)
	v_lshl_add_u32 v10, v9, 2, 0
	s_mov_b32 s5, exec_lo
                                        ; implicit-def: $sgpr6
	ds_load_b32 v11, v10
	s_waitcnt lgkmcnt(0)
	v_cmpx_ne_u32_e64 v11, v2
	s_xor_b32 s5, exec_lo, s5
	s_cbranch_execz .LBB54_47
; %bb.40:                               ;   in Loop: Header=BB54_39 Depth=2
	s_mov_b32 s7, exec_lo
                                        ; implicit-def: $sgpr6
	v_cmpx_ne_u32_e64 s33, v11
	s_xor_b32 s7, exec_lo, s7
; %bb.41:                               ;   in Loop: Header=BB54_39 Depth=2
	v_add_nc_u32_e32 v9, 1, v9
	s_mov_b32 s6, -1
                                        ; implicit-def: $vgpr10
	s_delay_alu instid0(VALU_DEP_1)
	v_and_b32_e32 v9, 0x7ff, v9
; %bb.42:                               ;   in Loop: Header=BB54_39 Depth=2
	s_and_not1_saveexec_b32 s7, s7
	s_cbranch_execz .LBB54_46
; %bb.43:                               ;   in Loop: Header=BB54_39 Depth=2
	v_mov_b32_e32 v11, s33
	s_mov_b32 s8, -1
	s_mov_b32 s9, exec_lo
	ds_cmpstore_rtn_b32 v11, v10, v2, v11
	s_waitcnt lgkmcnt(0)
	v_cmpx_eq_u32_e64 s33, v11
	s_cbranch_execz .LBB54_45
; %bb.44:                               ;   in Loop: Header=BB54_39 Depth=2
	v_lshl_add_u32 v10, v9, 2, v10
	s_xor_b32 s8, exec_lo, -1
	ds_add_f32 v10, v3 offset:8192
	ds_add_f32 v10, v4 offset:8196
.LBB54_45:                              ;   in Loop: Header=BB54_39 Depth=2
	s_or_b32 exec_lo, exec_lo, s9
	s_delay_alu instid0(SALU_CYCLE_1) | instskip(SKIP_1) | instid1(SALU_CYCLE_1)
	s_and_not1_b32 s6, s6, exec_lo
	s_and_b32 s8, s8, exec_lo
	s_or_b32 s6, s6, s8
.LBB54_46:                              ;   in Loop: Header=BB54_39 Depth=2
	s_or_b32 exec_lo, exec_lo, s7
	s_delay_alu instid0(SALU_CYCLE_1)
	s_and_b32 s6, s6, exec_lo
                                        ; implicit-def: $vgpr10
.LBB54_47:                              ;   in Loop: Header=BB54_39 Depth=2
	s_and_not1_saveexec_b32 s5, s5
	s_cbranch_execz .LBB54_38
; %bb.48:                               ;   in Loop: Header=BB54_39 Depth=2
	v_lshl_add_u32 v10, v9, 2, v10
	s_and_not1_b32 s6, s6, exec_lo
	ds_add_f32 v10, v3 offset:8192
	ds_add_f32 v10, v4 offset:8196
	s_branch .LBB54_38
.LBB54_49:
	s_or_b32 exec_lo, exec_lo, s1
.LBB54_50:
	v_mbcnt_lo_u32_b32 v1, -1, 0
	v_lshl_add_u32 v4, v8, 2, 0
	v_cmp_eq_u32_e32 vcc_lo, 0x3ff, v0
	v_cmp_lt_u32_e64 s0, 31, v0
	v_cmp_lt_u32_e64 s1, 63, v0
	v_xor_b32_e32 v1, 63, v1
	v_cmp_lt_u32_e64 s2, 0x5f, v0
	v_cmp_lt_u32_e64 s3, 0x7f, v0
	;; [unrolled: 1-line block ×4, first 2 shown]
	v_lshrrev_b64 v[1:2], v1, -1
	v_cmp_lt_u32_e64 s6, 0xdf, v0
	v_cmp_lt_u32_e64 s7, 0xff, v0
	;; [unrolled: 1-line block ×25, first 2 shown]
	v_dual_mov_b32 v8, 0 :: v_dual_mov_b32 v9, 0
	s_mov_b32 s36, 0
	s_waitcnt lgkmcnt(0)
	s_barrier
	buffer_gl0_inv
	s_branch .LBB54_52
.LBB54_51:                              ;   in Loop: Header=BB54_52 Depth=1
	s_or_b32 exec_lo, exec_lo, s31
	s_waitcnt lgkmcnt(0)
	s_barrier
	buffer_gl0_inv
	ds_load_b32 v2, v8 offset:24700
	v_add_co_u32 v6, s31, 0x400, v6
	s_delay_alu instid0(VALU_DEP_1) | instskip(SKIP_3) | instid1(SALU_CYCLE_1)
	s_xor_b32 s31, s31, -1
	v_add_nc_u32_e32 v7, 0x2000, v7
	v_add_nc_u32_e32 v5, 0x1000, v5
	s_and_b32 s31, exec_lo, s31
	s_or_b32 s36, s31, s36
	s_waitcnt lgkmcnt(0)
	v_add_nc_u32_e32 v9, v2, v9
	s_and_not1_b32 exec_lo, exec_lo, s36
	s_cbranch_execz .LBB54_118
.LBB54_52:                              ; =>This Inner Loop Header: Depth=1
	ds_load_b32 v10, v5
	ds_load_2addr_b32 v[2:3], v7 offset1:1
	s_waitcnt lgkmcnt(0)
	s_barrier
	buffer_gl0_inv
	v_cmp_gt_i32_e64 s31, s33, v10
	s_delay_alu instid0(VALU_DEP_1) | instskip(NEXT) | instid1(SALU_CYCLE_1)
	s_bcnt1_i32_b32 s37, s31
	v_dual_mov_b32 v12, s37 :: v_dual_and_b32 v11, s31, v1
	s_delay_alu instid0(VALU_DEP_1)
	v_bcnt_u32_b32 v11, v11, 0
	ds_store_b32 v4, v12 offset:24576
	s_waitcnt lgkmcnt(0)
	s_barrier
	buffer_gl0_inv
	s_and_saveexec_b32 s37, s0
	s_cbranch_execnz .LBB54_85
; %bb.53:                               ;   in Loop: Header=BB54_52 Depth=1
	s_or_b32 exec_lo, exec_lo, s37
	s_and_saveexec_b32 s37, s1
	s_cbranch_execnz .LBB54_86
.LBB54_54:                              ;   in Loop: Header=BB54_52 Depth=1
	s_or_b32 exec_lo, exec_lo, s37
	s_and_saveexec_b32 s37, s2
	s_cbranch_execnz .LBB54_87
.LBB54_55:                              ;   in Loop: Header=BB54_52 Depth=1
	s_or_b32 exec_lo, exec_lo, s37
	s_and_saveexec_b32 s37, s3
	s_cbranch_execnz .LBB54_88
.LBB54_56:                              ;   in Loop: Header=BB54_52 Depth=1
	s_or_b32 exec_lo, exec_lo, s37
	s_and_saveexec_b32 s37, s4
	s_cbranch_execnz .LBB54_89
.LBB54_57:                              ;   in Loop: Header=BB54_52 Depth=1
	s_or_b32 exec_lo, exec_lo, s37
	s_and_saveexec_b32 s37, s5
	s_cbranch_execnz .LBB54_90
.LBB54_58:                              ;   in Loop: Header=BB54_52 Depth=1
	s_or_b32 exec_lo, exec_lo, s37
	s_and_saveexec_b32 s37, s6
	s_cbranch_execnz .LBB54_91
.LBB54_59:                              ;   in Loop: Header=BB54_52 Depth=1
	s_or_b32 exec_lo, exec_lo, s37
	s_and_saveexec_b32 s37, s7
	s_cbranch_execnz .LBB54_92
.LBB54_60:                              ;   in Loop: Header=BB54_52 Depth=1
	s_or_b32 exec_lo, exec_lo, s37
	s_and_saveexec_b32 s37, s8
	s_cbranch_execnz .LBB54_93
.LBB54_61:                              ;   in Loop: Header=BB54_52 Depth=1
	s_or_b32 exec_lo, exec_lo, s37
	s_and_saveexec_b32 s37, s9
	s_cbranch_execnz .LBB54_94
.LBB54_62:                              ;   in Loop: Header=BB54_52 Depth=1
	s_or_b32 exec_lo, exec_lo, s37
	s_and_saveexec_b32 s37, s10
	s_cbranch_execnz .LBB54_95
.LBB54_63:                              ;   in Loop: Header=BB54_52 Depth=1
	s_or_b32 exec_lo, exec_lo, s37
	s_and_saveexec_b32 s37, s11
	s_cbranch_execnz .LBB54_96
.LBB54_64:                              ;   in Loop: Header=BB54_52 Depth=1
	s_or_b32 exec_lo, exec_lo, s37
	s_and_saveexec_b32 s37, s12
	s_cbranch_execnz .LBB54_97
.LBB54_65:                              ;   in Loop: Header=BB54_52 Depth=1
	s_or_b32 exec_lo, exec_lo, s37
	s_and_saveexec_b32 s37, s13
	s_cbranch_execnz .LBB54_98
.LBB54_66:                              ;   in Loop: Header=BB54_52 Depth=1
	s_or_b32 exec_lo, exec_lo, s37
	s_and_saveexec_b32 s37, s14
	s_cbranch_execnz .LBB54_99
.LBB54_67:                              ;   in Loop: Header=BB54_52 Depth=1
	s_or_b32 exec_lo, exec_lo, s37
	s_and_saveexec_b32 s37, s15
	s_cbranch_execnz .LBB54_100
.LBB54_68:                              ;   in Loop: Header=BB54_52 Depth=1
	s_or_b32 exec_lo, exec_lo, s37
	s_and_saveexec_b32 s37, s16
	s_cbranch_execnz .LBB54_101
.LBB54_69:                              ;   in Loop: Header=BB54_52 Depth=1
	s_or_b32 exec_lo, exec_lo, s37
	s_and_saveexec_b32 s37, s17
	s_cbranch_execnz .LBB54_102
.LBB54_70:                              ;   in Loop: Header=BB54_52 Depth=1
	s_or_b32 exec_lo, exec_lo, s37
	s_and_saveexec_b32 s37, s18
	s_cbranch_execnz .LBB54_103
.LBB54_71:                              ;   in Loop: Header=BB54_52 Depth=1
	s_or_b32 exec_lo, exec_lo, s37
	s_and_saveexec_b32 s37, s19
	s_cbranch_execnz .LBB54_104
.LBB54_72:                              ;   in Loop: Header=BB54_52 Depth=1
	s_or_b32 exec_lo, exec_lo, s37
	s_and_saveexec_b32 s37, s20
	s_cbranch_execnz .LBB54_105
.LBB54_73:                              ;   in Loop: Header=BB54_52 Depth=1
	s_or_b32 exec_lo, exec_lo, s37
	s_and_saveexec_b32 s37, s21
	s_cbranch_execnz .LBB54_106
.LBB54_74:                              ;   in Loop: Header=BB54_52 Depth=1
	s_or_b32 exec_lo, exec_lo, s37
	s_and_saveexec_b32 s37, s22
	s_cbranch_execnz .LBB54_107
.LBB54_75:                              ;   in Loop: Header=BB54_52 Depth=1
	s_or_b32 exec_lo, exec_lo, s37
	s_and_saveexec_b32 s37, s23
	s_cbranch_execnz .LBB54_108
.LBB54_76:                              ;   in Loop: Header=BB54_52 Depth=1
	s_or_b32 exec_lo, exec_lo, s37
	s_and_saveexec_b32 s37, s24
	s_cbranch_execnz .LBB54_109
.LBB54_77:                              ;   in Loop: Header=BB54_52 Depth=1
	s_or_b32 exec_lo, exec_lo, s37
	s_and_saveexec_b32 s37, s25
	s_cbranch_execnz .LBB54_110
.LBB54_78:                              ;   in Loop: Header=BB54_52 Depth=1
	s_or_b32 exec_lo, exec_lo, s37
	s_and_saveexec_b32 s37, s26
	s_cbranch_execnz .LBB54_111
.LBB54_79:                              ;   in Loop: Header=BB54_52 Depth=1
	s_or_b32 exec_lo, exec_lo, s37
	s_and_saveexec_b32 s37, s27
	s_cbranch_execnz .LBB54_112
.LBB54_80:                              ;   in Loop: Header=BB54_52 Depth=1
	s_or_b32 exec_lo, exec_lo, s37
	s_and_saveexec_b32 s37, s28
	s_cbranch_execnz .LBB54_113
.LBB54_81:                              ;   in Loop: Header=BB54_52 Depth=1
	s_or_b32 exec_lo, exec_lo, s37
	s_and_saveexec_b32 s37, s29
	s_cbranch_execnz .LBB54_114
.LBB54_82:                              ;   in Loop: Header=BB54_52 Depth=1
	s_or_b32 exec_lo, exec_lo, s37
	s_and_saveexec_b32 s37, s30
	s_cbranch_execnz .LBB54_115
.LBB54_83:                              ;   in Loop: Header=BB54_52 Depth=1
	s_or_b32 exec_lo, exec_lo, s37
	s_and_saveexec_b32 s37, s31
	s_cbranch_execnz .LBB54_116
.LBB54_84:                              ;   in Loop: Header=BB54_52 Depth=1
	s_or_b32 exec_lo, exec_lo, s37
	s_and_saveexec_b32 s31, vcc_lo
	s_cbranch_execz .LBB54_51
	s_branch .LBB54_117
.LBB54_85:                              ;   in Loop: Header=BB54_52 Depth=1
	ds_load_b32 v12, v8 offset:24576
	s_waitcnt lgkmcnt(0)
	v_add_nc_u32_e32 v11, v12, v11
	s_or_b32 exec_lo, exec_lo, s37
	s_and_saveexec_b32 s37, s1
	s_cbranch_execz .LBB54_54
.LBB54_86:                              ;   in Loop: Header=BB54_52 Depth=1
	ds_load_b32 v12, v8 offset:24580
	s_waitcnt lgkmcnt(0)
	v_add_nc_u32_e32 v11, v12, v11
	s_or_b32 exec_lo, exec_lo, s37
	s_and_saveexec_b32 s37, s2
	s_cbranch_execz .LBB54_55
.LBB54_87:                              ;   in Loop: Header=BB54_52 Depth=1
	ds_load_b32 v12, v8 offset:24584
	s_waitcnt lgkmcnt(0)
	v_add_nc_u32_e32 v11, v12, v11
	s_or_b32 exec_lo, exec_lo, s37
	s_and_saveexec_b32 s37, s3
	s_cbranch_execz .LBB54_56
.LBB54_88:                              ;   in Loop: Header=BB54_52 Depth=1
	ds_load_b32 v12, v8 offset:24588
	s_waitcnt lgkmcnt(0)
	v_add_nc_u32_e32 v11, v12, v11
	s_or_b32 exec_lo, exec_lo, s37
	s_and_saveexec_b32 s37, s4
	s_cbranch_execz .LBB54_57
.LBB54_89:                              ;   in Loop: Header=BB54_52 Depth=1
	ds_load_b32 v12, v8 offset:24592
	s_waitcnt lgkmcnt(0)
	v_add_nc_u32_e32 v11, v12, v11
	s_or_b32 exec_lo, exec_lo, s37
	s_and_saveexec_b32 s37, s5
	s_cbranch_execz .LBB54_58
.LBB54_90:                              ;   in Loop: Header=BB54_52 Depth=1
	ds_load_b32 v12, v8 offset:24596
	s_waitcnt lgkmcnt(0)
	v_add_nc_u32_e32 v11, v12, v11
	s_or_b32 exec_lo, exec_lo, s37
	s_and_saveexec_b32 s37, s6
	s_cbranch_execz .LBB54_59
.LBB54_91:                              ;   in Loop: Header=BB54_52 Depth=1
	ds_load_b32 v12, v8 offset:24600
	s_waitcnt lgkmcnt(0)
	v_add_nc_u32_e32 v11, v12, v11
	s_or_b32 exec_lo, exec_lo, s37
	s_and_saveexec_b32 s37, s7
	s_cbranch_execz .LBB54_60
.LBB54_92:                              ;   in Loop: Header=BB54_52 Depth=1
	ds_load_b32 v12, v8 offset:24604
	s_waitcnt lgkmcnt(0)
	v_add_nc_u32_e32 v11, v12, v11
	s_or_b32 exec_lo, exec_lo, s37
	s_and_saveexec_b32 s37, s8
	s_cbranch_execz .LBB54_61
.LBB54_93:                              ;   in Loop: Header=BB54_52 Depth=1
	ds_load_b32 v12, v8 offset:24608
	s_waitcnt lgkmcnt(0)
	v_add_nc_u32_e32 v11, v12, v11
	s_or_b32 exec_lo, exec_lo, s37
	s_and_saveexec_b32 s37, s9
	s_cbranch_execz .LBB54_62
.LBB54_94:                              ;   in Loop: Header=BB54_52 Depth=1
	ds_load_b32 v12, v8 offset:24612
	s_waitcnt lgkmcnt(0)
	v_add_nc_u32_e32 v11, v12, v11
	s_or_b32 exec_lo, exec_lo, s37
	s_and_saveexec_b32 s37, s10
	s_cbranch_execz .LBB54_63
.LBB54_95:                              ;   in Loop: Header=BB54_52 Depth=1
	ds_load_b32 v12, v8 offset:24616
	s_waitcnt lgkmcnt(0)
	v_add_nc_u32_e32 v11, v12, v11
	s_or_b32 exec_lo, exec_lo, s37
	s_and_saveexec_b32 s37, s11
	s_cbranch_execz .LBB54_64
.LBB54_96:                              ;   in Loop: Header=BB54_52 Depth=1
	ds_load_b32 v12, v8 offset:24620
	s_waitcnt lgkmcnt(0)
	v_add_nc_u32_e32 v11, v12, v11
	s_or_b32 exec_lo, exec_lo, s37
	s_and_saveexec_b32 s37, s12
	s_cbranch_execz .LBB54_65
.LBB54_97:                              ;   in Loop: Header=BB54_52 Depth=1
	ds_load_b32 v12, v8 offset:24624
	s_waitcnt lgkmcnt(0)
	v_add_nc_u32_e32 v11, v12, v11
	s_or_b32 exec_lo, exec_lo, s37
	s_and_saveexec_b32 s37, s13
	s_cbranch_execz .LBB54_66
.LBB54_98:                              ;   in Loop: Header=BB54_52 Depth=1
	ds_load_b32 v12, v8 offset:24628
	s_waitcnt lgkmcnt(0)
	v_add_nc_u32_e32 v11, v12, v11
	s_or_b32 exec_lo, exec_lo, s37
	s_and_saveexec_b32 s37, s14
	s_cbranch_execz .LBB54_67
.LBB54_99:                              ;   in Loop: Header=BB54_52 Depth=1
	ds_load_b32 v12, v8 offset:24632
	s_waitcnt lgkmcnt(0)
	v_add_nc_u32_e32 v11, v12, v11
	s_or_b32 exec_lo, exec_lo, s37
	s_and_saveexec_b32 s37, s15
	s_cbranch_execz .LBB54_68
.LBB54_100:                             ;   in Loop: Header=BB54_52 Depth=1
	ds_load_b32 v12, v8 offset:24636
	s_waitcnt lgkmcnt(0)
	v_add_nc_u32_e32 v11, v12, v11
	s_or_b32 exec_lo, exec_lo, s37
	s_and_saveexec_b32 s37, s16
	s_cbranch_execz .LBB54_69
.LBB54_101:                             ;   in Loop: Header=BB54_52 Depth=1
	ds_load_b32 v12, v8 offset:24640
	s_waitcnt lgkmcnt(0)
	v_add_nc_u32_e32 v11, v12, v11
	s_or_b32 exec_lo, exec_lo, s37
	s_and_saveexec_b32 s37, s17
	s_cbranch_execz .LBB54_70
.LBB54_102:                             ;   in Loop: Header=BB54_52 Depth=1
	ds_load_b32 v12, v8 offset:24644
	s_waitcnt lgkmcnt(0)
	v_add_nc_u32_e32 v11, v12, v11
	s_or_b32 exec_lo, exec_lo, s37
	s_and_saveexec_b32 s37, s18
	s_cbranch_execz .LBB54_71
.LBB54_103:                             ;   in Loop: Header=BB54_52 Depth=1
	ds_load_b32 v12, v8 offset:24648
	s_waitcnt lgkmcnt(0)
	v_add_nc_u32_e32 v11, v12, v11
	s_or_b32 exec_lo, exec_lo, s37
	s_and_saveexec_b32 s37, s19
	s_cbranch_execz .LBB54_72
.LBB54_104:                             ;   in Loop: Header=BB54_52 Depth=1
	ds_load_b32 v12, v8 offset:24652
	s_waitcnt lgkmcnt(0)
	v_add_nc_u32_e32 v11, v12, v11
	s_or_b32 exec_lo, exec_lo, s37
	s_and_saveexec_b32 s37, s20
	s_cbranch_execz .LBB54_73
.LBB54_105:                             ;   in Loop: Header=BB54_52 Depth=1
	ds_load_b32 v12, v8 offset:24656
	s_waitcnt lgkmcnt(0)
	v_add_nc_u32_e32 v11, v12, v11
	s_or_b32 exec_lo, exec_lo, s37
	s_and_saveexec_b32 s37, s21
	s_cbranch_execz .LBB54_74
.LBB54_106:                             ;   in Loop: Header=BB54_52 Depth=1
	ds_load_b32 v12, v8 offset:24660
	s_waitcnt lgkmcnt(0)
	v_add_nc_u32_e32 v11, v12, v11
	s_or_b32 exec_lo, exec_lo, s37
	s_and_saveexec_b32 s37, s22
	s_cbranch_execz .LBB54_75
.LBB54_107:                             ;   in Loop: Header=BB54_52 Depth=1
	ds_load_b32 v12, v8 offset:24664
	s_waitcnt lgkmcnt(0)
	v_add_nc_u32_e32 v11, v12, v11
	s_or_b32 exec_lo, exec_lo, s37
	s_and_saveexec_b32 s37, s23
	s_cbranch_execz .LBB54_76
.LBB54_108:                             ;   in Loop: Header=BB54_52 Depth=1
	ds_load_b32 v12, v8 offset:24668
	s_waitcnt lgkmcnt(0)
	v_add_nc_u32_e32 v11, v12, v11
	s_or_b32 exec_lo, exec_lo, s37
	s_and_saveexec_b32 s37, s24
	s_cbranch_execz .LBB54_77
.LBB54_109:                             ;   in Loop: Header=BB54_52 Depth=1
	ds_load_b32 v12, v8 offset:24672
	s_waitcnt lgkmcnt(0)
	v_add_nc_u32_e32 v11, v12, v11
	s_or_b32 exec_lo, exec_lo, s37
	s_and_saveexec_b32 s37, s25
	s_cbranch_execz .LBB54_78
.LBB54_110:                             ;   in Loop: Header=BB54_52 Depth=1
	ds_load_b32 v12, v8 offset:24676
	s_waitcnt lgkmcnt(0)
	v_add_nc_u32_e32 v11, v12, v11
	s_or_b32 exec_lo, exec_lo, s37
	s_and_saveexec_b32 s37, s26
	s_cbranch_execz .LBB54_79
.LBB54_111:                             ;   in Loop: Header=BB54_52 Depth=1
	ds_load_b32 v12, v8 offset:24680
	s_waitcnt lgkmcnt(0)
	v_add_nc_u32_e32 v11, v12, v11
	s_or_b32 exec_lo, exec_lo, s37
	s_and_saveexec_b32 s37, s27
	s_cbranch_execz .LBB54_80
.LBB54_112:                             ;   in Loop: Header=BB54_52 Depth=1
	ds_load_b32 v12, v8 offset:24684
	s_waitcnt lgkmcnt(0)
	v_add_nc_u32_e32 v11, v12, v11
	s_or_b32 exec_lo, exec_lo, s37
	s_and_saveexec_b32 s37, s28
	s_cbranch_execz .LBB54_81
.LBB54_113:                             ;   in Loop: Header=BB54_52 Depth=1
	ds_load_b32 v12, v8 offset:24688
	s_waitcnt lgkmcnt(0)
	v_add_nc_u32_e32 v11, v12, v11
	s_or_b32 exec_lo, exec_lo, s37
	s_and_saveexec_b32 s37, s29
	s_cbranch_execz .LBB54_82
.LBB54_114:                             ;   in Loop: Header=BB54_52 Depth=1
	ds_load_b32 v12, v8 offset:24692
	s_waitcnt lgkmcnt(0)
	v_add_nc_u32_e32 v11, v12, v11
	s_or_b32 exec_lo, exec_lo, s37
	s_and_saveexec_b32 s37, s30
	s_cbranch_execz .LBB54_83
.LBB54_115:                             ;   in Loop: Header=BB54_52 Depth=1
	ds_load_b32 v12, v8 offset:24696
	s_waitcnt lgkmcnt(0)
	v_add_nc_u32_e32 v11, v12, v11
	s_or_b32 exec_lo, exec_lo, s37
	s_and_saveexec_b32 s37, s31
	s_cbranch_execz .LBB54_84
.LBB54_116:                             ;   in Loop: Header=BB54_52 Depth=1
	s_delay_alu instid0(VALU_DEP_1) | instskip(NEXT) | instid1(VALU_DEP_1)
	v_add3_u32 v12, v9, -1, v11
	v_lshlrev_b32_e32 v13, 3, v12
	v_lshl_add_u32 v12, v12, 2, 0
	s_delay_alu instid0(VALU_DEP_2)
	v_add3_u32 v13, 0, v13, 0x2000
	ds_store_b32 v12, v10
	ds_store_2addr_b32 v13, v2, v3 offset1:1
	s_or_b32 exec_lo, exec_lo, s37
	s_and_saveexec_b32 s31, vcc_lo
	s_cbranch_execz .LBB54_51
.LBB54_117:                             ;   in Loop: Header=BB54_52 Depth=1
	ds_store_b32 v8, v11 offset:24700
	s_branch .LBB54_51
.LBB54_118:
	s_or_b32 exec_lo, exec_lo, s36
	s_ashr_i32 s49, s48, 31
	s_mov_b32 s3, exec_lo
	s_lshl_b64 s[0:1], s[48:49], 2
	s_delay_alu instid0(SALU_CYCLE_1) | instskip(SKIP_4) | instid1(SALU_CYCLE_1)
	s_add_u32 s0, s40, s0
	s_addc_u32 s1, s41, s1
	s_load_b64 s[0:1], s[0:1], 0x0
	s_waitcnt lgkmcnt(0)
	s_sub_i32 s2, s1, s0
	v_cmpx_gt_i32_e64 s2, v0
	s_cbranch_execz .LBB54_128
; %bb.119:
	s_sub_i32 s3, s0, s46
	s_sub_i32 s0, s0, s1
	s_and_b32 s1, s2, 7
	s_cmp_lt_u32 s0, -7
	s_mov_b32 s7, 0
	s_cselect_b32 s4, -1, 0
	s_and_b32 s5, s2, -8
	s_cmp_lg_u32 s1, 0
	s_cselect_b32 s6, -1, 0
	s_branch .LBB54_121
.LBB54_120:                             ;   in Loop: Header=BB54_121 Depth=1
	s_delay_alu instid0(VALU_DEP_1) | instskip(SKIP_3) | instid1(VALU_DEP_3)
	v_ashrrev_i32_e32 v4, 31, v3
	v_add_nc_u32_e32 v0, 0x400, v0
	s_waitcnt lgkmcnt(1)
	v_add_nc_u32_e32 v8, s46, v5
	v_lshlrev_b64 v[6:7], 2, v[3:4]
	v_lshlrev_b64 v[3:4], 3, v[3:4]
	v_cmp_le_i32_e32 vcc_lo, s2, v0
	s_delay_alu instid0(VALU_DEP_3) | instskip(NEXT) | instid1(VALU_DEP_1)
	v_add_co_u32 v5, s0, s42, v6
	v_add_co_ci_u32_e64 v6, s0, s43, v7, s0
	s_delay_alu instid0(VALU_DEP_4) | instskip(NEXT) | instid1(VALU_DEP_1)
	v_add_co_u32 v3, s0, s34, v3
	v_add_co_ci_u32_e64 v4, s0, s35, v4, s0
	s_or_b32 s7, vcc_lo, s7
	global_store_b32 v[5:6], v8, off
	s_waitcnt lgkmcnt(0)
	global_store_b64 v[3:4], v[1:2], off
	s_and_not1_b32 exec_lo, exec_lo, s7
	s_cbranch_execz .LBB54_128
.LBB54_121:                             ; =>This Loop Header: Depth=1
                                        ;     Child Loop BB54_123 Depth 2
                                        ;     Child Loop BB54_127 Depth 2
	v_lshlrev_b32_e32 v1, 2, v0
	s_and_not1_b32 vcc_lo, exec_lo, s4
	s_mov_b32 s0, 0
	s_delay_alu instid0(VALU_DEP_1) | instskip(NEXT) | instid1(VALU_DEP_1)
	v_dual_mov_b32 v3, s3 :: v_dual_add_nc_u32 v2, 0, v1
	v_add3_u32 v1, v2, v1, 0x2000
	ds_load_b32 v5, v2
	ds_load_2addr_b32 v[1:2], v1 offset1:1
	s_cbranch_vccnz .LBB54_125
; %bb.122:                              ;   in Loop: Header=BB54_121 Depth=1
	v_mov_b32_e32 v3, s3
	s_mov_b32 s8, 0
	s_set_inst_prefetch_distance 0x1
	.p2align	6
.LBB54_123:                             ;   Parent Loop BB54_121 Depth=1
                                        ; =>  This Inner Loop Header: Depth=2
	v_mov_b32_e32 v4, s8
	s_add_i32 s0, s0, 8
	s_add_i32 s8, s8, 32
	s_cmp_eq_u32 s5, s0
	ds_load_2addr_b32 v[6:7], v4 offset1:1
	ds_load_2addr_b32 v[8:9], v4 offset0:2 offset1:3
	ds_load_2addr_b32 v[10:11], v4 offset0:4 offset1:5
	;; [unrolled: 1-line block ×3, first 2 shown]
	s_waitcnt lgkmcnt(3)
	v_cmp_gt_i32_e32 vcc_lo, v5, v6
	v_cndmask_b32_e64 v4, 0, 1, vcc_lo
	s_waitcnt lgkmcnt(2)
	v_cmp_gt_i32_e32 vcc_lo, v5, v8
	v_cndmask_b32_e64 v6, 0, 1, vcc_lo
	v_cmp_gt_i32_e32 vcc_lo, v5, v7
	v_add_co_ci_u32_e32 v3, vcc_lo, v3, v4, vcc_lo
	s_waitcnt lgkmcnt(1)
	v_cmp_gt_i32_e32 vcc_lo, v5, v10
	v_cndmask_b32_e64 v4, 0, 1, vcc_lo
	v_cmp_gt_i32_e32 vcc_lo, v5, v9
	v_add_co_ci_u32_e32 v3, vcc_lo, v3, v6, vcc_lo
	;; [unrolled: 5-line block ×3, first 2 shown]
	v_cmp_gt_i32_e32 vcc_lo, v5, v13
	s_delay_alu instid0(VALU_DEP_2)
	v_add_co_ci_u32_e32 v3, vcc_lo, v3, v6, vcc_lo
	s_cbranch_scc0 .LBB54_123
; %bb.124:                              ;   in Loop: Header=BB54_121 Depth=1
	s_set_inst_prefetch_distance 0x2
	s_mov_b32 s0, s5
.LBB54_125:                             ;   in Loop: Header=BB54_121 Depth=1
	s_and_not1_b32 vcc_lo, exec_lo, s6
	s_cbranch_vccnz .LBB54_120
; %bb.126:                              ;   in Loop: Header=BB54_121 Depth=1
	s_lshl_b32 s0, s0, 2
	s_mov_b32 s8, s1
	s_add_i32 s0, s0, 0
.LBB54_127:                             ;   Parent Loop BB54_121 Depth=1
                                        ; =>  This Inner Loop Header: Depth=2
	s_delay_alu instid0(SALU_CYCLE_1)
	v_mov_b32_e32 v4, s0
	s_add_i32 s8, s8, -1
	s_add_i32 s0, s0, 4
	s_cmp_lg_u32 s8, 0
	ds_load_b32 v4, v4
	s_waitcnt lgkmcnt(0)
	v_cmp_gt_i32_e32 vcc_lo, v5, v4
	v_add_co_ci_u32_e32 v3, vcc_lo, 0, v3, vcc_lo
	s_cbranch_scc1 .LBB54_127
	s_branch .LBB54_120
.LBB54_128:
	s_nop 0
	s_sendmsg sendmsg(MSG_DEALLOC_VGPRS)
	s_endpgm
	.section	.rodata,"a",@progbits
	.p2align	6, 0x0
	.amdhsa_kernel _ZN9rocsparseL26csrgemm_fill_block_per_rowILj1024ELj32ELj2048ELj137ELj32Eii21rocsparse_complex_numIfEEEvT5_PKS3_S5_NS_24const_host_device_scalarIT6_EEPKT4_S5_PKS7_SB_S5_SD_S8_SB_S5_SD_SB_PS3_PS7_21rocsparse_index_base_SG_SG_SG_bbb
		.amdhsa_group_segment_fixed_size 0
		.amdhsa_private_segment_fixed_size 0
		.amdhsa_kernarg_size 156
		.amdhsa_user_sgpr_count 15
		.amdhsa_user_sgpr_dispatch_ptr 0
		.amdhsa_user_sgpr_queue_ptr 0
		.amdhsa_user_sgpr_kernarg_segment_ptr 1
		.amdhsa_user_sgpr_dispatch_id 0
		.amdhsa_user_sgpr_private_segment_size 0
		.amdhsa_wavefront_size32 1
		.amdhsa_uses_dynamic_stack 0
		.amdhsa_enable_private_segment 0
		.amdhsa_system_sgpr_workgroup_id_x 1
		.amdhsa_system_sgpr_workgroup_id_y 0
		.amdhsa_system_sgpr_workgroup_id_z 0
		.amdhsa_system_sgpr_workgroup_info 0
		.amdhsa_system_vgpr_workitem_id 0
		.amdhsa_next_free_vgpr 17
		.amdhsa_next_free_sgpr 50
		.amdhsa_reserve_vcc 1
		.amdhsa_float_round_mode_32 0
		.amdhsa_float_round_mode_16_64 0
		.amdhsa_float_denorm_mode_32 3
		.amdhsa_float_denorm_mode_16_64 3
		.amdhsa_dx10_clamp 1
		.amdhsa_ieee_mode 1
		.amdhsa_fp16_overflow 0
		.amdhsa_workgroup_processor_mode 1
		.amdhsa_memory_ordered 1
		.amdhsa_forward_progress 0
		.amdhsa_shared_vgpr_count 0
		.amdhsa_exception_fp_ieee_invalid_op 0
		.amdhsa_exception_fp_denorm_src 0
		.amdhsa_exception_fp_ieee_div_zero 0
		.amdhsa_exception_fp_ieee_overflow 0
		.amdhsa_exception_fp_ieee_underflow 0
		.amdhsa_exception_fp_ieee_inexact 0
		.amdhsa_exception_int_div_zero 0
	.end_amdhsa_kernel
	.section	.text._ZN9rocsparseL26csrgemm_fill_block_per_rowILj1024ELj32ELj2048ELj137ELj32Eii21rocsparse_complex_numIfEEEvT5_PKS3_S5_NS_24const_host_device_scalarIT6_EEPKT4_S5_PKS7_SB_S5_SD_S8_SB_S5_SD_SB_PS3_PS7_21rocsparse_index_base_SG_SG_SG_bbb,"axG",@progbits,_ZN9rocsparseL26csrgemm_fill_block_per_rowILj1024ELj32ELj2048ELj137ELj32Eii21rocsparse_complex_numIfEEEvT5_PKS3_S5_NS_24const_host_device_scalarIT6_EEPKT4_S5_PKS7_SB_S5_SD_S8_SB_S5_SD_SB_PS3_PS7_21rocsparse_index_base_SG_SG_SG_bbb,comdat
.Lfunc_end54:
	.size	_ZN9rocsparseL26csrgemm_fill_block_per_rowILj1024ELj32ELj2048ELj137ELj32Eii21rocsparse_complex_numIfEEEvT5_PKS3_S5_NS_24const_host_device_scalarIT6_EEPKT4_S5_PKS7_SB_S5_SD_S8_SB_S5_SD_SB_PS3_PS7_21rocsparse_index_base_SG_SG_SG_bbb, .Lfunc_end54-_ZN9rocsparseL26csrgemm_fill_block_per_rowILj1024ELj32ELj2048ELj137ELj32Eii21rocsparse_complex_numIfEEEvT5_PKS3_S5_NS_24const_host_device_scalarIT6_EEPKT4_S5_PKS7_SB_S5_SD_S8_SB_S5_SD_SB_PS3_PS7_21rocsparse_index_base_SG_SG_SG_bbb
                                        ; -- End function
	.section	.AMDGPU.csdata,"",@progbits
; Kernel info:
; codeLenInByte = 4180
; NumSgprs: 52
; NumVgprs: 17
; ScratchSize: 0
; MemoryBound: 0
; FloatMode: 240
; IeeeMode: 1
; LDSByteSize: 0 bytes/workgroup (compile time only)
; SGPRBlocks: 6
; VGPRBlocks: 2
; NumSGPRsForWavesPerEU: 52
; NumVGPRsForWavesPerEU: 17
; Occupancy: 16
; WaveLimiterHint : 1
; COMPUTE_PGM_RSRC2:SCRATCH_EN: 0
; COMPUTE_PGM_RSRC2:USER_SGPR: 15
; COMPUTE_PGM_RSRC2:TRAP_HANDLER: 0
; COMPUTE_PGM_RSRC2:TGID_X_EN: 1
; COMPUTE_PGM_RSRC2:TGID_Y_EN: 0
; COMPUTE_PGM_RSRC2:TGID_Z_EN: 0
; COMPUTE_PGM_RSRC2:TIDIG_COMP_CNT: 0
	.section	.text._ZN9rocsparseL26csrgemm_fill_block_per_rowILj1024ELj32ELj2048ELj137ELj64Eii21rocsparse_complex_numIfEEEvT5_PKS3_S5_NS_24const_host_device_scalarIT6_EEPKT4_S5_PKS7_SB_S5_SD_S8_SB_S5_SD_SB_PS3_PS7_21rocsparse_index_base_SG_SG_SG_bbb,"axG",@progbits,_ZN9rocsparseL26csrgemm_fill_block_per_rowILj1024ELj32ELj2048ELj137ELj64Eii21rocsparse_complex_numIfEEEvT5_PKS3_S5_NS_24const_host_device_scalarIT6_EEPKT4_S5_PKS7_SB_S5_SD_S8_SB_S5_SD_SB_PS3_PS7_21rocsparse_index_base_SG_SG_SG_bbb,comdat
	.globl	_ZN9rocsparseL26csrgemm_fill_block_per_rowILj1024ELj32ELj2048ELj137ELj64Eii21rocsparse_complex_numIfEEEvT5_PKS3_S5_NS_24const_host_device_scalarIT6_EEPKT4_S5_PKS7_SB_S5_SD_S8_SB_S5_SD_SB_PS3_PS7_21rocsparse_index_base_SG_SG_SG_bbb ; -- Begin function _ZN9rocsparseL26csrgemm_fill_block_per_rowILj1024ELj32ELj2048ELj137ELj64Eii21rocsparse_complex_numIfEEEvT5_PKS3_S5_NS_24const_host_device_scalarIT6_EEPKT4_S5_PKS7_SB_S5_SD_S8_SB_S5_SD_SB_PS3_PS7_21rocsparse_index_base_SG_SG_SG_bbb
	.p2align	8
	.type	_ZN9rocsparseL26csrgemm_fill_block_per_rowILj1024ELj32ELj2048ELj137ELj64Eii21rocsparse_complex_numIfEEEvT5_PKS3_S5_NS_24const_host_device_scalarIT6_EEPKT4_S5_PKS7_SB_S5_SD_S8_SB_S5_SD_SB_PS3_PS7_21rocsparse_index_base_SG_SG_SG_bbb,@function
_ZN9rocsparseL26csrgemm_fill_block_per_rowILj1024ELj32ELj2048ELj137ELj64Eii21rocsparse_complex_numIfEEEvT5_PKS3_S5_NS_24const_host_device_scalarIT6_EEPKT4_S5_PKS7_SB_S5_SD_S8_SB_S5_SD_SB_PS3_PS7_21rocsparse_index_base_SG_SG_SG_bbb: ; @_ZN9rocsparseL26csrgemm_fill_block_per_rowILj1024ELj32ELj2048ELj137ELj64Eii21rocsparse_complex_numIfEEEvT5_PKS3_S5_NS_24const_host_device_scalarIT6_EEPKT4_S5_PKS7_SB_S5_SD_S8_SB_S5_SD_SB_PS3_PS7_21rocsparse_index_base_SG_SG_SG_bbb
; %bb.0:
	s_clause 0x6
	s_load_b32 s12, s[0:1], 0x98
	s_load_b256 s[16:23], s[0:1], 0x60
	s_load_b256 s[4:11], s[0:1], 0x40
	s_load_b128 s[40:43], s[0:1], 0x8
	s_load_b256 s[24:31], s[0:1], 0x20
	s_load_b64 s[34:35], s[0:1], 0x80
	s_load_b128 s[36:39], s[0:1], 0x88
	s_mov_b32 s3, 0
	s_mov_b32 s13, 0
	s_waitcnt lgkmcnt(0)
	s_bitcmp1_b32 s12, 0
	s_cselect_b32 s44, -1, 0
	s_bitcmp1_b32 s12, 16
	s_cselect_b32 s2, -1, 0
	s_delay_alu instid0(SALU_CYCLE_1) | instskip(SKIP_2) | instid1(VALU_DEP_1)
	s_xor_b32 s14, s2, -1
	s_bitcmp0_b32 s12, 0
	v_cndmask_b32_e64 v1, 0, 1, s14
	v_cmp_ne_u32_e32 vcc_lo, 1, v1
	s_cbranch_scc1 .LBB55_5
; %bb.1:
	s_load_b64 s[2:3], s[0:1], 0x18
	s_and_b32 vcc_lo, exec_lo, vcc_lo
	s_waitcnt lgkmcnt(0)
	s_mov_b32 s13, s2
	s_cbranch_vccnz .LBB55_3
; %bb.2:
	s_load_b32 s13, s[2:3], 0x0
.LBB55_3:
	s_and_not1_b32 vcc_lo, exec_lo, s14
	s_cbranch_vccnz .LBB55_5
; %bb.4:
	s_load_b32 s3, s[2:3], 0x4
.LBB55_5:
	s_bitcmp1_b32 s12, 8
	s_cselect_b32 s14, -1, 0
	s_bfe_u32 s2, s12, 0x10008
	s_mov_b32 s12, 0
	s_cmp_eq_u32 s2, 0
	s_mov_b32 s2, 0
	s_cbranch_scc1 .LBB55_11
; %bb.6:
	v_cmp_ne_u32_e32 vcc_lo, 1, v1
	s_mov_b32 s2, s8
	s_cbranch_vccnz .LBB55_8
; %bb.7:
	s_load_b32 s2, s[8:9], 0x0
.LBB55_8:
	v_cmp_ne_u32_e32 vcc_lo, 1, v1
	s_cbranch_vccnz .LBB55_10
; %bb.9:
	s_load_b32 s9, s[8:9], 0x4
.LBB55_10:
	s_waitcnt lgkmcnt(0)
	s_mov_b32 s12, s9
.LBB55_11:
	s_load_b32 s33, s[0:1], 0x0
	v_lshl_add_u32 v5, v0, 2, 0
	v_lshlrev_b32_e32 v1, 3, v0
	v_or_b32_e32 v6, 0xfffffc00, v0
	s_mov_b32 s0, 0
	s_delay_alu instid0(VALU_DEP_3) | instskip(NEXT) | instid1(VALU_DEP_3)
	v_mov_b32_e32 v2, v5
	v_add3_u32 v7, v1, 0, 0x2000
	v_mov_b32_e32 v1, 0
	s_delay_alu instid0(VALU_DEP_2)
	v_dual_mov_b32 v3, v6 :: v_dual_mov_b32 v8, v7
	s_waitcnt lgkmcnt(0)
	v_mov_b32_e32 v4, s33
.LBB55_12:                              ; =>This Inner Loop Header: Depth=1
	s_delay_alu instid0(VALU_DEP_2) | instskip(NEXT) | instid1(VALU_DEP_1)
	v_add_co_u32 v3, s1, 0x400, v3
	s_xor_b32 s1, s1, -1
	ds_store_b32 v2, v4
	ds_store_2addr_b32 v8, v1, v1 offset1:1
	v_add_nc_u32_e32 v8, 0x2000, v8
	v_add_nc_u32_e32 v2, 0x1000, v2
	s_and_b32 s1, exec_lo, s1
	s_delay_alu instid0(SALU_CYCLE_1) | instskip(NEXT) | instid1(SALU_CYCLE_1)
	s_or_b32 s0, s1, s0
	s_and_not1_b32 exec_lo, exec_lo, s0
	s_cbranch_execnz .LBB55_12
; %bb.13:
	s_or_b32 exec_lo, exec_lo, s0
	s_waitcnt lgkmcnt(0)
	s_barrier
	buffer_gl0_inv
	s_load_b32 s0, s[40:41], 0x0
	s_mov_b32 s1, 0
	s_waitcnt lgkmcnt(0)
	s_add_i32 s0, s0, s15
	s_delay_alu instid0(SALU_CYCLE_1) | instskip(NEXT) | instid1(SALU_CYCLE_1)
	s_lshl_b64 s[0:1], s[0:1], 2
	s_add_u32 s0, s42, s0
	s_addc_u32 s1, s43, s1
	s_and_b32 vcc_lo, exec_lo, s44
	s_load_b32 s40, s[0:1], 0x0
	s_cbranch_vccz .LBB55_33
; %bb.14:
	s_waitcnt lgkmcnt(0)
	s_ashr_i32 s41, s40, 31
	v_lshrrev_b32_e32 v1, 5, v0
	s_lshl_b64 s[0:1], s[40:41], 2
	s_delay_alu instid0(SALU_CYCLE_1) | instskip(SKIP_1) | instid1(VALU_DEP_1)
	s_add_u32 s0, s24, s0
	s_addc_u32 s1, s25, s1
	v_subrev_nc_u32_e32 v1, s36, v1
	s_load_b64 s[0:1], s[0:1], 0x0
	s_waitcnt lgkmcnt(0)
	s_delay_alu instid0(VALU_DEP_1) | instskip(SKIP_2) | instid1(VALU_DEP_1)
	v_add_nc_u32_e32 v1, s0, v1
	s_sub_i32 s0, s1, s36
	s_mov_b32 s1, exec_lo
	v_cmpx_gt_i32_e64 s0, v1
	s_cbranch_execz .LBB55_32
; %bb.15:
	v_and_b32_e32 v2, 31, v0
	s_mov_b32 s8, 0
	s_delay_alu instid0(VALU_DEP_1)
	v_subrev_nc_u32_e32 v8, s37, v2
	s_branch .LBB55_17
.LBB55_16:                              ;   in Loop: Header=BB55_17 Depth=1
	s_or_b32 exec_lo, exec_lo, s9
	v_add_nc_u32_e32 v1, 32, v1
	s_delay_alu instid0(VALU_DEP_1) | instskip(SKIP_1) | instid1(SALU_CYCLE_1)
	v_cmp_le_i32_e32 vcc_lo, s0, v1
	s_or_b32 s8, vcc_lo, s8
	s_and_not1_b32 exec_lo, exec_lo, s8
	s_cbranch_execz .LBB55_32
.LBB55_17:                              ; =>This Loop Header: Depth=1
                                        ;     Child Loop BB55_20 Depth 2
                                        ;       Child Loop BB55_22 Depth 3
	v_ashrrev_i32_e32 v2, 31, v1
	s_mov_b32 s9, exec_lo
	s_delay_alu instid0(VALU_DEP_1) | instskip(NEXT) | instid1(VALU_DEP_1)
	v_lshlrev_b64 v[3:4], 2, v[1:2]
	v_add_co_u32 v3, vcc_lo, s26, v3
	s_delay_alu instid0(VALU_DEP_2) | instskip(SKIP_3) | instid1(VALU_DEP_1)
	v_add_co_ci_u32_e32 v4, vcc_lo, s27, v4, vcc_lo
	global_load_b32 v3, v[3:4], off
	s_waitcnt vmcnt(0)
	v_subrev_nc_u32_e32 v3, s36, v3
	v_ashrrev_i32_e32 v4, 31, v3
	s_delay_alu instid0(VALU_DEP_1) | instskip(NEXT) | instid1(VALU_DEP_1)
	v_lshlrev_b64 v[3:4], 2, v[3:4]
	v_add_co_u32 v3, vcc_lo, s30, v3
	s_delay_alu instid0(VALU_DEP_2) | instskip(SKIP_4) | instid1(VALU_DEP_1)
	v_add_co_ci_u32_e32 v4, vcc_lo, s31, v4, vcc_lo
	global_load_b64 v[3:4], v[3:4], off
	s_waitcnt vmcnt(0)
	v_subrev_nc_u32_e32 v9, s37, v4
	v_add_nc_u32_e32 v3, v3, v8
	v_cmpx_lt_i32_e64 v3, v9
	s_cbranch_execz .LBB55_16
; %bb.18:                               ;   in Loop: Header=BB55_17 Depth=1
	v_lshlrev_b64 v[10:11], 3, v[1:2]
	s_mov_b32 s15, 0
	s_delay_alu instid0(VALU_DEP_1) | instskip(NEXT) | instid1(VALU_DEP_2)
	v_add_co_u32 v10, vcc_lo, s28, v10
	v_add_co_ci_u32_e32 v11, vcc_lo, s29, v11, vcc_lo
	global_load_b64 v[11:12], v[10:11], off
	s_waitcnt vmcnt(0)
	v_mul_f32_e64 v2, v12, -s3
	v_mul_f32_e32 v10, s13, v12
	s_delay_alu instid0(VALU_DEP_2) | instskip(NEXT) | instid1(VALU_DEP_2)
	v_fmac_f32_e32 v2, s13, v11
	v_fmac_f32_e32 v10, s3, v11
	s_branch .LBB55_20
.LBB55_19:                              ;   in Loop: Header=BB55_20 Depth=2
	s_or_b32 exec_lo, exec_lo, s24
	v_add_nc_u32_e32 v3, 32, v3
	s_delay_alu instid0(VALU_DEP_1) | instskip(SKIP_1) | instid1(SALU_CYCLE_1)
	v_cmp_ge_i32_e32 vcc_lo, v3, v9
	s_or_b32 s15, vcc_lo, s15
	s_and_not1_b32 exec_lo, exec_lo, s15
	s_cbranch_execz .LBB55_16
.LBB55_20:                              ;   Parent Loop BB55_17 Depth=1
                                        ; =>  This Loop Header: Depth=2
                                        ;       Child Loop BB55_22 Depth 3
	v_ashrrev_i32_e32 v4, 31, v3
	s_mov_b32 s24, 0
	s_delay_alu instid0(VALU_DEP_1) | instskip(SKIP_1) | instid1(VALU_DEP_2)
	v_lshlrev_b64 v[11:12], 2, v[3:4]
	v_lshlrev_b64 v[13:14], 3, v[3:4]
	v_add_co_u32 v11, vcc_lo, s4, v11
	s_delay_alu instid0(VALU_DEP_3)
	v_add_co_ci_u32_e32 v12, vcc_lo, s5, v12, vcc_lo
	global_load_b32 v4, v[11:12], off
	v_add_co_u32 v11, vcc_lo, s6, v13
	v_add_co_ci_u32_e32 v12, vcc_lo, s7, v14, vcc_lo
	global_load_b64 v[13:14], v[11:12], off
	s_waitcnt vmcnt(1)
	v_subrev_nc_u32_e32 v4, s37, v4
	s_delay_alu instid0(VALU_DEP_1) | instskip(SKIP_3) | instid1(VALU_DEP_2)
	v_mul_lo_u32 v15, 0x89, v4
	s_waitcnt vmcnt(0)
	v_mul_f32_e64 v11, v14, -v10
	v_mul_f32_e32 v12, v2, v14
	v_fmac_f32_e32 v11, v2, v13
	s_delay_alu instid0(VALU_DEP_2)
	v_dual_fmac_f32 v12, v10, v13 :: v_dual_and_b32 v13, 0x7ff, v15
	s_branch .LBB55_22
.LBB55_21:                              ;   in Loop: Header=BB55_22 Depth=3
	s_or_b32 exec_lo, exec_lo, s25
	s_xor_b32 s25, s41, -1
	s_delay_alu instid0(SALU_CYCLE_1) | instskip(NEXT) | instid1(SALU_CYCLE_1)
	s_and_b32 s25, exec_lo, s25
	s_or_b32 s24, s25, s24
	s_delay_alu instid0(SALU_CYCLE_1)
	s_and_not1_b32 exec_lo, exec_lo, s24
	s_cbranch_execz .LBB55_19
.LBB55_22:                              ;   Parent Loop BB55_17 Depth=1
                                        ;     Parent Loop BB55_20 Depth=2
                                        ; =>    This Inner Loop Header: Depth=3
	s_delay_alu instid0(VALU_DEP_1)
	v_lshl_add_u32 v14, v13, 2, 0
	s_mov_b32 s25, exec_lo
                                        ; implicit-def: $sgpr41
	ds_load_b32 v15, v14
	s_waitcnt lgkmcnt(0)
	v_cmpx_ne_u32_e64 v15, v4
	s_xor_b32 s25, exec_lo, s25
	s_cbranch_execz .LBB55_30
; %bb.23:                               ;   in Loop: Header=BB55_22 Depth=3
	s_mov_b32 s42, exec_lo
                                        ; implicit-def: $sgpr41
	v_cmpx_ne_u32_e64 s33, v15
	s_xor_b32 s42, exec_lo, s42
; %bb.24:                               ;   in Loop: Header=BB55_22 Depth=3
	v_add_nc_u32_e32 v13, 1, v13
	s_mov_b32 s41, -1
                                        ; implicit-def: $vgpr14
	s_delay_alu instid0(VALU_DEP_1)
	v_and_b32_e32 v13, 0x7ff, v13
; %bb.25:                               ;   in Loop: Header=BB55_22 Depth=3
	s_and_not1_saveexec_b32 s42, s42
	s_cbranch_execz .LBB55_29
; %bb.26:                               ;   in Loop: Header=BB55_22 Depth=3
	v_mov_b32_e32 v15, s33
	s_mov_b32 s43, -1
	s_mov_b32 s44, exec_lo
	ds_cmpstore_rtn_b32 v15, v14, v4, v15
	s_waitcnt lgkmcnt(0)
	v_cmpx_eq_u32_e64 s33, v15
	s_cbranch_execz .LBB55_28
; %bb.27:                               ;   in Loop: Header=BB55_22 Depth=3
	v_lshl_add_u32 v14, v13, 2, v14
	s_xor_b32 s43, exec_lo, -1
	ds_add_f32 v14, v11 offset:8192
	ds_add_f32 v14, v12 offset:8196
.LBB55_28:                              ;   in Loop: Header=BB55_22 Depth=3
	s_or_b32 exec_lo, exec_lo, s44
	s_delay_alu instid0(SALU_CYCLE_1) | instskip(SKIP_1) | instid1(SALU_CYCLE_1)
	s_and_not1_b32 s41, s41, exec_lo
	s_and_b32 s43, s43, exec_lo
	s_or_b32 s41, s41, s43
.LBB55_29:                              ;   in Loop: Header=BB55_22 Depth=3
	s_or_b32 exec_lo, exec_lo, s42
	s_delay_alu instid0(SALU_CYCLE_1)
	s_and_b32 s41, s41, exec_lo
                                        ; implicit-def: $vgpr14
.LBB55_30:                              ;   in Loop: Header=BB55_22 Depth=3
	s_and_not1_saveexec_b32 s25, s25
	s_cbranch_execz .LBB55_21
; %bb.31:                               ;   in Loop: Header=BB55_22 Depth=3
	v_lshl_add_u32 v14, v13, 2, v14
	s_and_not1_b32 s41, s41, exec_lo
	ds_add_f32 v14, v11 offset:8192
	ds_add_f32 v14, v12 offset:8196
	s_branch .LBB55_21
.LBB55_32:
	s_or_b32 exec_lo, exec_lo, s1
.LBB55_33:
	s_delay_alu instid0(SALU_CYCLE_1)
	s_and_not1_b32 vcc_lo, exec_lo, s14
	s_cbranch_vccnz .LBB55_50
; %bb.34:
	s_waitcnt lgkmcnt(0)
	s_ashr_i32 s41, s40, 31
	v_subrev_nc_u32_e32 v1, s39, v0
	s_lshl_b64 s[0:1], s[40:41], 2
	s_delay_alu instid0(SALU_CYCLE_1)
	s_add_u32 s0, s10, s0
	s_addc_u32 s1, s11, s1
	s_load_b64 s[0:1], s[0:1], 0x0
	s_waitcnt lgkmcnt(0)
	v_add_nc_u32_e32 v1, s0, v1
	s_sub_i32 s0, s1, s39
	s_mov_b32 s1, exec_lo
	s_delay_alu instid0(VALU_DEP_1)
	v_cmpx_gt_i32_e64 s0, v1
	s_cbranch_execz .LBB55_49
; %bb.35:
	s_mov_b32 s3, 0
	s_branch .LBB55_37
.LBB55_36:                              ;   in Loop: Header=BB55_37 Depth=1
	s_or_b32 exec_lo, exec_lo, s4
	v_add_nc_u32_e32 v1, 0x400, v1
	s_delay_alu instid0(VALU_DEP_1) | instskip(SKIP_1) | instid1(SALU_CYCLE_1)
	v_cmp_le_i32_e32 vcc_lo, s0, v1
	s_or_b32 s3, vcc_lo, s3
	s_and_not1_b32 exec_lo, exec_lo, s3
	s_cbranch_execz .LBB55_49
.LBB55_37:                              ; =>This Loop Header: Depth=1
                                        ;     Child Loop BB55_39 Depth 2
	v_ashrrev_i32_e32 v2, 31, v1
	s_mov_b32 s4, 0
	s_delay_alu instid0(VALU_DEP_1) | instskip(SKIP_1) | instid1(VALU_DEP_2)
	v_lshlrev_b64 v[3:4], 2, v[1:2]
	v_lshlrev_b64 v[8:9], 3, v[1:2]
	v_add_co_u32 v3, vcc_lo, s16, v3
	s_delay_alu instid0(VALU_DEP_3) | instskip(NEXT) | instid1(VALU_DEP_3)
	v_add_co_ci_u32_e32 v4, vcc_lo, s17, v4, vcc_lo
	v_add_co_u32 v2, vcc_lo, s18, v8
	global_load_b32 v4, v[3:4], off
	v_add_co_ci_u32_e32 v3, vcc_lo, s19, v9, vcc_lo
	global_load_b64 v[8:9], v[2:3], off
	s_waitcnt vmcnt(1)
	v_subrev_nc_u32_e32 v2, s39, v4
	s_delay_alu instid0(VALU_DEP_1) | instskip(SKIP_2) | instid1(VALU_DEP_1)
	v_mul_lo_u32 v10, 0x89, v2
	s_waitcnt vmcnt(0)
	v_mul_f32_e64 v3, v9, -s12
	v_dual_mul_f32 v4, s2, v9 :: v_dual_fmac_f32 v3, s2, v8
	s_delay_alu instid0(VALU_DEP_1) | instskip(NEXT) | instid1(VALU_DEP_4)
	v_fmac_f32_e32 v4, s12, v8
	v_and_b32_e32 v8, 0x7ff, v10
	s_branch .LBB55_39
.LBB55_38:                              ;   in Loop: Header=BB55_39 Depth=2
	s_or_b32 exec_lo, exec_lo, s5
	s_xor_b32 s5, s6, -1
	s_delay_alu instid0(SALU_CYCLE_1) | instskip(NEXT) | instid1(SALU_CYCLE_1)
	s_and_b32 s5, exec_lo, s5
	s_or_b32 s4, s5, s4
	s_delay_alu instid0(SALU_CYCLE_1)
	s_and_not1_b32 exec_lo, exec_lo, s4
	s_cbranch_execz .LBB55_36
.LBB55_39:                              ;   Parent Loop BB55_37 Depth=1
                                        ; =>  This Inner Loop Header: Depth=2
	s_delay_alu instid0(VALU_DEP_1)
	v_lshl_add_u32 v9, v8, 2, 0
	s_mov_b32 s5, exec_lo
                                        ; implicit-def: $sgpr6
	ds_load_b32 v10, v9
	s_waitcnt lgkmcnt(0)
	v_cmpx_ne_u32_e64 v10, v2
	s_xor_b32 s5, exec_lo, s5
	s_cbranch_execz .LBB55_47
; %bb.40:                               ;   in Loop: Header=BB55_39 Depth=2
	s_mov_b32 s7, exec_lo
                                        ; implicit-def: $sgpr6
	v_cmpx_ne_u32_e64 s33, v10
	s_xor_b32 s7, exec_lo, s7
; %bb.41:                               ;   in Loop: Header=BB55_39 Depth=2
	v_add_nc_u32_e32 v8, 1, v8
	s_mov_b32 s6, -1
                                        ; implicit-def: $vgpr9
	s_delay_alu instid0(VALU_DEP_1)
	v_and_b32_e32 v8, 0x7ff, v8
; %bb.42:                               ;   in Loop: Header=BB55_39 Depth=2
	s_and_not1_saveexec_b32 s7, s7
	s_cbranch_execz .LBB55_46
; %bb.43:                               ;   in Loop: Header=BB55_39 Depth=2
	v_mov_b32_e32 v10, s33
	s_mov_b32 s8, -1
	s_mov_b32 s9, exec_lo
	ds_cmpstore_rtn_b32 v10, v9, v2, v10
	s_waitcnt lgkmcnt(0)
	v_cmpx_eq_u32_e64 s33, v10
	s_cbranch_execz .LBB55_45
; %bb.44:                               ;   in Loop: Header=BB55_39 Depth=2
	v_lshl_add_u32 v9, v8, 2, v9
	s_xor_b32 s8, exec_lo, -1
	ds_add_f32 v9, v3 offset:8192
	ds_add_f32 v9, v4 offset:8196
.LBB55_45:                              ;   in Loop: Header=BB55_39 Depth=2
	s_or_b32 exec_lo, exec_lo, s9
	s_delay_alu instid0(SALU_CYCLE_1) | instskip(SKIP_1) | instid1(SALU_CYCLE_1)
	s_and_not1_b32 s6, s6, exec_lo
	s_and_b32 s8, s8, exec_lo
	s_or_b32 s6, s6, s8
.LBB55_46:                              ;   in Loop: Header=BB55_39 Depth=2
	s_or_b32 exec_lo, exec_lo, s7
	s_delay_alu instid0(SALU_CYCLE_1)
	s_and_b32 s6, s6, exec_lo
                                        ; implicit-def: $vgpr9
.LBB55_47:                              ;   in Loop: Header=BB55_39 Depth=2
	s_and_not1_saveexec_b32 s5, s5
	s_cbranch_execz .LBB55_38
; %bb.48:                               ;   in Loop: Header=BB55_39 Depth=2
	v_lshl_add_u32 v9, v8, 2, v9
	s_and_not1_b32 s6, s6, exec_lo
	ds_add_f32 v9, v3 offset:8192
	ds_add_f32 v9, v4 offset:8196
	s_branch .LBB55_38
.LBB55_49:
	s_or_b32 exec_lo, exec_lo, s1
.LBB55_50:
	v_mbcnt_lo_u32_b32 v1, -1, 0
	v_lshrrev_b32_e32 v2, 4, v0
	v_cmp_eq_u32_e32 vcc_lo, 0x3ff, v0
	v_cmp_lt_u32_e64 s0, 63, v0
	v_cmp_lt_u32_e64 s1, 0x7f, v0
	v_xor_b32_e32 v1, 63, v1
	v_dual_mov_b32 v8, 0 :: v_dual_and_b32 v3, 60, v2
	v_cmp_lt_u32_e64 s2, 0xbf, v0
	v_cmp_lt_u32_e64 s3, 0xff, v0
	s_delay_alu instid0(VALU_DEP_4) | instskip(NEXT) | instid1(VALU_DEP_4)
	v_lshrrev_b64 v[1:2], v1, -1
	v_dual_mov_b32 v9, 0 :: v_dual_add_nc_u32 v4, 0, v3
	v_cmp_lt_u32_e64 s4, 0x13f, v0
	v_cmp_lt_u32_e64 s5, 0x17f, v0
	;; [unrolled: 1-line block ×11, first 2 shown]
	s_mov_b32 s16, 0
	s_waitcnt lgkmcnt(0)
	s_barrier
	buffer_gl0_inv
	s_branch .LBB55_52
.LBB55_51:                              ;   in Loop: Header=BB55_52 Depth=1
	s_or_b32 exec_lo, exec_lo, s15
	s_waitcnt lgkmcnt(0)
	s_barrier
	buffer_gl0_inv
	ds_load_b32 v2, v8 offset:24636
	v_add_co_u32 v6, s15, 0x400, v6
	s_delay_alu instid0(VALU_DEP_1) | instskip(SKIP_3) | instid1(SALU_CYCLE_1)
	s_xor_b32 s15, s15, -1
	v_add_nc_u32_e32 v7, 0x2000, v7
	v_add_nc_u32_e32 v5, 0x1000, v5
	s_and_b32 s15, exec_lo, s15
	s_or_b32 s16, s15, s16
	s_waitcnt lgkmcnt(0)
	v_add_nc_u32_e32 v9, v2, v9
	s_and_not1_b32 exec_lo, exec_lo, s16
	s_cbranch_execz .LBB55_86
.LBB55_52:                              ; =>This Inner Loop Header: Depth=1
	ds_load_b32 v10, v5
	ds_load_2addr_b32 v[2:3], v7 offset1:1
	s_waitcnt lgkmcnt(0)
	s_barrier
	buffer_gl0_inv
	v_cmp_gt_i32_e64 s15, s33, v10
	s_delay_alu instid0(VALU_DEP_1) | instskip(NEXT) | instid1(SALU_CYCLE_1)
	s_bcnt1_i32_b32 s17, s15
	v_dual_mov_b32 v12, s17 :: v_dual_and_b32 v11, s15, v1
	s_delay_alu instid0(VALU_DEP_1)
	v_bcnt_u32_b32 v11, v11, 0
	ds_store_b32 v4, v12 offset:24576
	s_waitcnt lgkmcnt(0)
	s_barrier
	buffer_gl0_inv
	s_and_saveexec_b32 s17, s0
	s_cbranch_execnz .LBB55_69
; %bb.53:                               ;   in Loop: Header=BB55_52 Depth=1
	s_or_b32 exec_lo, exec_lo, s17
	s_and_saveexec_b32 s17, s1
	s_cbranch_execnz .LBB55_70
.LBB55_54:                              ;   in Loop: Header=BB55_52 Depth=1
	s_or_b32 exec_lo, exec_lo, s17
	s_and_saveexec_b32 s17, s2
	s_cbranch_execnz .LBB55_71
.LBB55_55:                              ;   in Loop: Header=BB55_52 Depth=1
	s_or_b32 exec_lo, exec_lo, s17
	s_and_saveexec_b32 s17, s3
	s_cbranch_execnz .LBB55_72
.LBB55_56:                              ;   in Loop: Header=BB55_52 Depth=1
	s_or_b32 exec_lo, exec_lo, s17
	s_and_saveexec_b32 s17, s4
	s_cbranch_execnz .LBB55_73
.LBB55_57:                              ;   in Loop: Header=BB55_52 Depth=1
	s_or_b32 exec_lo, exec_lo, s17
	s_and_saveexec_b32 s17, s5
	s_cbranch_execnz .LBB55_74
.LBB55_58:                              ;   in Loop: Header=BB55_52 Depth=1
	s_or_b32 exec_lo, exec_lo, s17
	s_and_saveexec_b32 s17, s6
	s_cbranch_execnz .LBB55_75
.LBB55_59:                              ;   in Loop: Header=BB55_52 Depth=1
	s_or_b32 exec_lo, exec_lo, s17
	s_and_saveexec_b32 s17, s7
	s_cbranch_execnz .LBB55_76
.LBB55_60:                              ;   in Loop: Header=BB55_52 Depth=1
	s_or_b32 exec_lo, exec_lo, s17
	s_and_saveexec_b32 s17, s8
	s_cbranch_execnz .LBB55_77
.LBB55_61:                              ;   in Loop: Header=BB55_52 Depth=1
	s_or_b32 exec_lo, exec_lo, s17
	s_and_saveexec_b32 s17, s9
	s_cbranch_execnz .LBB55_78
.LBB55_62:                              ;   in Loop: Header=BB55_52 Depth=1
	s_or_b32 exec_lo, exec_lo, s17
	s_and_saveexec_b32 s17, s10
	s_cbranch_execnz .LBB55_79
.LBB55_63:                              ;   in Loop: Header=BB55_52 Depth=1
	s_or_b32 exec_lo, exec_lo, s17
	s_and_saveexec_b32 s17, s11
	s_cbranch_execnz .LBB55_80
.LBB55_64:                              ;   in Loop: Header=BB55_52 Depth=1
	s_or_b32 exec_lo, exec_lo, s17
	s_and_saveexec_b32 s17, s12
	s_cbranch_execnz .LBB55_81
.LBB55_65:                              ;   in Loop: Header=BB55_52 Depth=1
	s_or_b32 exec_lo, exec_lo, s17
	s_and_saveexec_b32 s17, s13
	s_cbranch_execnz .LBB55_82
.LBB55_66:                              ;   in Loop: Header=BB55_52 Depth=1
	s_or_b32 exec_lo, exec_lo, s17
	s_and_saveexec_b32 s17, s14
	s_cbranch_execnz .LBB55_83
.LBB55_67:                              ;   in Loop: Header=BB55_52 Depth=1
	s_or_b32 exec_lo, exec_lo, s17
	s_and_saveexec_b32 s17, s15
	s_cbranch_execnz .LBB55_84
.LBB55_68:                              ;   in Loop: Header=BB55_52 Depth=1
	s_or_b32 exec_lo, exec_lo, s17
	s_and_saveexec_b32 s15, vcc_lo
	s_cbranch_execz .LBB55_51
	s_branch .LBB55_85
.LBB55_69:                              ;   in Loop: Header=BB55_52 Depth=1
	ds_load_b32 v12, v8 offset:24576
	s_waitcnt lgkmcnt(0)
	v_add_nc_u32_e32 v11, v12, v11
	s_or_b32 exec_lo, exec_lo, s17
	s_and_saveexec_b32 s17, s1
	s_cbranch_execz .LBB55_54
.LBB55_70:                              ;   in Loop: Header=BB55_52 Depth=1
	ds_load_b32 v12, v8 offset:24580
	s_waitcnt lgkmcnt(0)
	v_add_nc_u32_e32 v11, v12, v11
	s_or_b32 exec_lo, exec_lo, s17
	s_and_saveexec_b32 s17, s2
	s_cbranch_execz .LBB55_55
.LBB55_71:                              ;   in Loop: Header=BB55_52 Depth=1
	ds_load_b32 v12, v8 offset:24584
	s_waitcnt lgkmcnt(0)
	v_add_nc_u32_e32 v11, v12, v11
	s_or_b32 exec_lo, exec_lo, s17
	s_and_saveexec_b32 s17, s3
	s_cbranch_execz .LBB55_56
.LBB55_72:                              ;   in Loop: Header=BB55_52 Depth=1
	ds_load_b32 v12, v8 offset:24588
	s_waitcnt lgkmcnt(0)
	v_add_nc_u32_e32 v11, v12, v11
	s_or_b32 exec_lo, exec_lo, s17
	s_and_saveexec_b32 s17, s4
	s_cbranch_execz .LBB55_57
.LBB55_73:                              ;   in Loop: Header=BB55_52 Depth=1
	ds_load_b32 v12, v8 offset:24592
	s_waitcnt lgkmcnt(0)
	v_add_nc_u32_e32 v11, v12, v11
	s_or_b32 exec_lo, exec_lo, s17
	s_and_saveexec_b32 s17, s5
	s_cbranch_execz .LBB55_58
.LBB55_74:                              ;   in Loop: Header=BB55_52 Depth=1
	ds_load_b32 v12, v8 offset:24596
	s_waitcnt lgkmcnt(0)
	v_add_nc_u32_e32 v11, v12, v11
	s_or_b32 exec_lo, exec_lo, s17
	s_and_saveexec_b32 s17, s6
	s_cbranch_execz .LBB55_59
.LBB55_75:                              ;   in Loop: Header=BB55_52 Depth=1
	ds_load_b32 v12, v8 offset:24600
	s_waitcnt lgkmcnt(0)
	v_add_nc_u32_e32 v11, v12, v11
	s_or_b32 exec_lo, exec_lo, s17
	s_and_saveexec_b32 s17, s7
	s_cbranch_execz .LBB55_60
.LBB55_76:                              ;   in Loop: Header=BB55_52 Depth=1
	ds_load_b32 v12, v8 offset:24604
	s_waitcnt lgkmcnt(0)
	v_add_nc_u32_e32 v11, v12, v11
	s_or_b32 exec_lo, exec_lo, s17
	s_and_saveexec_b32 s17, s8
	s_cbranch_execz .LBB55_61
.LBB55_77:                              ;   in Loop: Header=BB55_52 Depth=1
	ds_load_b32 v12, v8 offset:24608
	s_waitcnt lgkmcnt(0)
	v_add_nc_u32_e32 v11, v12, v11
	s_or_b32 exec_lo, exec_lo, s17
	s_and_saveexec_b32 s17, s9
	s_cbranch_execz .LBB55_62
.LBB55_78:                              ;   in Loop: Header=BB55_52 Depth=1
	ds_load_b32 v12, v8 offset:24612
	s_waitcnt lgkmcnt(0)
	v_add_nc_u32_e32 v11, v12, v11
	s_or_b32 exec_lo, exec_lo, s17
	s_and_saveexec_b32 s17, s10
	s_cbranch_execz .LBB55_63
.LBB55_79:                              ;   in Loop: Header=BB55_52 Depth=1
	ds_load_b32 v12, v8 offset:24616
	s_waitcnt lgkmcnt(0)
	v_add_nc_u32_e32 v11, v12, v11
	s_or_b32 exec_lo, exec_lo, s17
	s_and_saveexec_b32 s17, s11
	s_cbranch_execz .LBB55_64
.LBB55_80:                              ;   in Loop: Header=BB55_52 Depth=1
	ds_load_b32 v12, v8 offset:24620
	s_waitcnt lgkmcnt(0)
	v_add_nc_u32_e32 v11, v12, v11
	s_or_b32 exec_lo, exec_lo, s17
	s_and_saveexec_b32 s17, s12
	s_cbranch_execz .LBB55_65
.LBB55_81:                              ;   in Loop: Header=BB55_52 Depth=1
	ds_load_b32 v12, v8 offset:24624
	s_waitcnt lgkmcnt(0)
	v_add_nc_u32_e32 v11, v12, v11
	s_or_b32 exec_lo, exec_lo, s17
	s_and_saveexec_b32 s17, s13
	s_cbranch_execz .LBB55_66
.LBB55_82:                              ;   in Loop: Header=BB55_52 Depth=1
	ds_load_b32 v12, v8 offset:24628
	s_waitcnt lgkmcnt(0)
	v_add_nc_u32_e32 v11, v12, v11
	s_or_b32 exec_lo, exec_lo, s17
	s_and_saveexec_b32 s17, s14
	s_cbranch_execz .LBB55_67
.LBB55_83:                              ;   in Loop: Header=BB55_52 Depth=1
	ds_load_b32 v12, v8 offset:24632
	s_waitcnt lgkmcnt(0)
	v_add_nc_u32_e32 v11, v12, v11
	s_or_b32 exec_lo, exec_lo, s17
	s_and_saveexec_b32 s17, s15
	s_cbranch_execz .LBB55_68
.LBB55_84:                              ;   in Loop: Header=BB55_52 Depth=1
	s_delay_alu instid0(VALU_DEP_1) | instskip(NEXT) | instid1(VALU_DEP_1)
	v_add3_u32 v12, v9, -1, v11
	v_lshlrev_b32_e32 v13, 3, v12
	v_lshl_add_u32 v12, v12, 2, 0
	s_delay_alu instid0(VALU_DEP_2)
	v_add3_u32 v13, 0, v13, 0x2000
	ds_store_b32 v12, v10
	ds_store_2addr_b32 v13, v2, v3 offset1:1
	s_or_b32 exec_lo, exec_lo, s17
	s_and_saveexec_b32 s15, vcc_lo
	s_cbranch_execz .LBB55_51
.LBB55_85:                              ;   in Loop: Header=BB55_52 Depth=1
	ds_store_b32 v8, v11 offset:24636
	s_branch .LBB55_51
.LBB55_86:
	s_or_b32 exec_lo, exec_lo, s16
	s_ashr_i32 s41, s40, 31
	s_mov_b32 s3, exec_lo
	s_lshl_b64 s[0:1], s[40:41], 2
	s_delay_alu instid0(SALU_CYCLE_1) | instskip(SKIP_4) | instid1(SALU_CYCLE_1)
	s_add_u32 s0, s20, s0
	s_addc_u32 s1, s21, s1
	s_load_b64 s[0:1], s[0:1], 0x0
	s_waitcnt lgkmcnt(0)
	s_sub_i32 s2, s1, s0
	v_cmpx_gt_i32_e64 s2, v0
	s_cbranch_execz .LBB55_96
; %bb.87:
	s_sub_i32 s3, s0, s38
	s_sub_i32 s0, s0, s1
	s_and_b32 s1, s2, 7
	s_cmp_lt_u32 s0, -7
	s_mov_b32 s7, 0
	s_cselect_b32 s4, -1, 0
	s_and_b32 s5, s2, -8
	s_cmp_lg_u32 s1, 0
	s_cselect_b32 s6, -1, 0
	s_branch .LBB55_89
.LBB55_88:                              ;   in Loop: Header=BB55_89 Depth=1
	s_delay_alu instid0(VALU_DEP_1) | instskip(SKIP_3) | instid1(VALU_DEP_3)
	v_ashrrev_i32_e32 v4, 31, v3
	v_add_nc_u32_e32 v0, 0x400, v0
	s_waitcnt lgkmcnt(1)
	v_add_nc_u32_e32 v8, s38, v5
	v_lshlrev_b64 v[6:7], 2, v[3:4]
	v_lshlrev_b64 v[3:4], 3, v[3:4]
	v_cmp_le_i32_e32 vcc_lo, s2, v0
	s_delay_alu instid0(VALU_DEP_3) | instskip(NEXT) | instid1(VALU_DEP_1)
	v_add_co_u32 v5, s0, s22, v6
	v_add_co_ci_u32_e64 v6, s0, s23, v7, s0
	s_delay_alu instid0(VALU_DEP_4) | instskip(NEXT) | instid1(VALU_DEP_1)
	v_add_co_u32 v3, s0, s34, v3
	v_add_co_ci_u32_e64 v4, s0, s35, v4, s0
	s_or_b32 s7, vcc_lo, s7
	global_store_b32 v[5:6], v8, off
	s_waitcnt lgkmcnt(0)
	global_store_b64 v[3:4], v[1:2], off
	s_and_not1_b32 exec_lo, exec_lo, s7
	s_cbranch_execz .LBB55_96
.LBB55_89:                              ; =>This Loop Header: Depth=1
                                        ;     Child Loop BB55_91 Depth 2
                                        ;     Child Loop BB55_95 Depth 2
	v_lshlrev_b32_e32 v1, 2, v0
	s_and_not1_b32 vcc_lo, exec_lo, s4
	s_mov_b32 s0, 0
	s_delay_alu instid0(VALU_DEP_1) | instskip(NEXT) | instid1(VALU_DEP_1)
	v_dual_mov_b32 v3, s3 :: v_dual_add_nc_u32 v2, 0, v1
	v_add3_u32 v1, v2, v1, 0x2000
	ds_load_b32 v5, v2
	ds_load_2addr_b32 v[1:2], v1 offset1:1
	s_cbranch_vccnz .LBB55_93
; %bb.90:                               ;   in Loop: Header=BB55_89 Depth=1
	v_mov_b32_e32 v3, s3
	s_mov_b32 s8, 0
	s_set_inst_prefetch_distance 0x1
	.p2align	6
.LBB55_91:                              ;   Parent Loop BB55_89 Depth=1
                                        ; =>  This Inner Loop Header: Depth=2
	v_mov_b32_e32 v4, s8
	s_add_i32 s0, s0, 8
	s_add_i32 s8, s8, 32
	s_cmp_eq_u32 s5, s0
	ds_load_2addr_b32 v[6:7], v4 offset1:1
	ds_load_2addr_b32 v[8:9], v4 offset0:2 offset1:3
	ds_load_2addr_b32 v[10:11], v4 offset0:4 offset1:5
	;; [unrolled: 1-line block ×3, first 2 shown]
	s_waitcnt lgkmcnt(3)
	v_cmp_gt_i32_e32 vcc_lo, v5, v6
	v_cndmask_b32_e64 v4, 0, 1, vcc_lo
	s_waitcnt lgkmcnt(2)
	v_cmp_gt_i32_e32 vcc_lo, v5, v8
	v_cndmask_b32_e64 v6, 0, 1, vcc_lo
	v_cmp_gt_i32_e32 vcc_lo, v5, v7
	v_add_co_ci_u32_e32 v3, vcc_lo, v3, v4, vcc_lo
	s_waitcnt lgkmcnt(1)
	v_cmp_gt_i32_e32 vcc_lo, v5, v10
	v_cndmask_b32_e64 v4, 0, 1, vcc_lo
	v_cmp_gt_i32_e32 vcc_lo, v5, v9
	v_add_co_ci_u32_e32 v3, vcc_lo, v3, v6, vcc_lo
	;; [unrolled: 5-line block ×3, first 2 shown]
	v_cmp_gt_i32_e32 vcc_lo, v5, v13
	s_delay_alu instid0(VALU_DEP_2)
	v_add_co_ci_u32_e32 v3, vcc_lo, v3, v6, vcc_lo
	s_cbranch_scc0 .LBB55_91
; %bb.92:                               ;   in Loop: Header=BB55_89 Depth=1
	s_set_inst_prefetch_distance 0x2
	s_mov_b32 s0, s5
.LBB55_93:                              ;   in Loop: Header=BB55_89 Depth=1
	s_and_not1_b32 vcc_lo, exec_lo, s6
	s_cbranch_vccnz .LBB55_88
; %bb.94:                               ;   in Loop: Header=BB55_89 Depth=1
	s_lshl_b32 s0, s0, 2
	s_mov_b32 s8, s1
	s_add_i32 s0, s0, 0
.LBB55_95:                              ;   Parent Loop BB55_89 Depth=1
                                        ; =>  This Inner Loop Header: Depth=2
	s_delay_alu instid0(SALU_CYCLE_1)
	v_mov_b32_e32 v4, s0
	s_add_i32 s8, s8, -1
	s_add_i32 s0, s0, 4
	s_cmp_lg_u32 s8, 0
	ds_load_b32 v4, v4
	s_waitcnt lgkmcnt(0)
	v_cmp_gt_i32_e32 vcc_lo, v5, v4
	v_add_co_ci_u32_e32 v3, vcc_lo, 0, v3, vcc_lo
	s_cbranch_scc1 .LBB55_95
	s_branch .LBB55_88
.LBB55_96:
	s_nop 0
	s_sendmsg sendmsg(MSG_DEALLOC_VGPRS)
	s_endpgm
	.section	.rodata,"a",@progbits
	.p2align	6, 0x0
	.amdhsa_kernel _ZN9rocsparseL26csrgemm_fill_block_per_rowILj1024ELj32ELj2048ELj137ELj64Eii21rocsparse_complex_numIfEEEvT5_PKS3_S5_NS_24const_host_device_scalarIT6_EEPKT4_S5_PKS7_SB_S5_SD_S8_SB_S5_SD_SB_PS3_PS7_21rocsparse_index_base_SG_SG_SG_bbb
		.amdhsa_group_segment_fixed_size 0
		.amdhsa_private_segment_fixed_size 0
		.amdhsa_kernarg_size 156
		.amdhsa_user_sgpr_count 15
		.amdhsa_user_sgpr_dispatch_ptr 0
		.amdhsa_user_sgpr_queue_ptr 0
		.amdhsa_user_sgpr_kernarg_segment_ptr 1
		.amdhsa_user_sgpr_dispatch_id 0
		.amdhsa_user_sgpr_private_segment_size 0
		.amdhsa_wavefront_size32 1
		.amdhsa_uses_dynamic_stack 0
		.amdhsa_enable_private_segment 0
		.amdhsa_system_sgpr_workgroup_id_x 1
		.amdhsa_system_sgpr_workgroup_id_y 0
		.amdhsa_system_sgpr_workgroup_id_z 0
		.amdhsa_system_sgpr_workgroup_info 0
		.amdhsa_system_vgpr_workitem_id 0
		.amdhsa_next_free_vgpr 16
		.amdhsa_next_free_sgpr 45
		.amdhsa_reserve_vcc 1
		.amdhsa_float_round_mode_32 0
		.amdhsa_float_round_mode_16_64 0
		.amdhsa_float_denorm_mode_32 3
		.amdhsa_float_denorm_mode_16_64 3
		.amdhsa_dx10_clamp 1
		.amdhsa_ieee_mode 1
		.amdhsa_fp16_overflow 0
		.amdhsa_workgroup_processor_mode 1
		.amdhsa_memory_ordered 1
		.amdhsa_forward_progress 0
		.amdhsa_shared_vgpr_count 0
		.amdhsa_exception_fp_ieee_invalid_op 0
		.amdhsa_exception_fp_denorm_src 0
		.amdhsa_exception_fp_ieee_div_zero 0
		.amdhsa_exception_fp_ieee_overflow 0
		.amdhsa_exception_fp_ieee_underflow 0
		.amdhsa_exception_fp_ieee_inexact 0
		.amdhsa_exception_int_div_zero 0
	.end_amdhsa_kernel
	.section	.text._ZN9rocsparseL26csrgemm_fill_block_per_rowILj1024ELj32ELj2048ELj137ELj64Eii21rocsparse_complex_numIfEEEvT5_PKS3_S5_NS_24const_host_device_scalarIT6_EEPKT4_S5_PKS7_SB_S5_SD_S8_SB_S5_SD_SB_PS3_PS7_21rocsparse_index_base_SG_SG_SG_bbb,"axG",@progbits,_ZN9rocsparseL26csrgemm_fill_block_per_rowILj1024ELj32ELj2048ELj137ELj64Eii21rocsparse_complex_numIfEEEvT5_PKS3_S5_NS_24const_host_device_scalarIT6_EEPKT4_S5_PKS7_SB_S5_SD_S8_SB_S5_SD_SB_PS3_PS7_21rocsparse_index_base_SG_SG_SG_bbb,comdat
.Lfunc_end55:
	.size	_ZN9rocsparseL26csrgemm_fill_block_per_rowILj1024ELj32ELj2048ELj137ELj64Eii21rocsparse_complex_numIfEEEvT5_PKS3_S5_NS_24const_host_device_scalarIT6_EEPKT4_S5_PKS7_SB_S5_SD_S8_SB_S5_SD_SB_PS3_PS7_21rocsparse_index_base_SG_SG_SG_bbb, .Lfunc_end55-_ZN9rocsparseL26csrgemm_fill_block_per_rowILj1024ELj32ELj2048ELj137ELj64Eii21rocsparse_complex_numIfEEEvT5_PKS3_S5_NS_24const_host_device_scalarIT6_EEPKT4_S5_PKS7_SB_S5_SD_S8_SB_S5_SD_SB_PS3_PS7_21rocsparse_index_base_SG_SG_SG_bbb
                                        ; -- End function
	.section	.AMDGPU.csdata,"",@progbits
; Kernel info:
; codeLenInByte = 3360
; NumSgprs: 47
; NumVgprs: 16
; ScratchSize: 0
; MemoryBound: 0
; FloatMode: 240
; IeeeMode: 1
; LDSByteSize: 0 bytes/workgroup (compile time only)
; SGPRBlocks: 5
; VGPRBlocks: 1
; NumSGPRsForWavesPerEU: 47
; NumVGPRsForWavesPerEU: 16
; Occupancy: 16
; WaveLimiterHint : 1
; COMPUTE_PGM_RSRC2:SCRATCH_EN: 0
; COMPUTE_PGM_RSRC2:USER_SGPR: 15
; COMPUTE_PGM_RSRC2:TRAP_HANDLER: 0
; COMPUTE_PGM_RSRC2:TGID_X_EN: 1
; COMPUTE_PGM_RSRC2:TGID_Y_EN: 0
; COMPUTE_PGM_RSRC2:TGID_Z_EN: 0
; COMPUTE_PGM_RSRC2:TIDIG_COMP_CNT: 0
	.section	.text._ZN9rocsparseL26csrgemm_fill_block_per_rowILj1024ELj64ELj4096ELj137ELj32Eii21rocsparse_complex_numIfEEEvT5_PKS3_S5_NS_24const_host_device_scalarIT6_EEPKT4_S5_PKS7_SB_S5_SD_S8_SB_S5_SD_SB_PS3_PS7_21rocsparse_index_base_SG_SG_SG_bbb,"axG",@progbits,_ZN9rocsparseL26csrgemm_fill_block_per_rowILj1024ELj64ELj4096ELj137ELj32Eii21rocsparse_complex_numIfEEEvT5_PKS3_S5_NS_24const_host_device_scalarIT6_EEPKT4_S5_PKS7_SB_S5_SD_S8_SB_S5_SD_SB_PS3_PS7_21rocsparse_index_base_SG_SG_SG_bbb,comdat
	.globl	_ZN9rocsparseL26csrgemm_fill_block_per_rowILj1024ELj64ELj4096ELj137ELj32Eii21rocsparse_complex_numIfEEEvT5_PKS3_S5_NS_24const_host_device_scalarIT6_EEPKT4_S5_PKS7_SB_S5_SD_S8_SB_S5_SD_SB_PS3_PS7_21rocsparse_index_base_SG_SG_SG_bbb ; -- Begin function _ZN9rocsparseL26csrgemm_fill_block_per_rowILj1024ELj64ELj4096ELj137ELj32Eii21rocsparse_complex_numIfEEEvT5_PKS3_S5_NS_24const_host_device_scalarIT6_EEPKT4_S5_PKS7_SB_S5_SD_S8_SB_S5_SD_SB_PS3_PS7_21rocsparse_index_base_SG_SG_SG_bbb
	.p2align	8
	.type	_ZN9rocsparseL26csrgemm_fill_block_per_rowILj1024ELj64ELj4096ELj137ELj32Eii21rocsparse_complex_numIfEEEvT5_PKS3_S5_NS_24const_host_device_scalarIT6_EEPKT4_S5_PKS7_SB_S5_SD_S8_SB_S5_SD_SB_PS3_PS7_21rocsparse_index_base_SG_SG_SG_bbb,@function
_ZN9rocsparseL26csrgemm_fill_block_per_rowILj1024ELj64ELj4096ELj137ELj32Eii21rocsparse_complex_numIfEEEvT5_PKS3_S5_NS_24const_host_device_scalarIT6_EEPKT4_S5_PKS7_SB_S5_SD_S8_SB_S5_SD_SB_PS3_PS7_21rocsparse_index_base_SG_SG_SG_bbb: ; @_ZN9rocsparseL26csrgemm_fill_block_per_rowILj1024ELj64ELj4096ELj137ELj32Eii21rocsparse_complex_numIfEEEvT5_PKS3_S5_NS_24const_host_device_scalarIT6_EEPKT4_S5_PKS7_SB_S5_SD_S8_SB_S5_SD_SB_PS3_PS7_21rocsparse_index_base_SG_SG_SG_bbb
; %bb.0:
	s_clause 0x6
	s_load_b32 s12, s[0:1], 0x98
	s_load_b256 s[36:43], s[0:1], 0x60
	s_load_b256 s[4:11], s[0:1], 0x40
	s_load_b128 s[24:27], s[0:1], 0x8
	s_load_b256 s[16:23], s[0:1], 0x20
	s_load_b64 s[34:35], s[0:1], 0x80
	s_load_b128 s[44:47], s[0:1], 0x88
	s_mov_b32 s3, 0
	s_mov_b32 s13, 0
	s_waitcnt lgkmcnt(0)
	s_bitcmp1_b32 s12, 0
	s_cselect_b32 s28, -1, 0
	s_bitcmp1_b32 s12, 16
	s_cselect_b32 s2, -1, 0
	s_delay_alu instid0(SALU_CYCLE_1) | instskip(SKIP_2) | instid1(VALU_DEP_1)
	s_xor_b32 s14, s2, -1
	s_bitcmp0_b32 s12, 0
	v_cndmask_b32_e64 v1, 0, 1, s14
	v_cmp_ne_u32_e32 vcc_lo, 1, v1
	s_cbranch_scc1 .LBB56_5
; %bb.1:
	s_load_b64 s[2:3], s[0:1], 0x18
	s_and_b32 vcc_lo, exec_lo, vcc_lo
	s_waitcnt lgkmcnt(0)
	s_mov_b32 s13, s2
	s_cbranch_vccnz .LBB56_3
; %bb.2:
	s_load_b32 s13, s[2:3], 0x0
.LBB56_3:
	s_and_not1_b32 vcc_lo, exec_lo, s14
	s_cbranch_vccnz .LBB56_5
; %bb.4:
	s_load_b32 s3, s[2:3], 0x4
.LBB56_5:
	s_bitcmp1_b32 s12, 8
	s_cselect_b32 s14, -1, 0
	s_bfe_u32 s2, s12, 0x10008
	s_mov_b32 s12, 0
	s_cmp_eq_u32 s2, 0
	s_mov_b32 s2, 0
	s_cbranch_scc1 .LBB56_11
; %bb.6:
	v_cmp_ne_u32_e32 vcc_lo, 1, v1
	s_mov_b32 s2, s8
	s_cbranch_vccnz .LBB56_8
; %bb.7:
	s_load_b32 s2, s[8:9], 0x0
.LBB56_8:
	v_cmp_ne_u32_e32 vcc_lo, 1, v1
	s_cbranch_vccnz .LBB56_10
; %bb.9:
	s_load_b32 s9, s[8:9], 0x4
.LBB56_10:
	s_waitcnt lgkmcnt(0)
	s_mov_b32 s12, s9
.LBB56_11:
	s_load_b32 s33, s[0:1], 0x0
	v_lshl_add_u32 v5, v0, 2, 0
	v_lshlrev_b32_e32 v1, 3, v0
	v_or_b32_e32 v6, 0xfffffc00, v0
	s_mov_b32 s0, 0
	s_delay_alu instid0(VALU_DEP_3) | instskip(NEXT) | instid1(VALU_DEP_3)
	v_mov_b32_e32 v2, v5
	v_add3_u32 v7, v1, 0, 0x4000
	v_mov_b32_e32 v1, 0
	s_delay_alu instid0(VALU_DEP_2)
	v_dual_mov_b32 v3, v6 :: v_dual_mov_b32 v8, v7
	s_waitcnt lgkmcnt(0)
	v_mov_b32_e32 v4, s33
.LBB56_12:                              ; =>This Inner Loop Header: Depth=1
	s_delay_alu instid0(VALU_DEP_2)
	v_add_nc_u32_e32 v3, 0x400, v3
	ds_store_b32 v2, v4
	ds_store_2addr_b32 v8, v1, v1 offset1:1
	v_add_nc_u32_e32 v8, 0x2000, v8
	v_add_nc_u32_e32 v2, 0x1000, v2
	v_cmp_lt_u32_e32 vcc_lo, 0xbff, v3
	s_or_b32 s0, vcc_lo, s0
	s_delay_alu instid0(SALU_CYCLE_1)
	s_and_not1_b32 exec_lo, exec_lo, s0
	s_cbranch_execnz .LBB56_12
; %bb.13:
	s_or_b32 exec_lo, exec_lo, s0
	s_waitcnt lgkmcnt(0)
	s_barrier
	buffer_gl0_inv
	s_load_b32 s0, s[24:25], 0x0
	s_mov_b32 s1, 0
	s_waitcnt lgkmcnt(0)
	s_add_i32 s0, s0, s15
	s_delay_alu instid0(SALU_CYCLE_1) | instskip(NEXT) | instid1(SALU_CYCLE_1)
	s_lshl_b64 s[0:1], s[0:1], 2
	s_add_u32 s0, s26, s0
	s_addc_u32 s1, s27, s1
	s_and_b32 vcc_lo, exec_lo, s28
	s_load_b32 s48, s[0:1], 0x0
	s_cbranch_vccz .LBB56_33
; %bb.14:
	s_waitcnt lgkmcnt(0)
	s_ashr_i32 s49, s48, 31
	v_lshrrev_b32_e32 v1, 6, v0
	s_lshl_b64 s[0:1], s[48:49], 2
	s_delay_alu instid0(SALU_CYCLE_1) | instskip(SKIP_1) | instid1(VALU_DEP_1)
	s_add_u32 s0, s16, s0
	s_addc_u32 s1, s17, s1
	v_subrev_nc_u32_e32 v1, s44, v1
	s_load_b64 s[0:1], s[0:1], 0x0
	s_waitcnt lgkmcnt(0)
	s_delay_alu instid0(VALU_DEP_1) | instskip(SKIP_2) | instid1(VALU_DEP_1)
	v_add_nc_u32_e32 v1, s0, v1
	s_sub_i32 s0, s1, s44
	s_mov_b32 s1, exec_lo
	v_cmpx_gt_i32_e64 s0, v1
	s_cbranch_execz .LBB56_32
; %bb.15:
	v_and_b32_e32 v2, 63, v0
	s_mov_b32 s8, 0
	s_delay_alu instid0(VALU_DEP_1)
	v_subrev_nc_u32_e32 v8, s45, v2
	s_branch .LBB56_17
.LBB56_16:                              ;   in Loop: Header=BB56_17 Depth=1
	s_or_b32 exec_lo, exec_lo, s9
	v_add_nc_u32_e32 v1, 16, v1
	s_delay_alu instid0(VALU_DEP_1) | instskip(SKIP_1) | instid1(SALU_CYCLE_1)
	v_cmp_le_i32_e32 vcc_lo, s0, v1
	s_or_b32 s8, vcc_lo, s8
	s_and_not1_b32 exec_lo, exec_lo, s8
	s_cbranch_execz .LBB56_32
.LBB56_17:                              ; =>This Loop Header: Depth=1
                                        ;     Child Loop BB56_20 Depth 2
                                        ;       Child Loop BB56_22 Depth 3
	v_ashrrev_i32_e32 v2, 31, v1
	s_mov_b32 s9, exec_lo
	s_delay_alu instid0(VALU_DEP_1) | instskip(NEXT) | instid1(VALU_DEP_1)
	v_lshlrev_b64 v[3:4], 2, v[1:2]
	v_add_co_u32 v3, vcc_lo, s18, v3
	s_delay_alu instid0(VALU_DEP_2) | instskip(SKIP_3) | instid1(VALU_DEP_1)
	v_add_co_ci_u32_e32 v4, vcc_lo, s19, v4, vcc_lo
	global_load_b32 v3, v[3:4], off
	s_waitcnt vmcnt(0)
	v_subrev_nc_u32_e32 v3, s44, v3
	v_ashrrev_i32_e32 v4, 31, v3
	s_delay_alu instid0(VALU_DEP_1) | instskip(NEXT) | instid1(VALU_DEP_1)
	v_lshlrev_b64 v[3:4], 2, v[3:4]
	v_add_co_u32 v3, vcc_lo, s22, v3
	s_delay_alu instid0(VALU_DEP_2) | instskip(SKIP_4) | instid1(VALU_DEP_1)
	v_add_co_ci_u32_e32 v4, vcc_lo, s23, v4, vcc_lo
	global_load_b64 v[3:4], v[3:4], off
	s_waitcnt vmcnt(0)
	v_subrev_nc_u32_e32 v9, s45, v4
	v_add_nc_u32_e32 v3, v3, v8
	v_cmpx_lt_i32_e64 v3, v9
	s_cbranch_execz .LBB56_16
; %bb.18:                               ;   in Loop: Header=BB56_17 Depth=1
	v_lshlrev_b64 v[10:11], 3, v[1:2]
	s_mov_b32 s15, 0
	s_delay_alu instid0(VALU_DEP_1) | instskip(NEXT) | instid1(VALU_DEP_2)
	v_add_co_u32 v10, vcc_lo, s20, v10
	v_add_co_ci_u32_e32 v11, vcc_lo, s21, v11, vcc_lo
	global_load_b64 v[11:12], v[10:11], off
	s_waitcnt vmcnt(0)
	v_mul_f32_e64 v2, v12, -s3
	v_mul_f32_e32 v10, s13, v12
	s_delay_alu instid0(VALU_DEP_2) | instskip(NEXT) | instid1(VALU_DEP_2)
	v_fmac_f32_e32 v2, s13, v11
	v_fmac_f32_e32 v10, s3, v11
	s_branch .LBB56_20
.LBB56_19:                              ;   in Loop: Header=BB56_20 Depth=2
	s_or_b32 exec_lo, exec_lo, s16
	v_add_nc_u32_e32 v3, 64, v3
	s_delay_alu instid0(VALU_DEP_1) | instskip(SKIP_1) | instid1(SALU_CYCLE_1)
	v_cmp_ge_i32_e32 vcc_lo, v3, v9
	s_or_b32 s15, vcc_lo, s15
	s_and_not1_b32 exec_lo, exec_lo, s15
	s_cbranch_execz .LBB56_16
.LBB56_20:                              ;   Parent Loop BB56_17 Depth=1
                                        ; =>  This Loop Header: Depth=2
                                        ;       Child Loop BB56_22 Depth 3
	v_ashrrev_i32_e32 v4, 31, v3
	s_mov_b32 s16, 0
	s_delay_alu instid0(VALU_DEP_1) | instskip(SKIP_1) | instid1(VALU_DEP_2)
	v_lshlrev_b64 v[11:12], 2, v[3:4]
	v_lshlrev_b64 v[13:14], 3, v[3:4]
	v_add_co_u32 v11, vcc_lo, s4, v11
	s_delay_alu instid0(VALU_DEP_3)
	v_add_co_ci_u32_e32 v12, vcc_lo, s5, v12, vcc_lo
	global_load_b32 v4, v[11:12], off
	v_add_co_u32 v11, vcc_lo, s6, v13
	v_add_co_ci_u32_e32 v12, vcc_lo, s7, v14, vcc_lo
	global_load_b64 v[13:14], v[11:12], off
	s_waitcnt vmcnt(1)
	v_subrev_nc_u32_e32 v4, s45, v4
	s_delay_alu instid0(VALU_DEP_1) | instskip(SKIP_3) | instid1(VALU_DEP_2)
	v_mul_lo_u32 v15, 0x89, v4
	s_waitcnt vmcnt(0)
	v_mul_f32_e64 v11, v14, -v10
	v_mul_f32_e32 v12, v2, v14
	v_fmac_f32_e32 v11, v2, v13
	s_delay_alu instid0(VALU_DEP_2)
	v_dual_fmac_f32 v12, v10, v13 :: v_dual_and_b32 v13, 0xfff, v15
	s_branch .LBB56_22
.LBB56_21:                              ;   in Loop: Header=BB56_22 Depth=3
	s_or_b32 exec_lo, exec_lo, s17
	s_xor_b32 s17, s24, -1
	s_delay_alu instid0(SALU_CYCLE_1) | instskip(NEXT) | instid1(SALU_CYCLE_1)
	s_and_b32 s17, exec_lo, s17
	s_or_b32 s16, s17, s16
	s_delay_alu instid0(SALU_CYCLE_1)
	s_and_not1_b32 exec_lo, exec_lo, s16
	s_cbranch_execz .LBB56_19
.LBB56_22:                              ;   Parent Loop BB56_17 Depth=1
                                        ;     Parent Loop BB56_20 Depth=2
                                        ; =>    This Inner Loop Header: Depth=3
	s_delay_alu instid0(VALU_DEP_1)
	v_lshl_add_u32 v14, v13, 2, 0
	s_mov_b32 s17, exec_lo
                                        ; implicit-def: $sgpr24
	ds_load_b32 v15, v14
	s_waitcnt lgkmcnt(0)
	v_cmpx_ne_u32_e64 v15, v4
	s_xor_b32 s17, exec_lo, s17
	s_cbranch_execz .LBB56_30
; %bb.23:                               ;   in Loop: Header=BB56_22 Depth=3
	s_mov_b32 s25, exec_lo
                                        ; implicit-def: $sgpr24
	v_cmpx_ne_u32_e64 s33, v15
	s_xor_b32 s25, exec_lo, s25
; %bb.24:                               ;   in Loop: Header=BB56_22 Depth=3
	v_add_nc_u32_e32 v13, 1, v13
	s_mov_b32 s24, -1
                                        ; implicit-def: $vgpr14
	s_delay_alu instid0(VALU_DEP_1)
	v_and_b32_e32 v13, 0xfff, v13
; %bb.25:                               ;   in Loop: Header=BB56_22 Depth=3
	s_and_not1_saveexec_b32 s25, s25
	s_cbranch_execz .LBB56_29
; %bb.26:                               ;   in Loop: Header=BB56_22 Depth=3
	v_mov_b32_e32 v15, s33
	s_mov_b32 s26, -1
	s_mov_b32 s27, exec_lo
	ds_cmpstore_rtn_b32 v15, v14, v4, v15
	s_waitcnt lgkmcnt(0)
	v_cmpx_eq_u32_e64 s33, v15
	s_cbranch_execz .LBB56_28
; %bb.27:                               ;   in Loop: Header=BB56_22 Depth=3
	v_lshl_add_u32 v14, v13, 2, v14
	s_xor_b32 s26, exec_lo, -1
	ds_add_f32 v14, v11 offset:16384
	ds_add_f32 v14, v12 offset:16388
.LBB56_28:                              ;   in Loop: Header=BB56_22 Depth=3
	s_or_b32 exec_lo, exec_lo, s27
	s_delay_alu instid0(SALU_CYCLE_1) | instskip(SKIP_1) | instid1(SALU_CYCLE_1)
	s_and_not1_b32 s24, s24, exec_lo
	s_and_b32 s26, s26, exec_lo
	s_or_b32 s24, s24, s26
.LBB56_29:                              ;   in Loop: Header=BB56_22 Depth=3
	s_or_b32 exec_lo, exec_lo, s25
	s_delay_alu instid0(SALU_CYCLE_1)
	s_and_b32 s24, s24, exec_lo
                                        ; implicit-def: $vgpr14
.LBB56_30:                              ;   in Loop: Header=BB56_22 Depth=3
	s_and_not1_saveexec_b32 s17, s17
	s_cbranch_execz .LBB56_21
; %bb.31:                               ;   in Loop: Header=BB56_22 Depth=3
	v_lshl_add_u32 v14, v13, 2, v14
	s_and_not1_b32 s24, s24, exec_lo
	ds_add_f32 v14, v11 offset:16384
	ds_add_f32 v14, v12 offset:16388
	s_branch .LBB56_21
.LBB56_32:
	s_or_b32 exec_lo, exec_lo, s1
.LBB56_33:
	s_delay_alu instid0(SALU_CYCLE_1)
	s_and_not1_b32 vcc_lo, exec_lo, s14
	s_cbranch_vccnz .LBB56_50
; %bb.34:
	s_waitcnt lgkmcnt(0)
	s_ashr_i32 s49, s48, 31
	v_subrev_nc_u32_e32 v1, s47, v0
	s_lshl_b64 s[0:1], s[48:49], 2
	s_delay_alu instid0(SALU_CYCLE_1)
	s_add_u32 s0, s10, s0
	s_addc_u32 s1, s11, s1
	s_load_b64 s[0:1], s[0:1], 0x0
	s_waitcnt lgkmcnt(0)
	v_add_nc_u32_e32 v1, s0, v1
	s_sub_i32 s0, s1, s47
	s_mov_b32 s1, exec_lo
	s_delay_alu instid0(VALU_DEP_1)
	v_cmpx_gt_i32_e64 s0, v1
	s_cbranch_execz .LBB56_49
; %bb.35:
	s_mov_b32 s3, 0
	s_branch .LBB56_37
.LBB56_36:                              ;   in Loop: Header=BB56_37 Depth=1
	s_or_b32 exec_lo, exec_lo, s4
	v_add_nc_u32_e32 v1, 0x400, v1
	s_delay_alu instid0(VALU_DEP_1) | instskip(SKIP_1) | instid1(SALU_CYCLE_1)
	v_cmp_le_i32_e32 vcc_lo, s0, v1
	s_or_b32 s3, vcc_lo, s3
	s_and_not1_b32 exec_lo, exec_lo, s3
	s_cbranch_execz .LBB56_49
.LBB56_37:                              ; =>This Loop Header: Depth=1
                                        ;     Child Loop BB56_39 Depth 2
	v_ashrrev_i32_e32 v2, 31, v1
	s_mov_b32 s4, 0
	s_delay_alu instid0(VALU_DEP_1) | instskip(SKIP_1) | instid1(VALU_DEP_2)
	v_lshlrev_b64 v[3:4], 2, v[1:2]
	v_lshlrev_b64 v[8:9], 3, v[1:2]
	v_add_co_u32 v3, vcc_lo, s36, v3
	s_delay_alu instid0(VALU_DEP_3) | instskip(NEXT) | instid1(VALU_DEP_3)
	v_add_co_ci_u32_e32 v4, vcc_lo, s37, v4, vcc_lo
	v_add_co_u32 v2, vcc_lo, s38, v8
	global_load_b32 v4, v[3:4], off
	v_add_co_ci_u32_e32 v3, vcc_lo, s39, v9, vcc_lo
	global_load_b64 v[8:9], v[2:3], off
	s_waitcnt vmcnt(1)
	v_subrev_nc_u32_e32 v2, s47, v4
	s_delay_alu instid0(VALU_DEP_1) | instskip(SKIP_2) | instid1(VALU_DEP_1)
	v_mul_lo_u32 v10, 0x89, v2
	s_waitcnt vmcnt(0)
	v_mul_f32_e64 v3, v9, -s12
	v_dual_mul_f32 v4, s2, v9 :: v_dual_fmac_f32 v3, s2, v8
	s_delay_alu instid0(VALU_DEP_1) | instskip(NEXT) | instid1(VALU_DEP_4)
	v_fmac_f32_e32 v4, s12, v8
	v_and_b32_e32 v8, 0xfff, v10
	s_branch .LBB56_39
.LBB56_38:                              ;   in Loop: Header=BB56_39 Depth=2
	s_or_b32 exec_lo, exec_lo, s5
	s_xor_b32 s5, s6, -1
	s_delay_alu instid0(SALU_CYCLE_1) | instskip(NEXT) | instid1(SALU_CYCLE_1)
	s_and_b32 s5, exec_lo, s5
	s_or_b32 s4, s5, s4
	s_delay_alu instid0(SALU_CYCLE_1)
	s_and_not1_b32 exec_lo, exec_lo, s4
	s_cbranch_execz .LBB56_36
.LBB56_39:                              ;   Parent Loop BB56_37 Depth=1
                                        ; =>  This Inner Loop Header: Depth=2
	s_delay_alu instid0(VALU_DEP_1)
	v_lshl_add_u32 v9, v8, 2, 0
	s_mov_b32 s5, exec_lo
                                        ; implicit-def: $sgpr6
	ds_load_b32 v10, v9
	s_waitcnt lgkmcnt(0)
	v_cmpx_ne_u32_e64 v10, v2
	s_xor_b32 s5, exec_lo, s5
	s_cbranch_execz .LBB56_47
; %bb.40:                               ;   in Loop: Header=BB56_39 Depth=2
	s_mov_b32 s7, exec_lo
                                        ; implicit-def: $sgpr6
	v_cmpx_ne_u32_e64 s33, v10
	s_xor_b32 s7, exec_lo, s7
; %bb.41:                               ;   in Loop: Header=BB56_39 Depth=2
	v_add_nc_u32_e32 v8, 1, v8
	s_mov_b32 s6, -1
                                        ; implicit-def: $vgpr9
	s_delay_alu instid0(VALU_DEP_1)
	v_and_b32_e32 v8, 0xfff, v8
; %bb.42:                               ;   in Loop: Header=BB56_39 Depth=2
	s_and_not1_saveexec_b32 s7, s7
	s_cbranch_execz .LBB56_46
; %bb.43:                               ;   in Loop: Header=BB56_39 Depth=2
	v_mov_b32_e32 v10, s33
	s_mov_b32 s8, -1
	s_mov_b32 s9, exec_lo
	ds_cmpstore_rtn_b32 v10, v9, v2, v10
	s_waitcnt lgkmcnt(0)
	v_cmpx_eq_u32_e64 s33, v10
	s_cbranch_execz .LBB56_45
; %bb.44:                               ;   in Loop: Header=BB56_39 Depth=2
	v_lshl_add_u32 v9, v8, 2, v9
	s_xor_b32 s8, exec_lo, -1
	ds_add_f32 v9, v3 offset:16384
	ds_add_f32 v9, v4 offset:16388
.LBB56_45:                              ;   in Loop: Header=BB56_39 Depth=2
	s_or_b32 exec_lo, exec_lo, s9
	s_delay_alu instid0(SALU_CYCLE_1) | instskip(SKIP_1) | instid1(SALU_CYCLE_1)
	s_and_not1_b32 s6, s6, exec_lo
	s_and_b32 s8, s8, exec_lo
	s_or_b32 s6, s6, s8
.LBB56_46:                              ;   in Loop: Header=BB56_39 Depth=2
	s_or_b32 exec_lo, exec_lo, s7
	s_delay_alu instid0(SALU_CYCLE_1)
	s_and_b32 s6, s6, exec_lo
                                        ; implicit-def: $vgpr9
.LBB56_47:                              ;   in Loop: Header=BB56_39 Depth=2
	s_and_not1_saveexec_b32 s5, s5
	s_cbranch_execz .LBB56_38
; %bb.48:                               ;   in Loop: Header=BB56_39 Depth=2
	v_lshl_add_u32 v9, v8, 2, v9
	s_and_not1_b32 s6, s6, exec_lo
	ds_add_f32 v9, v3 offset:16384
	ds_add_f32 v9, v4 offset:16388
	s_branch .LBB56_38
.LBB56_49:
	s_or_b32 exec_lo, exec_lo, s1
.LBB56_50:
	v_mbcnt_lo_u32_b32 v1, -1, 0
	v_lshrrev_b32_e32 v2, 3, v0
	v_cmp_eq_u32_e32 vcc_lo, 0x3ff, v0
	v_cmp_lt_u32_e64 s0, 31, v0
	v_cmp_lt_u32_e64 s1, 63, v0
	v_xor_b32_e32 v1, 63, v1
	v_dual_mov_b32 v8, 0 :: v_dual_and_b32 v3, 0x7c, v2
	v_cmp_lt_u32_e64 s2, 0x5f, v0
	v_cmp_lt_u32_e64 s3, 0x7f, v0
	s_delay_alu instid0(VALU_DEP_4) | instskip(NEXT) | instid1(VALU_DEP_4)
	v_lshrrev_b64 v[1:2], v1, -1
	v_dual_mov_b32 v9, 0 :: v_dual_add_nc_u32 v4, 0, v3
	v_cmp_lt_u32_e64 s4, 0x9f, v0
	v_cmp_lt_u32_e64 s5, 0xbf, v0
	;; [unrolled: 1-line block ×27, first 2 shown]
	s_mov_b32 s36, 0
	s_waitcnt lgkmcnt(0)
	s_barrier
	buffer_gl0_inv
	s_branch .LBB56_52
.LBB56_51:                              ;   in Loop: Header=BB56_52 Depth=1
	s_or_b32 exec_lo, exec_lo, s31
	s_waitcnt lgkmcnt(0)
	s_barrier
	buffer_gl0_inv
	ds_load_b32 v2, v8 offset:49276
	v_add_nc_u32_e32 v6, 0x400, v6
	v_add_nc_u32_e32 v7, 0x2000, v7
	v_add_nc_u32_e32 v5, 0x1000, v5
	s_delay_alu instid0(VALU_DEP_3) | instskip(NEXT) | instid1(VALU_DEP_1)
	v_cmp_lt_u32_e64 s31, 0xbff, v6
	s_or_b32 s36, s31, s36
	s_waitcnt lgkmcnt(0)
	v_add_nc_u32_e32 v9, v2, v9
	s_and_not1_b32 exec_lo, exec_lo, s36
	s_cbranch_execz .LBB56_118
.LBB56_52:                              ; =>This Inner Loop Header: Depth=1
	ds_load_b32 v10, v5
	ds_load_2addr_b32 v[2:3], v7 offset1:1
	s_waitcnt lgkmcnt(0)
	s_barrier
	buffer_gl0_inv
	v_cmp_gt_i32_e64 s31, s33, v10
	s_delay_alu instid0(VALU_DEP_1) | instskip(NEXT) | instid1(SALU_CYCLE_1)
	s_bcnt1_i32_b32 s37, s31
	v_dual_mov_b32 v12, s37 :: v_dual_and_b32 v11, s31, v1
	s_delay_alu instid0(VALU_DEP_1)
	v_bcnt_u32_b32 v11, v11, 0
	ds_store_b32 v4, v12 offset:49152
	s_waitcnt lgkmcnt(0)
	s_barrier
	buffer_gl0_inv
	s_and_saveexec_b32 s37, s0
	s_cbranch_execnz .LBB56_85
; %bb.53:                               ;   in Loop: Header=BB56_52 Depth=1
	s_or_b32 exec_lo, exec_lo, s37
	s_and_saveexec_b32 s37, s1
	s_cbranch_execnz .LBB56_86
.LBB56_54:                              ;   in Loop: Header=BB56_52 Depth=1
	s_or_b32 exec_lo, exec_lo, s37
	s_and_saveexec_b32 s37, s2
	s_cbranch_execnz .LBB56_87
.LBB56_55:                              ;   in Loop: Header=BB56_52 Depth=1
	s_or_b32 exec_lo, exec_lo, s37
	s_and_saveexec_b32 s37, s3
	s_cbranch_execnz .LBB56_88
.LBB56_56:                              ;   in Loop: Header=BB56_52 Depth=1
	s_or_b32 exec_lo, exec_lo, s37
	s_and_saveexec_b32 s37, s4
	s_cbranch_execnz .LBB56_89
.LBB56_57:                              ;   in Loop: Header=BB56_52 Depth=1
	s_or_b32 exec_lo, exec_lo, s37
	s_and_saveexec_b32 s37, s5
	s_cbranch_execnz .LBB56_90
.LBB56_58:                              ;   in Loop: Header=BB56_52 Depth=1
	s_or_b32 exec_lo, exec_lo, s37
	s_and_saveexec_b32 s37, s6
	s_cbranch_execnz .LBB56_91
.LBB56_59:                              ;   in Loop: Header=BB56_52 Depth=1
	s_or_b32 exec_lo, exec_lo, s37
	s_and_saveexec_b32 s37, s7
	s_cbranch_execnz .LBB56_92
.LBB56_60:                              ;   in Loop: Header=BB56_52 Depth=1
	s_or_b32 exec_lo, exec_lo, s37
	s_and_saveexec_b32 s37, s8
	s_cbranch_execnz .LBB56_93
.LBB56_61:                              ;   in Loop: Header=BB56_52 Depth=1
	s_or_b32 exec_lo, exec_lo, s37
	s_and_saveexec_b32 s37, s9
	s_cbranch_execnz .LBB56_94
.LBB56_62:                              ;   in Loop: Header=BB56_52 Depth=1
	s_or_b32 exec_lo, exec_lo, s37
	s_and_saveexec_b32 s37, s10
	s_cbranch_execnz .LBB56_95
.LBB56_63:                              ;   in Loop: Header=BB56_52 Depth=1
	s_or_b32 exec_lo, exec_lo, s37
	s_and_saveexec_b32 s37, s11
	s_cbranch_execnz .LBB56_96
.LBB56_64:                              ;   in Loop: Header=BB56_52 Depth=1
	s_or_b32 exec_lo, exec_lo, s37
	s_and_saveexec_b32 s37, s12
	s_cbranch_execnz .LBB56_97
.LBB56_65:                              ;   in Loop: Header=BB56_52 Depth=1
	s_or_b32 exec_lo, exec_lo, s37
	s_and_saveexec_b32 s37, s13
	s_cbranch_execnz .LBB56_98
.LBB56_66:                              ;   in Loop: Header=BB56_52 Depth=1
	s_or_b32 exec_lo, exec_lo, s37
	s_and_saveexec_b32 s37, s14
	s_cbranch_execnz .LBB56_99
.LBB56_67:                              ;   in Loop: Header=BB56_52 Depth=1
	s_or_b32 exec_lo, exec_lo, s37
	s_and_saveexec_b32 s37, s15
	s_cbranch_execnz .LBB56_100
.LBB56_68:                              ;   in Loop: Header=BB56_52 Depth=1
	s_or_b32 exec_lo, exec_lo, s37
	s_and_saveexec_b32 s37, s16
	s_cbranch_execnz .LBB56_101
.LBB56_69:                              ;   in Loop: Header=BB56_52 Depth=1
	s_or_b32 exec_lo, exec_lo, s37
	s_and_saveexec_b32 s37, s17
	s_cbranch_execnz .LBB56_102
.LBB56_70:                              ;   in Loop: Header=BB56_52 Depth=1
	s_or_b32 exec_lo, exec_lo, s37
	s_and_saveexec_b32 s37, s18
	s_cbranch_execnz .LBB56_103
.LBB56_71:                              ;   in Loop: Header=BB56_52 Depth=1
	s_or_b32 exec_lo, exec_lo, s37
	s_and_saveexec_b32 s37, s19
	s_cbranch_execnz .LBB56_104
.LBB56_72:                              ;   in Loop: Header=BB56_52 Depth=1
	s_or_b32 exec_lo, exec_lo, s37
	s_and_saveexec_b32 s37, s20
	s_cbranch_execnz .LBB56_105
.LBB56_73:                              ;   in Loop: Header=BB56_52 Depth=1
	s_or_b32 exec_lo, exec_lo, s37
	s_and_saveexec_b32 s37, s21
	s_cbranch_execnz .LBB56_106
.LBB56_74:                              ;   in Loop: Header=BB56_52 Depth=1
	s_or_b32 exec_lo, exec_lo, s37
	s_and_saveexec_b32 s37, s22
	s_cbranch_execnz .LBB56_107
.LBB56_75:                              ;   in Loop: Header=BB56_52 Depth=1
	s_or_b32 exec_lo, exec_lo, s37
	s_and_saveexec_b32 s37, s23
	s_cbranch_execnz .LBB56_108
.LBB56_76:                              ;   in Loop: Header=BB56_52 Depth=1
	s_or_b32 exec_lo, exec_lo, s37
	s_and_saveexec_b32 s37, s24
	s_cbranch_execnz .LBB56_109
.LBB56_77:                              ;   in Loop: Header=BB56_52 Depth=1
	s_or_b32 exec_lo, exec_lo, s37
	s_and_saveexec_b32 s37, s25
	s_cbranch_execnz .LBB56_110
.LBB56_78:                              ;   in Loop: Header=BB56_52 Depth=1
	s_or_b32 exec_lo, exec_lo, s37
	s_and_saveexec_b32 s37, s26
	s_cbranch_execnz .LBB56_111
.LBB56_79:                              ;   in Loop: Header=BB56_52 Depth=1
	s_or_b32 exec_lo, exec_lo, s37
	s_and_saveexec_b32 s37, s27
	s_cbranch_execnz .LBB56_112
.LBB56_80:                              ;   in Loop: Header=BB56_52 Depth=1
	s_or_b32 exec_lo, exec_lo, s37
	s_and_saveexec_b32 s37, s28
	s_cbranch_execnz .LBB56_113
.LBB56_81:                              ;   in Loop: Header=BB56_52 Depth=1
	s_or_b32 exec_lo, exec_lo, s37
	s_and_saveexec_b32 s37, s29
	s_cbranch_execnz .LBB56_114
.LBB56_82:                              ;   in Loop: Header=BB56_52 Depth=1
	s_or_b32 exec_lo, exec_lo, s37
	s_and_saveexec_b32 s37, s30
	s_cbranch_execnz .LBB56_115
.LBB56_83:                              ;   in Loop: Header=BB56_52 Depth=1
	s_or_b32 exec_lo, exec_lo, s37
	s_and_saveexec_b32 s37, s31
	s_cbranch_execnz .LBB56_116
.LBB56_84:                              ;   in Loop: Header=BB56_52 Depth=1
	s_or_b32 exec_lo, exec_lo, s37
	s_and_saveexec_b32 s31, vcc_lo
	s_cbranch_execz .LBB56_51
	s_branch .LBB56_117
.LBB56_85:                              ;   in Loop: Header=BB56_52 Depth=1
	ds_load_b32 v12, v8 offset:49152
	s_waitcnt lgkmcnt(0)
	v_add_nc_u32_e32 v11, v12, v11
	s_or_b32 exec_lo, exec_lo, s37
	s_and_saveexec_b32 s37, s1
	s_cbranch_execz .LBB56_54
.LBB56_86:                              ;   in Loop: Header=BB56_52 Depth=1
	ds_load_b32 v12, v8 offset:49156
	s_waitcnt lgkmcnt(0)
	v_add_nc_u32_e32 v11, v12, v11
	s_or_b32 exec_lo, exec_lo, s37
	s_and_saveexec_b32 s37, s2
	s_cbranch_execz .LBB56_55
.LBB56_87:                              ;   in Loop: Header=BB56_52 Depth=1
	ds_load_b32 v12, v8 offset:49160
	s_waitcnt lgkmcnt(0)
	v_add_nc_u32_e32 v11, v12, v11
	s_or_b32 exec_lo, exec_lo, s37
	s_and_saveexec_b32 s37, s3
	s_cbranch_execz .LBB56_56
.LBB56_88:                              ;   in Loop: Header=BB56_52 Depth=1
	ds_load_b32 v12, v8 offset:49164
	s_waitcnt lgkmcnt(0)
	v_add_nc_u32_e32 v11, v12, v11
	s_or_b32 exec_lo, exec_lo, s37
	s_and_saveexec_b32 s37, s4
	s_cbranch_execz .LBB56_57
.LBB56_89:                              ;   in Loop: Header=BB56_52 Depth=1
	ds_load_b32 v12, v8 offset:49168
	s_waitcnt lgkmcnt(0)
	v_add_nc_u32_e32 v11, v12, v11
	s_or_b32 exec_lo, exec_lo, s37
	s_and_saveexec_b32 s37, s5
	s_cbranch_execz .LBB56_58
.LBB56_90:                              ;   in Loop: Header=BB56_52 Depth=1
	ds_load_b32 v12, v8 offset:49172
	s_waitcnt lgkmcnt(0)
	v_add_nc_u32_e32 v11, v12, v11
	s_or_b32 exec_lo, exec_lo, s37
	s_and_saveexec_b32 s37, s6
	s_cbranch_execz .LBB56_59
.LBB56_91:                              ;   in Loop: Header=BB56_52 Depth=1
	ds_load_b32 v12, v8 offset:49176
	s_waitcnt lgkmcnt(0)
	v_add_nc_u32_e32 v11, v12, v11
	s_or_b32 exec_lo, exec_lo, s37
	s_and_saveexec_b32 s37, s7
	s_cbranch_execz .LBB56_60
.LBB56_92:                              ;   in Loop: Header=BB56_52 Depth=1
	ds_load_b32 v12, v8 offset:49180
	s_waitcnt lgkmcnt(0)
	v_add_nc_u32_e32 v11, v12, v11
	s_or_b32 exec_lo, exec_lo, s37
	s_and_saveexec_b32 s37, s8
	s_cbranch_execz .LBB56_61
.LBB56_93:                              ;   in Loop: Header=BB56_52 Depth=1
	ds_load_b32 v12, v8 offset:49184
	s_waitcnt lgkmcnt(0)
	v_add_nc_u32_e32 v11, v12, v11
	s_or_b32 exec_lo, exec_lo, s37
	s_and_saveexec_b32 s37, s9
	s_cbranch_execz .LBB56_62
.LBB56_94:                              ;   in Loop: Header=BB56_52 Depth=1
	ds_load_b32 v12, v8 offset:49188
	s_waitcnt lgkmcnt(0)
	v_add_nc_u32_e32 v11, v12, v11
	s_or_b32 exec_lo, exec_lo, s37
	s_and_saveexec_b32 s37, s10
	s_cbranch_execz .LBB56_63
.LBB56_95:                              ;   in Loop: Header=BB56_52 Depth=1
	ds_load_b32 v12, v8 offset:49192
	s_waitcnt lgkmcnt(0)
	v_add_nc_u32_e32 v11, v12, v11
	s_or_b32 exec_lo, exec_lo, s37
	s_and_saveexec_b32 s37, s11
	s_cbranch_execz .LBB56_64
.LBB56_96:                              ;   in Loop: Header=BB56_52 Depth=1
	ds_load_b32 v12, v8 offset:49196
	s_waitcnt lgkmcnt(0)
	v_add_nc_u32_e32 v11, v12, v11
	s_or_b32 exec_lo, exec_lo, s37
	s_and_saveexec_b32 s37, s12
	s_cbranch_execz .LBB56_65
.LBB56_97:                              ;   in Loop: Header=BB56_52 Depth=1
	ds_load_b32 v12, v8 offset:49200
	s_waitcnt lgkmcnt(0)
	v_add_nc_u32_e32 v11, v12, v11
	s_or_b32 exec_lo, exec_lo, s37
	s_and_saveexec_b32 s37, s13
	s_cbranch_execz .LBB56_66
.LBB56_98:                              ;   in Loop: Header=BB56_52 Depth=1
	ds_load_b32 v12, v8 offset:49204
	s_waitcnt lgkmcnt(0)
	v_add_nc_u32_e32 v11, v12, v11
	s_or_b32 exec_lo, exec_lo, s37
	s_and_saveexec_b32 s37, s14
	s_cbranch_execz .LBB56_67
.LBB56_99:                              ;   in Loop: Header=BB56_52 Depth=1
	ds_load_b32 v12, v8 offset:49208
	s_waitcnt lgkmcnt(0)
	v_add_nc_u32_e32 v11, v12, v11
	s_or_b32 exec_lo, exec_lo, s37
	s_and_saveexec_b32 s37, s15
	s_cbranch_execz .LBB56_68
.LBB56_100:                             ;   in Loop: Header=BB56_52 Depth=1
	ds_load_b32 v12, v8 offset:49212
	s_waitcnt lgkmcnt(0)
	v_add_nc_u32_e32 v11, v12, v11
	s_or_b32 exec_lo, exec_lo, s37
	s_and_saveexec_b32 s37, s16
	s_cbranch_execz .LBB56_69
.LBB56_101:                             ;   in Loop: Header=BB56_52 Depth=1
	ds_load_b32 v12, v8 offset:49216
	s_waitcnt lgkmcnt(0)
	v_add_nc_u32_e32 v11, v12, v11
	s_or_b32 exec_lo, exec_lo, s37
	s_and_saveexec_b32 s37, s17
	s_cbranch_execz .LBB56_70
.LBB56_102:                             ;   in Loop: Header=BB56_52 Depth=1
	ds_load_b32 v12, v8 offset:49220
	s_waitcnt lgkmcnt(0)
	v_add_nc_u32_e32 v11, v12, v11
	s_or_b32 exec_lo, exec_lo, s37
	s_and_saveexec_b32 s37, s18
	s_cbranch_execz .LBB56_71
.LBB56_103:                             ;   in Loop: Header=BB56_52 Depth=1
	ds_load_b32 v12, v8 offset:49224
	s_waitcnt lgkmcnt(0)
	v_add_nc_u32_e32 v11, v12, v11
	s_or_b32 exec_lo, exec_lo, s37
	s_and_saveexec_b32 s37, s19
	s_cbranch_execz .LBB56_72
.LBB56_104:                             ;   in Loop: Header=BB56_52 Depth=1
	ds_load_b32 v12, v8 offset:49228
	s_waitcnt lgkmcnt(0)
	v_add_nc_u32_e32 v11, v12, v11
	s_or_b32 exec_lo, exec_lo, s37
	s_and_saveexec_b32 s37, s20
	s_cbranch_execz .LBB56_73
.LBB56_105:                             ;   in Loop: Header=BB56_52 Depth=1
	ds_load_b32 v12, v8 offset:49232
	s_waitcnt lgkmcnt(0)
	v_add_nc_u32_e32 v11, v12, v11
	s_or_b32 exec_lo, exec_lo, s37
	s_and_saveexec_b32 s37, s21
	s_cbranch_execz .LBB56_74
.LBB56_106:                             ;   in Loop: Header=BB56_52 Depth=1
	ds_load_b32 v12, v8 offset:49236
	s_waitcnt lgkmcnt(0)
	v_add_nc_u32_e32 v11, v12, v11
	s_or_b32 exec_lo, exec_lo, s37
	s_and_saveexec_b32 s37, s22
	s_cbranch_execz .LBB56_75
.LBB56_107:                             ;   in Loop: Header=BB56_52 Depth=1
	ds_load_b32 v12, v8 offset:49240
	s_waitcnt lgkmcnt(0)
	v_add_nc_u32_e32 v11, v12, v11
	s_or_b32 exec_lo, exec_lo, s37
	s_and_saveexec_b32 s37, s23
	s_cbranch_execz .LBB56_76
.LBB56_108:                             ;   in Loop: Header=BB56_52 Depth=1
	ds_load_b32 v12, v8 offset:49244
	s_waitcnt lgkmcnt(0)
	v_add_nc_u32_e32 v11, v12, v11
	s_or_b32 exec_lo, exec_lo, s37
	s_and_saveexec_b32 s37, s24
	s_cbranch_execz .LBB56_77
.LBB56_109:                             ;   in Loop: Header=BB56_52 Depth=1
	ds_load_b32 v12, v8 offset:49248
	s_waitcnt lgkmcnt(0)
	v_add_nc_u32_e32 v11, v12, v11
	s_or_b32 exec_lo, exec_lo, s37
	s_and_saveexec_b32 s37, s25
	s_cbranch_execz .LBB56_78
.LBB56_110:                             ;   in Loop: Header=BB56_52 Depth=1
	ds_load_b32 v12, v8 offset:49252
	s_waitcnt lgkmcnt(0)
	v_add_nc_u32_e32 v11, v12, v11
	s_or_b32 exec_lo, exec_lo, s37
	s_and_saveexec_b32 s37, s26
	s_cbranch_execz .LBB56_79
.LBB56_111:                             ;   in Loop: Header=BB56_52 Depth=1
	ds_load_b32 v12, v8 offset:49256
	s_waitcnt lgkmcnt(0)
	v_add_nc_u32_e32 v11, v12, v11
	s_or_b32 exec_lo, exec_lo, s37
	s_and_saveexec_b32 s37, s27
	s_cbranch_execz .LBB56_80
.LBB56_112:                             ;   in Loop: Header=BB56_52 Depth=1
	ds_load_b32 v12, v8 offset:49260
	s_waitcnt lgkmcnt(0)
	v_add_nc_u32_e32 v11, v12, v11
	s_or_b32 exec_lo, exec_lo, s37
	s_and_saveexec_b32 s37, s28
	s_cbranch_execz .LBB56_81
.LBB56_113:                             ;   in Loop: Header=BB56_52 Depth=1
	ds_load_b32 v12, v8 offset:49264
	s_waitcnt lgkmcnt(0)
	v_add_nc_u32_e32 v11, v12, v11
	s_or_b32 exec_lo, exec_lo, s37
	s_and_saveexec_b32 s37, s29
	s_cbranch_execz .LBB56_82
.LBB56_114:                             ;   in Loop: Header=BB56_52 Depth=1
	ds_load_b32 v12, v8 offset:49268
	s_waitcnt lgkmcnt(0)
	v_add_nc_u32_e32 v11, v12, v11
	s_or_b32 exec_lo, exec_lo, s37
	s_and_saveexec_b32 s37, s30
	s_cbranch_execz .LBB56_83
.LBB56_115:                             ;   in Loop: Header=BB56_52 Depth=1
	ds_load_b32 v12, v8 offset:49272
	s_waitcnt lgkmcnt(0)
	v_add_nc_u32_e32 v11, v12, v11
	s_or_b32 exec_lo, exec_lo, s37
	s_and_saveexec_b32 s37, s31
	s_cbranch_execz .LBB56_84
.LBB56_116:                             ;   in Loop: Header=BB56_52 Depth=1
	s_delay_alu instid0(VALU_DEP_1) | instskip(NEXT) | instid1(VALU_DEP_1)
	v_add3_u32 v12, v9, -1, v11
	v_lshlrev_b32_e32 v13, 3, v12
	v_lshl_add_u32 v12, v12, 2, 0
	s_delay_alu instid0(VALU_DEP_2)
	v_add3_u32 v13, 0, v13, 0x4000
	ds_store_b32 v12, v10
	ds_store_2addr_b32 v13, v2, v3 offset1:1
	s_or_b32 exec_lo, exec_lo, s37
	s_and_saveexec_b32 s31, vcc_lo
	s_cbranch_execz .LBB56_51
.LBB56_117:                             ;   in Loop: Header=BB56_52 Depth=1
	ds_store_b32 v8, v11 offset:49276
	s_branch .LBB56_51
.LBB56_118:
	s_or_b32 exec_lo, exec_lo, s36
	s_ashr_i32 s49, s48, 31
	s_mov_b32 s3, exec_lo
	s_lshl_b64 s[0:1], s[48:49], 2
	s_delay_alu instid0(SALU_CYCLE_1) | instskip(SKIP_4) | instid1(SALU_CYCLE_1)
	s_add_u32 s0, s40, s0
	s_addc_u32 s1, s41, s1
	s_load_b64 s[0:1], s[0:1], 0x0
	s_waitcnt lgkmcnt(0)
	s_sub_i32 s2, s1, s0
	v_cmpx_gt_i32_e64 s2, v0
	s_cbranch_execz .LBB56_128
; %bb.119:
	s_sub_i32 s3, s0, s46
	s_sub_i32 s0, s0, s1
	s_and_b32 s1, s2, 7
	s_cmp_lt_u32 s0, -7
	s_mov_b32 s7, 0
	s_cselect_b32 s4, -1, 0
	s_and_b32 s5, s2, -8
	s_cmp_lg_u32 s1, 0
	s_cselect_b32 s6, -1, 0
	s_branch .LBB56_121
.LBB56_120:                             ;   in Loop: Header=BB56_121 Depth=1
	s_delay_alu instid0(VALU_DEP_1) | instskip(SKIP_3) | instid1(VALU_DEP_3)
	v_ashrrev_i32_e32 v4, 31, v3
	v_add_nc_u32_e32 v0, 0x400, v0
	s_waitcnt lgkmcnt(1)
	v_add_nc_u32_e32 v8, s46, v5
	v_lshlrev_b64 v[6:7], 2, v[3:4]
	v_lshlrev_b64 v[3:4], 3, v[3:4]
	v_cmp_le_i32_e32 vcc_lo, s2, v0
	s_delay_alu instid0(VALU_DEP_3) | instskip(NEXT) | instid1(VALU_DEP_1)
	v_add_co_u32 v5, s0, s42, v6
	v_add_co_ci_u32_e64 v6, s0, s43, v7, s0
	s_delay_alu instid0(VALU_DEP_4) | instskip(NEXT) | instid1(VALU_DEP_1)
	v_add_co_u32 v3, s0, s34, v3
	v_add_co_ci_u32_e64 v4, s0, s35, v4, s0
	s_or_b32 s7, vcc_lo, s7
	global_store_b32 v[5:6], v8, off
	s_waitcnt lgkmcnt(0)
	global_store_b64 v[3:4], v[1:2], off
	s_and_not1_b32 exec_lo, exec_lo, s7
	s_cbranch_execz .LBB56_128
.LBB56_121:                             ; =>This Loop Header: Depth=1
                                        ;     Child Loop BB56_123 Depth 2
                                        ;     Child Loop BB56_127 Depth 2
	v_lshlrev_b32_e32 v1, 2, v0
	s_and_not1_b32 vcc_lo, exec_lo, s4
	s_mov_b32 s0, 0
	s_delay_alu instid0(VALU_DEP_1) | instskip(NEXT) | instid1(VALU_DEP_1)
	v_dual_mov_b32 v3, s3 :: v_dual_add_nc_u32 v2, 0, v1
	v_add3_u32 v1, v2, v1, 0x4000
	ds_load_b32 v5, v2
	ds_load_2addr_b32 v[1:2], v1 offset1:1
	s_cbranch_vccnz .LBB56_125
; %bb.122:                              ;   in Loop: Header=BB56_121 Depth=1
	v_mov_b32_e32 v3, s3
	s_mov_b32 s8, 0
	s_set_inst_prefetch_distance 0x1
	.p2align	6
.LBB56_123:                             ;   Parent Loop BB56_121 Depth=1
                                        ; =>  This Inner Loop Header: Depth=2
	v_mov_b32_e32 v4, s8
	s_add_i32 s0, s0, 8
	s_add_i32 s8, s8, 32
	s_cmp_eq_u32 s5, s0
	ds_load_2addr_b32 v[6:7], v4 offset1:1
	ds_load_2addr_b32 v[8:9], v4 offset0:2 offset1:3
	ds_load_2addr_b32 v[10:11], v4 offset0:4 offset1:5
	;; [unrolled: 1-line block ×3, first 2 shown]
	s_waitcnt lgkmcnt(3)
	v_cmp_gt_i32_e32 vcc_lo, v5, v6
	v_cndmask_b32_e64 v4, 0, 1, vcc_lo
	s_waitcnt lgkmcnt(2)
	v_cmp_gt_i32_e32 vcc_lo, v5, v8
	v_cndmask_b32_e64 v6, 0, 1, vcc_lo
	v_cmp_gt_i32_e32 vcc_lo, v5, v7
	v_add_co_ci_u32_e32 v3, vcc_lo, v3, v4, vcc_lo
	s_waitcnt lgkmcnt(1)
	v_cmp_gt_i32_e32 vcc_lo, v5, v10
	v_cndmask_b32_e64 v4, 0, 1, vcc_lo
	v_cmp_gt_i32_e32 vcc_lo, v5, v9
	v_add_co_ci_u32_e32 v3, vcc_lo, v3, v6, vcc_lo
	;; [unrolled: 5-line block ×3, first 2 shown]
	v_cmp_gt_i32_e32 vcc_lo, v5, v13
	s_delay_alu instid0(VALU_DEP_2)
	v_add_co_ci_u32_e32 v3, vcc_lo, v3, v6, vcc_lo
	s_cbranch_scc0 .LBB56_123
; %bb.124:                              ;   in Loop: Header=BB56_121 Depth=1
	s_set_inst_prefetch_distance 0x2
	s_mov_b32 s0, s5
.LBB56_125:                             ;   in Loop: Header=BB56_121 Depth=1
	s_and_not1_b32 vcc_lo, exec_lo, s6
	s_cbranch_vccnz .LBB56_120
; %bb.126:                              ;   in Loop: Header=BB56_121 Depth=1
	s_lshl_b32 s0, s0, 2
	s_mov_b32 s8, s1
	s_add_i32 s0, s0, 0
.LBB56_127:                             ;   Parent Loop BB56_121 Depth=1
                                        ; =>  This Inner Loop Header: Depth=2
	s_delay_alu instid0(SALU_CYCLE_1)
	v_mov_b32_e32 v4, s0
	s_add_i32 s8, s8, -1
	s_add_i32 s0, s0, 4
	s_cmp_lg_u32 s8, 0
	ds_load_b32 v4, v4
	s_waitcnt lgkmcnt(0)
	v_cmp_gt_i32_e32 vcc_lo, v5, v4
	v_add_co_ci_u32_e32 v3, vcc_lo, 0, v3, vcc_lo
	s_cbranch_scc1 .LBB56_127
	s_branch .LBB56_120
.LBB56_128:
	s_nop 0
	s_sendmsg sendmsg(MSG_DEALLOC_VGPRS)
	s_endpgm
	.section	.rodata,"a",@progbits
	.p2align	6, 0x0
	.amdhsa_kernel _ZN9rocsparseL26csrgemm_fill_block_per_rowILj1024ELj64ELj4096ELj137ELj32Eii21rocsparse_complex_numIfEEEvT5_PKS3_S5_NS_24const_host_device_scalarIT6_EEPKT4_S5_PKS7_SB_S5_SD_S8_SB_S5_SD_SB_PS3_PS7_21rocsparse_index_base_SG_SG_SG_bbb
		.amdhsa_group_segment_fixed_size 0
		.amdhsa_private_segment_fixed_size 0
		.amdhsa_kernarg_size 156
		.amdhsa_user_sgpr_count 15
		.amdhsa_user_sgpr_dispatch_ptr 0
		.amdhsa_user_sgpr_queue_ptr 0
		.amdhsa_user_sgpr_kernarg_segment_ptr 1
		.amdhsa_user_sgpr_dispatch_id 0
		.amdhsa_user_sgpr_private_segment_size 0
		.amdhsa_wavefront_size32 1
		.amdhsa_uses_dynamic_stack 0
		.amdhsa_enable_private_segment 0
		.amdhsa_system_sgpr_workgroup_id_x 1
		.amdhsa_system_sgpr_workgroup_id_y 0
		.amdhsa_system_sgpr_workgroup_id_z 0
		.amdhsa_system_sgpr_workgroup_info 0
		.amdhsa_system_vgpr_workitem_id 0
		.amdhsa_next_free_vgpr 16
		.amdhsa_next_free_sgpr 50
		.amdhsa_reserve_vcc 1
		.amdhsa_float_round_mode_32 0
		.amdhsa_float_round_mode_16_64 0
		.amdhsa_float_denorm_mode_32 3
		.amdhsa_float_denorm_mode_16_64 3
		.amdhsa_dx10_clamp 1
		.amdhsa_ieee_mode 1
		.amdhsa_fp16_overflow 0
		.amdhsa_workgroup_processor_mode 1
		.amdhsa_memory_ordered 1
		.amdhsa_forward_progress 0
		.amdhsa_shared_vgpr_count 0
		.amdhsa_exception_fp_ieee_invalid_op 0
		.amdhsa_exception_fp_denorm_src 0
		.amdhsa_exception_fp_ieee_div_zero 0
		.amdhsa_exception_fp_ieee_overflow 0
		.amdhsa_exception_fp_ieee_underflow 0
		.amdhsa_exception_fp_ieee_inexact 0
		.amdhsa_exception_int_div_zero 0
	.end_amdhsa_kernel
	.section	.text._ZN9rocsparseL26csrgemm_fill_block_per_rowILj1024ELj64ELj4096ELj137ELj32Eii21rocsparse_complex_numIfEEEvT5_PKS3_S5_NS_24const_host_device_scalarIT6_EEPKT4_S5_PKS7_SB_S5_SD_S8_SB_S5_SD_SB_PS3_PS7_21rocsparse_index_base_SG_SG_SG_bbb,"axG",@progbits,_ZN9rocsparseL26csrgemm_fill_block_per_rowILj1024ELj64ELj4096ELj137ELj32Eii21rocsparse_complex_numIfEEEvT5_PKS3_S5_NS_24const_host_device_scalarIT6_EEPKT4_S5_PKS7_SB_S5_SD_S8_SB_S5_SD_SB_PS3_PS7_21rocsparse_index_base_SG_SG_SG_bbb,comdat
.Lfunc_end56:
	.size	_ZN9rocsparseL26csrgemm_fill_block_per_rowILj1024ELj64ELj4096ELj137ELj32Eii21rocsparse_complex_numIfEEEvT5_PKS3_S5_NS_24const_host_device_scalarIT6_EEPKT4_S5_PKS7_SB_S5_SD_S8_SB_S5_SD_SB_PS3_PS7_21rocsparse_index_base_SG_SG_SG_bbb, .Lfunc_end56-_ZN9rocsparseL26csrgemm_fill_block_per_rowILj1024ELj64ELj4096ELj137ELj32Eii21rocsparse_complex_numIfEEEvT5_PKS3_S5_NS_24const_host_device_scalarIT6_EEPKT4_S5_PKS7_SB_S5_SD_S8_SB_S5_SD_SB_PS3_PS7_21rocsparse_index_base_SG_SG_SG_bbb
                                        ; -- End function
	.section	.AMDGPU.csdata,"",@progbits
; Kernel info:
; codeLenInByte = 4188
; NumSgprs: 52
; NumVgprs: 16
; ScratchSize: 0
; MemoryBound: 0
; FloatMode: 240
; IeeeMode: 1
; LDSByteSize: 0 bytes/workgroup (compile time only)
; SGPRBlocks: 6
; VGPRBlocks: 1
; NumSGPRsForWavesPerEU: 52
; NumVGPRsForWavesPerEU: 16
; Occupancy: 16
; WaveLimiterHint : 1
; COMPUTE_PGM_RSRC2:SCRATCH_EN: 0
; COMPUTE_PGM_RSRC2:USER_SGPR: 15
; COMPUTE_PGM_RSRC2:TRAP_HANDLER: 0
; COMPUTE_PGM_RSRC2:TGID_X_EN: 1
; COMPUTE_PGM_RSRC2:TGID_Y_EN: 0
; COMPUTE_PGM_RSRC2:TGID_Z_EN: 0
; COMPUTE_PGM_RSRC2:TIDIG_COMP_CNT: 0
	.section	.text._ZN9rocsparseL26csrgemm_fill_block_per_rowILj1024ELj64ELj4096ELj137ELj64Eii21rocsparse_complex_numIfEEEvT5_PKS3_S5_NS_24const_host_device_scalarIT6_EEPKT4_S5_PKS7_SB_S5_SD_S8_SB_S5_SD_SB_PS3_PS7_21rocsparse_index_base_SG_SG_SG_bbb,"axG",@progbits,_ZN9rocsparseL26csrgemm_fill_block_per_rowILj1024ELj64ELj4096ELj137ELj64Eii21rocsparse_complex_numIfEEEvT5_PKS3_S5_NS_24const_host_device_scalarIT6_EEPKT4_S5_PKS7_SB_S5_SD_S8_SB_S5_SD_SB_PS3_PS7_21rocsparse_index_base_SG_SG_SG_bbb,comdat
	.globl	_ZN9rocsparseL26csrgemm_fill_block_per_rowILj1024ELj64ELj4096ELj137ELj64Eii21rocsparse_complex_numIfEEEvT5_PKS3_S5_NS_24const_host_device_scalarIT6_EEPKT4_S5_PKS7_SB_S5_SD_S8_SB_S5_SD_SB_PS3_PS7_21rocsparse_index_base_SG_SG_SG_bbb ; -- Begin function _ZN9rocsparseL26csrgemm_fill_block_per_rowILj1024ELj64ELj4096ELj137ELj64Eii21rocsparse_complex_numIfEEEvT5_PKS3_S5_NS_24const_host_device_scalarIT6_EEPKT4_S5_PKS7_SB_S5_SD_S8_SB_S5_SD_SB_PS3_PS7_21rocsparse_index_base_SG_SG_SG_bbb
	.p2align	8
	.type	_ZN9rocsparseL26csrgemm_fill_block_per_rowILj1024ELj64ELj4096ELj137ELj64Eii21rocsparse_complex_numIfEEEvT5_PKS3_S5_NS_24const_host_device_scalarIT6_EEPKT4_S5_PKS7_SB_S5_SD_S8_SB_S5_SD_SB_PS3_PS7_21rocsparse_index_base_SG_SG_SG_bbb,@function
_ZN9rocsparseL26csrgemm_fill_block_per_rowILj1024ELj64ELj4096ELj137ELj64Eii21rocsparse_complex_numIfEEEvT5_PKS3_S5_NS_24const_host_device_scalarIT6_EEPKT4_S5_PKS7_SB_S5_SD_S8_SB_S5_SD_SB_PS3_PS7_21rocsparse_index_base_SG_SG_SG_bbb: ; @_ZN9rocsparseL26csrgemm_fill_block_per_rowILj1024ELj64ELj4096ELj137ELj64Eii21rocsparse_complex_numIfEEEvT5_PKS3_S5_NS_24const_host_device_scalarIT6_EEPKT4_S5_PKS7_SB_S5_SD_S8_SB_S5_SD_SB_PS3_PS7_21rocsparse_index_base_SG_SG_SG_bbb
; %bb.0:
	s_clause 0x6
	s_load_b32 s12, s[0:1], 0x98
	s_load_b256 s[16:23], s[0:1], 0x60
	s_load_b256 s[4:11], s[0:1], 0x40
	s_load_b128 s[40:43], s[0:1], 0x8
	s_load_b256 s[24:31], s[0:1], 0x20
	s_load_b64 s[34:35], s[0:1], 0x80
	s_load_b128 s[36:39], s[0:1], 0x88
	s_mov_b32 s3, 0
	s_mov_b32 s13, 0
	s_waitcnt lgkmcnt(0)
	s_bitcmp1_b32 s12, 0
	s_cselect_b32 s44, -1, 0
	s_bitcmp1_b32 s12, 16
	s_cselect_b32 s2, -1, 0
	s_delay_alu instid0(SALU_CYCLE_1) | instskip(SKIP_2) | instid1(VALU_DEP_1)
	s_xor_b32 s14, s2, -1
	s_bitcmp0_b32 s12, 0
	v_cndmask_b32_e64 v1, 0, 1, s14
	v_cmp_ne_u32_e32 vcc_lo, 1, v1
	s_cbranch_scc1 .LBB57_5
; %bb.1:
	s_load_b64 s[2:3], s[0:1], 0x18
	s_and_b32 vcc_lo, exec_lo, vcc_lo
	s_waitcnt lgkmcnt(0)
	s_mov_b32 s13, s2
	s_cbranch_vccnz .LBB57_3
; %bb.2:
	s_load_b32 s13, s[2:3], 0x0
.LBB57_3:
	s_and_not1_b32 vcc_lo, exec_lo, s14
	s_cbranch_vccnz .LBB57_5
; %bb.4:
	s_load_b32 s3, s[2:3], 0x4
.LBB57_5:
	s_bitcmp1_b32 s12, 8
	s_cselect_b32 s14, -1, 0
	s_bfe_u32 s2, s12, 0x10008
	s_mov_b32 s12, 0
	s_cmp_eq_u32 s2, 0
	s_mov_b32 s2, 0
	s_cbranch_scc1 .LBB57_11
; %bb.6:
	v_cmp_ne_u32_e32 vcc_lo, 1, v1
	s_mov_b32 s2, s8
	s_cbranch_vccnz .LBB57_8
; %bb.7:
	s_load_b32 s2, s[8:9], 0x0
.LBB57_8:
	v_cmp_ne_u32_e32 vcc_lo, 1, v1
	s_cbranch_vccnz .LBB57_10
; %bb.9:
	s_load_b32 s9, s[8:9], 0x4
.LBB57_10:
	s_waitcnt lgkmcnt(0)
	s_mov_b32 s12, s9
.LBB57_11:
	s_load_b32 s33, s[0:1], 0x0
	v_lshl_add_u32 v5, v0, 2, 0
	v_lshlrev_b32_e32 v1, 3, v0
	v_or_b32_e32 v6, 0xfffffc00, v0
	s_mov_b32 s0, 0
	s_delay_alu instid0(VALU_DEP_3) | instskip(NEXT) | instid1(VALU_DEP_3)
	v_mov_b32_e32 v2, v5
	v_add3_u32 v7, v1, 0, 0x4000
	v_mov_b32_e32 v1, 0
	s_delay_alu instid0(VALU_DEP_2)
	v_dual_mov_b32 v3, v6 :: v_dual_mov_b32 v8, v7
	s_waitcnt lgkmcnt(0)
	v_mov_b32_e32 v4, s33
.LBB57_12:                              ; =>This Inner Loop Header: Depth=1
	s_delay_alu instid0(VALU_DEP_2)
	v_add_nc_u32_e32 v3, 0x400, v3
	ds_store_b32 v2, v4
	ds_store_2addr_b32 v8, v1, v1 offset1:1
	v_add_nc_u32_e32 v8, 0x2000, v8
	v_add_nc_u32_e32 v2, 0x1000, v2
	v_cmp_lt_u32_e32 vcc_lo, 0xbff, v3
	s_or_b32 s0, vcc_lo, s0
	s_delay_alu instid0(SALU_CYCLE_1)
	s_and_not1_b32 exec_lo, exec_lo, s0
	s_cbranch_execnz .LBB57_12
; %bb.13:
	s_or_b32 exec_lo, exec_lo, s0
	s_waitcnt lgkmcnt(0)
	s_barrier
	buffer_gl0_inv
	s_load_b32 s0, s[40:41], 0x0
	s_mov_b32 s1, 0
	v_lshrrev_b32_e32 v8, 6, v0
	s_waitcnt lgkmcnt(0)
	s_add_i32 s0, s0, s15
	s_delay_alu instid0(SALU_CYCLE_1) | instskip(NEXT) | instid1(SALU_CYCLE_1)
	s_lshl_b64 s[0:1], s[0:1], 2
	s_add_u32 s0, s42, s0
	s_addc_u32 s1, s43, s1
	s_and_b32 vcc_lo, exec_lo, s44
	s_load_b32 s40, s[0:1], 0x0
	s_cbranch_vccz .LBB57_33
; %bb.14:
	s_waitcnt lgkmcnt(0)
	s_ashr_i32 s41, s40, 31
	v_subrev_nc_u32_e32 v1, s36, v8
	s_lshl_b64 s[0:1], s[40:41], 2
	s_delay_alu instid0(SALU_CYCLE_1)
	s_add_u32 s0, s24, s0
	s_addc_u32 s1, s25, s1
	s_load_b64 s[0:1], s[0:1], 0x0
	s_waitcnt lgkmcnt(0)
	v_add_nc_u32_e32 v1, s0, v1
	s_sub_i32 s0, s1, s36
	s_mov_b32 s1, exec_lo
	s_delay_alu instid0(VALU_DEP_1)
	v_cmpx_gt_i32_e64 s0, v1
	s_cbranch_execz .LBB57_32
; %bb.15:
	v_and_b32_e32 v2, 63, v0
	s_mov_b32 s8, 0
	s_delay_alu instid0(VALU_DEP_1)
	v_subrev_nc_u32_e32 v9, s37, v2
	s_branch .LBB57_17
.LBB57_16:                              ;   in Loop: Header=BB57_17 Depth=1
	s_or_b32 exec_lo, exec_lo, s9
	v_add_nc_u32_e32 v1, 16, v1
	s_delay_alu instid0(VALU_DEP_1) | instskip(SKIP_1) | instid1(SALU_CYCLE_1)
	v_cmp_le_i32_e32 vcc_lo, s0, v1
	s_or_b32 s8, vcc_lo, s8
	s_and_not1_b32 exec_lo, exec_lo, s8
	s_cbranch_execz .LBB57_32
.LBB57_17:                              ; =>This Loop Header: Depth=1
                                        ;     Child Loop BB57_20 Depth 2
                                        ;       Child Loop BB57_22 Depth 3
	v_ashrrev_i32_e32 v2, 31, v1
	s_mov_b32 s9, exec_lo
	s_delay_alu instid0(VALU_DEP_1) | instskip(NEXT) | instid1(VALU_DEP_1)
	v_lshlrev_b64 v[3:4], 2, v[1:2]
	v_add_co_u32 v3, vcc_lo, s26, v3
	s_delay_alu instid0(VALU_DEP_2) | instskip(SKIP_3) | instid1(VALU_DEP_1)
	v_add_co_ci_u32_e32 v4, vcc_lo, s27, v4, vcc_lo
	global_load_b32 v3, v[3:4], off
	s_waitcnt vmcnt(0)
	v_subrev_nc_u32_e32 v3, s36, v3
	v_ashrrev_i32_e32 v4, 31, v3
	s_delay_alu instid0(VALU_DEP_1) | instskip(NEXT) | instid1(VALU_DEP_1)
	v_lshlrev_b64 v[3:4], 2, v[3:4]
	v_add_co_u32 v3, vcc_lo, s30, v3
	s_delay_alu instid0(VALU_DEP_2) | instskip(SKIP_4) | instid1(VALU_DEP_1)
	v_add_co_ci_u32_e32 v4, vcc_lo, s31, v4, vcc_lo
	global_load_b64 v[3:4], v[3:4], off
	s_waitcnt vmcnt(0)
	v_subrev_nc_u32_e32 v10, s37, v4
	v_add_nc_u32_e32 v3, v3, v9
	v_cmpx_lt_i32_e64 v3, v10
	s_cbranch_execz .LBB57_16
; %bb.18:                               ;   in Loop: Header=BB57_17 Depth=1
	v_lshlrev_b64 v[11:12], 3, v[1:2]
	s_mov_b32 s15, 0
	s_delay_alu instid0(VALU_DEP_1) | instskip(NEXT) | instid1(VALU_DEP_2)
	v_add_co_u32 v11, vcc_lo, s28, v11
	v_add_co_ci_u32_e32 v12, vcc_lo, s29, v12, vcc_lo
	global_load_b64 v[12:13], v[11:12], off
	s_waitcnt vmcnt(0)
	v_mul_f32_e64 v2, v13, -s3
	s_delay_alu instid0(VALU_DEP_1) | instskip(NEXT) | instid1(VALU_DEP_1)
	v_dual_mul_f32 v11, s13, v13 :: v_dual_fmac_f32 v2, s13, v12
	v_fmac_f32_e32 v11, s3, v12
	s_branch .LBB57_20
.LBB57_19:                              ;   in Loop: Header=BB57_20 Depth=2
	s_or_b32 exec_lo, exec_lo, s24
	v_add_nc_u32_e32 v3, 64, v3
	s_delay_alu instid0(VALU_DEP_1) | instskip(SKIP_1) | instid1(SALU_CYCLE_1)
	v_cmp_ge_i32_e32 vcc_lo, v3, v10
	s_or_b32 s15, vcc_lo, s15
	s_and_not1_b32 exec_lo, exec_lo, s15
	s_cbranch_execz .LBB57_16
.LBB57_20:                              ;   Parent Loop BB57_17 Depth=1
                                        ; =>  This Loop Header: Depth=2
                                        ;       Child Loop BB57_22 Depth 3
	v_ashrrev_i32_e32 v4, 31, v3
	s_mov_b32 s24, 0
	s_delay_alu instid0(VALU_DEP_1) | instskip(SKIP_1) | instid1(VALU_DEP_2)
	v_lshlrev_b64 v[12:13], 2, v[3:4]
	v_lshlrev_b64 v[14:15], 3, v[3:4]
	v_add_co_u32 v12, vcc_lo, s4, v12
	s_delay_alu instid0(VALU_DEP_3)
	v_add_co_ci_u32_e32 v13, vcc_lo, s5, v13, vcc_lo
	global_load_b32 v4, v[12:13], off
	v_add_co_u32 v12, vcc_lo, s6, v14
	v_add_co_ci_u32_e32 v13, vcc_lo, s7, v15, vcc_lo
	global_load_b64 v[14:15], v[12:13], off
	s_waitcnt vmcnt(1)
	v_subrev_nc_u32_e32 v4, s37, v4
	s_delay_alu instid0(VALU_DEP_1) | instskip(SKIP_3) | instid1(VALU_DEP_2)
	v_mul_lo_u32 v16, 0x89, v4
	s_waitcnt vmcnt(0)
	v_mul_f32_e64 v12, v15, -v11
	v_mul_f32_e32 v13, v2, v15
	v_fmac_f32_e32 v12, v2, v14
	s_delay_alu instid0(VALU_DEP_2)
	v_dual_fmac_f32 v13, v11, v14 :: v_dual_and_b32 v14, 0xfff, v16
	s_branch .LBB57_22
.LBB57_21:                              ;   in Loop: Header=BB57_22 Depth=3
	s_or_b32 exec_lo, exec_lo, s25
	s_xor_b32 s25, s41, -1
	s_delay_alu instid0(SALU_CYCLE_1) | instskip(NEXT) | instid1(SALU_CYCLE_1)
	s_and_b32 s25, exec_lo, s25
	s_or_b32 s24, s25, s24
	s_delay_alu instid0(SALU_CYCLE_1)
	s_and_not1_b32 exec_lo, exec_lo, s24
	s_cbranch_execz .LBB57_19
.LBB57_22:                              ;   Parent Loop BB57_17 Depth=1
                                        ;     Parent Loop BB57_20 Depth=2
                                        ; =>    This Inner Loop Header: Depth=3
	s_delay_alu instid0(VALU_DEP_1)
	v_lshl_add_u32 v15, v14, 2, 0
	s_mov_b32 s25, exec_lo
                                        ; implicit-def: $sgpr41
	ds_load_b32 v16, v15
	s_waitcnt lgkmcnt(0)
	v_cmpx_ne_u32_e64 v16, v4
	s_xor_b32 s25, exec_lo, s25
	s_cbranch_execz .LBB57_30
; %bb.23:                               ;   in Loop: Header=BB57_22 Depth=3
	s_mov_b32 s42, exec_lo
                                        ; implicit-def: $sgpr41
	v_cmpx_ne_u32_e64 s33, v16
	s_xor_b32 s42, exec_lo, s42
; %bb.24:                               ;   in Loop: Header=BB57_22 Depth=3
	v_add_nc_u32_e32 v14, 1, v14
	s_mov_b32 s41, -1
                                        ; implicit-def: $vgpr15
	s_delay_alu instid0(VALU_DEP_1)
	v_and_b32_e32 v14, 0xfff, v14
; %bb.25:                               ;   in Loop: Header=BB57_22 Depth=3
	s_and_not1_saveexec_b32 s42, s42
	s_cbranch_execz .LBB57_29
; %bb.26:                               ;   in Loop: Header=BB57_22 Depth=3
	v_mov_b32_e32 v16, s33
	s_mov_b32 s43, -1
	s_mov_b32 s44, exec_lo
	ds_cmpstore_rtn_b32 v16, v15, v4, v16
	s_waitcnt lgkmcnt(0)
	v_cmpx_eq_u32_e64 s33, v16
	s_cbranch_execz .LBB57_28
; %bb.27:                               ;   in Loop: Header=BB57_22 Depth=3
	v_lshl_add_u32 v15, v14, 2, v15
	s_xor_b32 s43, exec_lo, -1
	ds_add_f32 v15, v12 offset:16384
	ds_add_f32 v15, v13 offset:16388
.LBB57_28:                              ;   in Loop: Header=BB57_22 Depth=3
	s_or_b32 exec_lo, exec_lo, s44
	s_delay_alu instid0(SALU_CYCLE_1) | instskip(SKIP_1) | instid1(SALU_CYCLE_1)
	s_and_not1_b32 s41, s41, exec_lo
	s_and_b32 s43, s43, exec_lo
	s_or_b32 s41, s41, s43
.LBB57_29:                              ;   in Loop: Header=BB57_22 Depth=3
	s_or_b32 exec_lo, exec_lo, s42
	s_delay_alu instid0(SALU_CYCLE_1)
	s_and_b32 s41, s41, exec_lo
                                        ; implicit-def: $vgpr15
.LBB57_30:                              ;   in Loop: Header=BB57_22 Depth=3
	s_and_not1_saveexec_b32 s25, s25
	s_cbranch_execz .LBB57_21
; %bb.31:                               ;   in Loop: Header=BB57_22 Depth=3
	v_lshl_add_u32 v15, v14, 2, v15
	s_and_not1_b32 s41, s41, exec_lo
	ds_add_f32 v15, v12 offset:16384
	ds_add_f32 v15, v13 offset:16388
	s_branch .LBB57_21
.LBB57_32:
	s_or_b32 exec_lo, exec_lo, s1
.LBB57_33:
	s_delay_alu instid0(SALU_CYCLE_1)
	s_and_not1_b32 vcc_lo, exec_lo, s14
	s_cbranch_vccnz .LBB57_50
; %bb.34:
	s_waitcnt lgkmcnt(0)
	s_ashr_i32 s41, s40, 31
	v_subrev_nc_u32_e32 v1, s39, v0
	s_lshl_b64 s[0:1], s[40:41], 2
	s_delay_alu instid0(SALU_CYCLE_1)
	s_add_u32 s0, s10, s0
	s_addc_u32 s1, s11, s1
	s_load_b64 s[0:1], s[0:1], 0x0
	s_waitcnt lgkmcnt(0)
	v_add_nc_u32_e32 v1, s0, v1
	s_sub_i32 s0, s1, s39
	s_mov_b32 s1, exec_lo
	s_delay_alu instid0(VALU_DEP_1)
	v_cmpx_gt_i32_e64 s0, v1
	s_cbranch_execz .LBB57_49
; %bb.35:
	s_mov_b32 s3, 0
	s_branch .LBB57_37
.LBB57_36:                              ;   in Loop: Header=BB57_37 Depth=1
	s_or_b32 exec_lo, exec_lo, s4
	v_add_nc_u32_e32 v1, 0x400, v1
	s_delay_alu instid0(VALU_DEP_1) | instskip(SKIP_1) | instid1(SALU_CYCLE_1)
	v_cmp_le_i32_e32 vcc_lo, s0, v1
	s_or_b32 s3, vcc_lo, s3
	s_and_not1_b32 exec_lo, exec_lo, s3
	s_cbranch_execz .LBB57_49
.LBB57_37:                              ; =>This Loop Header: Depth=1
                                        ;     Child Loop BB57_39 Depth 2
	v_ashrrev_i32_e32 v2, 31, v1
	s_mov_b32 s4, 0
	s_delay_alu instid0(VALU_DEP_1) | instskip(SKIP_1) | instid1(VALU_DEP_2)
	v_lshlrev_b64 v[3:4], 2, v[1:2]
	v_lshlrev_b64 v[9:10], 3, v[1:2]
	v_add_co_u32 v3, vcc_lo, s16, v3
	s_delay_alu instid0(VALU_DEP_3) | instskip(NEXT) | instid1(VALU_DEP_3)
	v_add_co_ci_u32_e32 v4, vcc_lo, s17, v4, vcc_lo
	v_add_co_u32 v2, vcc_lo, s18, v9
	global_load_b32 v4, v[3:4], off
	v_add_co_ci_u32_e32 v3, vcc_lo, s19, v10, vcc_lo
	global_load_b64 v[9:10], v[2:3], off
	s_waitcnt vmcnt(1)
	v_subrev_nc_u32_e32 v2, s39, v4
	s_delay_alu instid0(VALU_DEP_1) | instskip(SKIP_2) | instid1(VALU_DEP_1)
	v_mul_lo_u32 v11, 0x89, v2
	s_waitcnt vmcnt(0)
	v_mul_f32_e64 v3, v10, -s12
	v_dual_mul_f32 v4, s2, v10 :: v_dual_fmac_f32 v3, s2, v9
	s_delay_alu instid0(VALU_DEP_1)
	v_dual_fmac_f32 v4, s12, v9 :: v_dual_and_b32 v9, 0xfff, v11
	s_branch .LBB57_39
.LBB57_38:                              ;   in Loop: Header=BB57_39 Depth=2
	s_or_b32 exec_lo, exec_lo, s5
	s_xor_b32 s5, s6, -1
	s_delay_alu instid0(SALU_CYCLE_1) | instskip(NEXT) | instid1(SALU_CYCLE_1)
	s_and_b32 s5, exec_lo, s5
	s_or_b32 s4, s5, s4
	s_delay_alu instid0(SALU_CYCLE_1)
	s_and_not1_b32 exec_lo, exec_lo, s4
	s_cbranch_execz .LBB57_36
.LBB57_39:                              ;   Parent Loop BB57_37 Depth=1
                                        ; =>  This Inner Loop Header: Depth=2
	s_delay_alu instid0(VALU_DEP_1)
	v_lshl_add_u32 v10, v9, 2, 0
	s_mov_b32 s5, exec_lo
                                        ; implicit-def: $sgpr6
	ds_load_b32 v11, v10
	s_waitcnt lgkmcnt(0)
	v_cmpx_ne_u32_e64 v11, v2
	s_xor_b32 s5, exec_lo, s5
	s_cbranch_execz .LBB57_47
; %bb.40:                               ;   in Loop: Header=BB57_39 Depth=2
	s_mov_b32 s7, exec_lo
                                        ; implicit-def: $sgpr6
	v_cmpx_ne_u32_e64 s33, v11
	s_xor_b32 s7, exec_lo, s7
; %bb.41:                               ;   in Loop: Header=BB57_39 Depth=2
	v_add_nc_u32_e32 v9, 1, v9
	s_mov_b32 s6, -1
                                        ; implicit-def: $vgpr10
	s_delay_alu instid0(VALU_DEP_1)
	v_and_b32_e32 v9, 0xfff, v9
; %bb.42:                               ;   in Loop: Header=BB57_39 Depth=2
	s_and_not1_saveexec_b32 s7, s7
	s_cbranch_execz .LBB57_46
; %bb.43:                               ;   in Loop: Header=BB57_39 Depth=2
	v_mov_b32_e32 v11, s33
	s_mov_b32 s8, -1
	s_mov_b32 s9, exec_lo
	ds_cmpstore_rtn_b32 v11, v10, v2, v11
	s_waitcnt lgkmcnt(0)
	v_cmpx_eq_u32_e64 s33, v11
	s_cbranch_execz .LBB57_45
; %bb.44:                               ;   in Loop: Header=BB57_39 Depth=2
	v_lshl_add_u32 v10, v9, 2, v10
	s_xor_b32 s8, exec_lo, -1
	ds_add_f32 v10, v3 offset:16384
	ds_add_f32 v10, v4 offset:16388
.LBB57_45:                              ;   in Loop: Header=BB57_39 Depth=2
	s_or_b32 exec_lo, exec_lo, s9
	s_delay_alu instid0(SALU_CYCLE_1) | instskip(SKIP_1) | instid1(SALU_CYCLE_1)
	s_and_not1_b32 s6, s6, exec_lo
	s_and_b32 s8, s8, exec_lo
	s_or_b32 s6, s6, s8
.LBB57_46:                              ;   in Loop: Header=BB57_39 Depth=2
	s_or_b32 exec_lo, exec_lo, s7
	s_delay_alu instid0(SALU_CYCLE_1)
	s_and_b32 s6, s6, exec_lo
                                        ; implicit-def: $vgpr10
.LBB57_47:                              ;   in Loop: Header=BB57_39 Depth=2
	s_and_not1_saveexec_b32 s5, s5
	s_cbranch_execz .LBB57_38
; %bb.48:                               ;   in Loop: Header=BB57_39 Depth=2
	v_lshl_add_u32 v10, v9, 2, v10
	s_and_not1_b32 s6, s6, exec_lo
	ds_add_f32 v10, v3 offset:16384
	ds_add_f32 v10, v4 offset:16388
	s_branch .LBB57_38
.LBB57_49:
	s_or_b32 exec_lo, exec_lo, s1
.LBB57_50:
	v_mbcnt_lo_u32_b32 v1, -1, 0
	v_lshl_add_u32 v4, v8, 2, 0
	v_cmp_eq_u32_e32 vcc_lo, 0x3ff, v0
	v_cmp_lt_u32_e64 s0, 63, v0
	v_cmp_lt_u32_e64 s1, 0x7f, v0
	v_xor_b32_e32 v1, 63, v1
	v_cmp_lt_u32_e64 s2, 0xbf, v0
	v_cmp_lt_u32_e64 s3, 0xff, v0
	;; [unrolled: 1-line block ×4, first 2 shown]
	v_lshrrev_b64 v[1:2], v1, -1
	v_cmp_lt_u32_e64 s6, 0x1bf, v0
	v_cmp_lt_u32_e64 s7, 0x1ff, v0
	;; [unrolled: 1-line block ×9, first 2 shown]
	v_dual_mov_b32 v8, 0 :: v_dual_mov_b32 v9, 0
	s_mov_b32 s16, 0
	s_waitcnt lgkmcnt(0)
	s_barrier
	buffer_gl0_inv
	s_branch .LBB57_52
.LBB57_51:                              ;   in Loop: Header=BB57_52 Depth=1
	s_or_b32 exec_lo, exec_lo, s15
	s_waitcnt lgkmcnt(0)
	s_barrier
	buffer_gl0_inv
	ds_load_b32 v2, v8 offset:49212
	v_add_nc_u32_e32 v6, 0x400, v6
	v_add_nc_u32_e32 v7, 0x2000, v7
	;; [unrolled: 1-line block ×3, first 2 shown]
	s_delay_alu instid0(VALU_DEP_3) | instskip(NEXT) | instid1(VALU_DEP_1)
	v_cmp_lt_u32_e64 s15, 0xbff, v6
	s_or_b32 s16, s15, s16
	s_waitcnt lgkmcnt(0)
	v_add_nc_u32_e32 v9, v2, v9
	s_and_not1_b32 exec_lo, exec_lo, s16
	s_cbranch_execz .LBB57_86
.LBB57_52:                              ; =>This Inner Loop Header: Depth=1
	ds_load_b32 v10, v5
	ds_load_2addr_b32 v[2:3], v7 offset1:1
	s_waitcnt lgkmcnt(0)
	s_barrier
	buffer_gl0_inv
	v_cmp_gt_i32_e64 s15, s33, v10
	s_delay_alu instid0(VALU_DEP_1) | instskip(NEXT) | instid1(SALU_CYCLE_1)
	s_bcnt1_i32_b32 s17, s15
	v_dual_mov_b32 v12, s17 :: v_dual_and_b32 v11, s15, v1
	s_delay_alu instid0(VALU_DEP_1)
	v_bcnt_u32_b32 v11, v11, 0
	ds_store_b32 v4, v12 offset:49152
	s_waitcnt lgkmcnt(0)
	s_barrier
	buffer_gl0_inv
	s_and_saveexec_b32 s17, s0
	s_cbranch_execnz .LBB57_69
; %bb.53:                               ;   in Loop: Header=BB57_52 Depth=1
	s_or_b32 exec_lo, exec_lo, s17
	s_and_saveexec_b32 s17, s1
	s_cbranch_execnz .LBB57_70
.LBB57_54:                              ;   in Loop: Header=BB57_52 Depth=1
	s_or_b32 exec_lo, exec_lo, s17
	s_and_saveexec_b32 s17, s2
	s_cbranch_execnz .LBB57_71
.LBB57_55:                              ;   in Loop: Header=BB57_52 Depth=1
	s_or_b32 exec_lo, exec_lo, s17
	s_and_saveexec_b32 s17, s3
	s_cbranch_execnz .LBB57_72
.LBB57_56:                              ;   in Loop: Header=BB57_52 Depth=1
	s_or_b32 exec_lo, exec_lo, s17
	s_and_saveexec_b32 s17, s4
	s_cbranch_execnz .LBB57_73
.LBB57_57:                              ;   in Loop: Header=BB57_52 Depth=1
	s_or_b32 exec_lo, exec_lo, s17
	s_and_saveexec_b32 s17, s5
	s_cbranch_execnz .LBB57_74
.LBB57_58:                              ;   in Loop: Header=BB57_52 Depth=1
	s_or_b32 exec_lo, exec_lo, s17
	s_and_saveexec_b32 s17, s6
	s_cbranch_execnz .LBB57_75
.LBB57_59:                              ;   in Loop: Header=BB57_52 Depth=1
	s_or_b32 exec_lo, exec_lo, s17
	s_and_saveexec_b32 s17, s7
	s_cbranch_execnz .LBB57_76
.LBB57_60:                              ;   in Loop: Header=BB57_52 Depth=1
	s_or_b32 exec_lo, exec_lo, s17
	s_and_saveexec_b32 s17, s8
	s_cbranch_execnz .LBB57_77
.LBB57_61:                              ;   in Loop: Header=BB57_52 Depth=1
	s_or_b32 exec_lo, exec_lo, s17
	s_and_saveexec_b32 s17, s9
	s_cbranch_execnz .LBB57_78
.LBB57_62:                              ;   in Loop: Header=BB57_52 Depth=1
	s_or_b32 exec_lo, exec_lo, s17
	s_and_saveexec_b32 s17, s10
	s_cbranch_execnz .LBB57_79
.LBB57_63:                              ;   in Loop: Header=BB57_52 Depth=1
	s_or_b32 exec_lo, exec_lo, s17
	s_and_saveexec_b32 s17, s11
	s_cbranch_execnz .LBB57_80
.LBB57_64:                              ;   in Loop: Header=BB57_52 Depth=1
	s_or_b32 exec_lo, exec_lo, s17
	s_and_saveexec_b32 s17, s12
	s_cbranch_execnz .LBB57_81
.LBB57_65:                              ;   in Loop: Header=BB57_52 Depth=1
	s_or_b32 exec_lo, exec_lo, s17
	s_and_saveexec_b32 s17, s13
	s_cbranch_execnz .LBB57_82
.LBB57_66:                              ;   in Loop: Header=BB57_52 Depth=1
	s_or_b32 exec_lo, exec_lo, s17
	s_and_saveexec_b32 s17, s14
	s_cbranch_execnz .LBB57_83
.LBB57_67:                              ;   in Loop: Header=BB57_52 Depth=1
	s_or_b32 exec_lo, exec_lo, s17
	s_and_saveexec_b32 s17, s15
	s_cbranch_execnz .LBB57_84
.LBB57_68:                              ;   in Loop: Header=BB57_52 Depth=1
	s_or_b32 exec_lo, exec_lo, s17
	s_and_saveexec_b32 s15, vcc_lo
	s_cbranch_execz .LBB57_51
	s_branch .LBB57_85
.LBB57_69:                              ;   in Loop: Header=BB57_52 Depth=1
	ds_load_b32 v12, v8 offset:49152
	s_waitcnt lgkmcnt(0)
	v_add_nc_u32_e32 v11, v12, v11
	s_or_b32 exec_lo, exec_lo, s17
	s_and_saveexec_b32 s17, s1
	s_cbranch_execz .LBB57_54
.LBB57_70:                              ;   in Loop: Header=BB57_52 Depth=1
	ds_load_b32 v12, v8 offset:49156
	s_waitcnt lgkmcnt(0)
	v_add_nc_u32_e32 v11, v12, v11
	s_or_b32 exec_lo, exec_lo, s17
	s_and_saveexec_b32 s17, s2
	s_cbranch_execz .LBB57_55
.LBB57_71:                              ;   in Loop: Header=BB57_52 Depth=1
	ds_load_b32 v12, v8 offset:49160
	s_waitcnt lgkmcnt(0)
	v_add_nc_u32_e32 v11, v12, v11
	s_or_b32 exec_lo, exec_lo, s17
	s_and_saveexec_b32 s17, s3
	s_cbranch_execz .LBB57_56
.LBB57_72:                              ;   in Loop: Header=BB57_52 Depth=1
	ds_load_b32 v12, v8 offset:49164
	s_waitcnt lgkmcnt(0)
	v_add_nc_u32_e32 v11, v12, v11
	s_or_b32 exec_lo, exec_lo, s17
	s_and_saveexec_b32 s17, s4
	s_cbranch_execz .LBB57_57
.LBB57_73:                              ;   in Loop: Header=BB57_52 Depth=1
	ds_load_b32 v12, v8 offset:49168
	s_waitcnt lgkmcnt(0)
	v_add_nc_u32_e32 v11, v12, v11
	s_or_b32 exec_lo, exec_lo, s17
	s_and_saveexec_b32 s17, s5
	s_cbranch_execz .LBB57_58
.LBB57_74:                              ;   in Loop: Header=BB57_52 Depth=1
	ds_load_b32 v12, v8 offset:49172
	s_waitcnt lgkmcnt(0)
	v_add_nc_u32_e32 v11, v12, v11
	s_or_b32 exec_lo, exec_lo, s17
	s_and_saveexec_b32 s17, s6
	s_cbranch_execz .LBB57_59
.LBB57_75:                              ;   in Loop: Header=BB57_52 Depth=1
	ds_load_b32 v12, v8 offset:49176
	s_waitcnt lgkmcnt(0)
	v_add_nc_u32_e32 v11, v12, v11
	s_or_b32 exec_lo, exec_lo, s17
	s_and_saveexec_b32 s17, s7
	s_cbranch_execz .LBB57_60
.LBB57_76:                              ;   in Loop: Header=BB57_52 Depth=1
	ds_load_b32 v12, v8 offset:49180
	s_waitcnt lgkmcnt(0)
	v_add_nc_u32_e32 v11, v12, v11
	s_or_b32 exec_lo, exec_lo, s17
	s_and_saveexec_b32 s17, s8
	s_cbranch_execz .LBB57_61
.LBB57_77:                              ;   in Loop: Header=BB57_52 Depth=1
	ds_load_b32 v12, v8 offset:49184
	s_waitcnt lgkmcnt(0)
	v_add_nc_u32_e32 v11, v12, v11
	s_or_b32 exec_lo, exec_lo, s17
	s_and_saveexec_b32 s17, s9
	s_cbranch_execz .LBB57_62
.LBB57_78:                              ;   in Loop: Header=BB57_52 Depth=1
	ds_load_b32 v12, v8 offset:49188
	s_waitcnt lgkmcnt(0)
	v_add_nc_u32_e32 v11, v12, v11
	s_or_b32 exec_lo, exec_lo, s17
	s_and_saveexec_b32 s17, s10
	s_cbranch_execz .LBB57_63
.LBB57_79:                              ;   in Loop: Header=BB57_52 Depth=1
	ds_load_b32 v12, v8 offset:49192
	s_waitcnt lgkmcnt(0)
	v_add_nc_u32_e32 v11, v12, v11
	s_or_b32 exec_lo, exec_lo, s17
	s_and_saveexec_b32 s17, s11
	s_cbranch_execz .LBB57_64
.LBB57_80:                              ;   in Loop: Header=BB57_52 Depth=1
	ds_load_b32 v12, v8 offset:49196
	s_waitcnt lgkmcnt(0)
	v_add_nc_u32_e32 v11, v12, v11
	s_or_b32 exec_lo, exec_lo, s17
	s_and_saveexec_b32 s17, s12
	s_cbranch_execz .LBB57_65
.LBB57_81:                              ;   in Loop: Header=BB57_52 Depth=1
	ds_load_b32 v12, v8 offset:49200
	s_waitcnt lgkmcnt(0)
	v_add_nc_u32_e32 v11, v12, v11
	s_or_b32 exec_lo, exec_lo, s17
	s_and_saveexec_b32 s17, s13
	s_cbranch_execz .LBB57_66
.LBB57_82:                              ;   in Loop: Header=BB57_52 Depth=1
	ds_load_b32 v12, v8 offset:49204
	s_waitcnt lgkmcnt(0)
	v_add_nc_u32_e32 v11, v12, v11
	s_or_b32 exec_lo, exec_lo, s17
	s_and_saveexec_b32 s17, s14
	s_cbranch_execz .LBB57_67
.LBB57_83:                              ;   in Loop: Header=BB57_52 Depth=1
	ds_load_b32 v12, v8 offset:49208
	s_waitcnt lgkmcnt(0)
	v_add_nc_u32_e32 v11, v12, v11
	s_or_b32 exec_lo, exec_lo, s17
	s_and_saveexec_b32 s17, s15
	s_cbranch_execz .LBB57_68
.LBB57_84:                              ;   in Loop: Header=BB57_52 Depth=1
	s_delay_alu instid0(VALU_DEP_1) | instskip(NEXT) | instid1(VALU_DEP_1)
	v_add3_u32 v12, v9, -1, v11
	v_lshlrev_b32_e32 v13, 3, v12
	v_lshl_add_u32 v12, v12, 2, 0
	s_delay_alu instid0(VALU_DEP_2)
	v_add3_u32 v13, 0, v13, 0x4000
	ds_store_b32 v12, v10
	ds_store_2addr_b32 v13, v2, v3 offset1:1
	s_or_b32 exec_lo, exec_lo, s17
	s_and_saveexec_b32 s15, vcc_lo
	s_cbranch_execz .LBB57_51
.LBB57_85:                              ;   in Loop: Header=BB57_52 Depth=1
	ds_store_b32 v8, v11 offset:49212
	s_branch .LBB57_51
.LBB57_86:
	s_or_b32 exec_lo, exec_lo, s16
	s_ashr_i32 s41, s40, 31
	s_mov_b32 s3, exec_lo
	s_lshl_b64 s[0:1], s[40:41], 2
	s_delay_alu instid0(SALU_CYCLE_1) | instskip(SKIP_4) | instid1(SALU_CYCLE_1)
	s_add_u32 s0, s20, s0
	s_addc_u32 s1, s21, s1
	s_load_b64 s[0:1], s[0:1], 0x0
	s_waitcnt lgkmcnt(0)
	s_sub_i32 s2, s1, s0
	v_cmpx_gt_i32_e64 s2, v0
	s_cbranch_execz .LBB57_96
; %bb.87:
	s_sub_i32 s3, s0, s38
	s_sub_i32 s0, s0, s1
	s_and_b32 s1, s2, 7
	s_cmp_lt_u32 s0, -7
	s_mov_b32 s7, 0
	s_cselect_b32 s4, -1, 0
	s_and_b32 s5, s2, -8
	s_cmp_lg_u32 s1, 0
	s_cselect_b32 s6, -1, 0
	s_branch .LBB57_89
.LBB57_88:                              ;   in Loop: Header=BB57_89 Depth=1
	s_delay_alu instid0(VALU_DEP_1) | instskip(SKIP_3) | instid1(VALU_DEP_3)
	v_ashrrev_i32_e32 v4, 31, v3
	v_add_nc_u32_e32 v0, 0x400, v0
	s_waitcnt lgkmcnt(1)
	v_add_nc_u32_e32 v8, s38, v5
	v_lshlrev_b64 v[6:7], 2, v[3:4]
	v_lshlrev_b64 v[3:4], 3, v[3:4]
	v_cmp_le_i32_e32 vcc_lo, s2, v0
	s_delay_alu instid0(VALU_DEP_3) | instskip(NEXT) | instid1(VALU_DEP_1)
	v_add_co_u32 v5, s0, s22, v6
	v_add_co_ci_u32_e64 v6, s0, s23, v7, s0
	s_delay_alu instid0(VALU_DEP_4) | instskip(NEXT) | instid1(VALU_DEP_1)
	v_add_co_u32 v3, s0, s34, v3
	v_add_co_ci_u32_e64 v4, s0, s35, v4, s0
	s_or_b32 s7, vcc_lo, s7
	global_store_b32 v[5:6], v8, off
	s_waitcnt lgkmcnt(0)
	global_store_b64 v[3:4], v[1:2], off
	s_and_not1_b32 exec_lo, exec_lo, s7
	s_cbranch_execz .LBB57_96
.LBB57_89:                              ; =>This Loop Header: Depth=1
                                        ;     Child Loop BB57_91 Depth 2
                                        ;     Child Loop BB57_95 Depth 2
	v_lshlrev_b32_e32 v1, 2, v0
	s_and_not1_b32 vcc_lo, exec_lo, s4
	s_mov_b32 s0, 0
	s_delay_alu instid0(VALU_DEP_1) | instskip(NEXT) | instid1(VALU_DEP_1)
	v_dual_mov_b32 v3, s3 :: v_dual_add_nc_u32 v2, 0, v1
	v_add3_u32 v1, v2, v1, 0x4000
	ds_load_b32 v5, v2
	ds_load_2addr_b32 v[1:2], v1 offset1:1
	s_cbranch_vccnz .LBB57_93
; %bb.90:                               ;   in Loop: Header=BB57_89 Depth=1
	v_mov_b32_e32 v3, s3
	s_mov_b32 s8, 0
	s_set_inst_prefetch_distance 0x1
	.p2align	6
.LBB57_91:                              ;   Parent Loop BB57_89 Depth=1
                                        ; =>  This Inner Loop Header: Depth=2
	v_mov_b32_e32 v4, s8
	s_add_i32 s0, s0, 8
	s_add_i32 s8, s8, 32
	s_cmp_eq_u32 s5, s0
	ds_load_2addr_b32 v[6:7], v4 offset1:1
	ds_load_2addr_b32 v[8:9], v4 offset0:2 offset1:3
	ds_load_2addr_b32 v[10:11], v4 offset0:4 offset1:5
	;; [unrolled: 1-line block ×3, first 2 shown]
	s_waitcnt lgkmcnt(3)
	v_cmp_gt_i32_e32 vcc_lo, v5, v6
	v_cndmask_b32_e64 v4, 0, 1, vcc_lo
	s_waitcnt lgkmcnt(2)
	v_cmp_gt_i32_e32 vcc_lo, v5, v8
	v_cndmask_b32_e64 v6, 0, 1, vcc_lo
	v_cmp_gt_i32_e32 vcc_lo, v5, v7
	v_add_co_ci_u32_e32 v3, vcc_lo, v3, v4, vcc_lo
	s_waitcnt lgkmcnt(1)
	v_cmp_gt_i32_e32 vcc_lo, v5, v10
	v_cndmask_b32_e64 v4, 0, 1, vcc_lo
	v_cmp_gt_i32_e32 vcc_lo, v5, v9
	v_add_co_ci_u32_e32 v3, vcc_lo, v3, v6, vcc_lo
	;; [unrolled: 5-line block ×3, first 2 shown]
	v_cmp_gt_i32_e32 vcc_lo, v5, v13
	s_delay_alu instid0(VALU_DEP_2)
	v_add_co_ci_u32_e32 v3, vcc_lo, v3, v6, vcc_lo
	s_cbranch_scc0 .LBB57_91
; %bb.92:                               ;   in Loop: Header=BB57_89 Depth=1
	s_set_inst_prefetch_distance 0x2
	s_mov_b32 s0, s5
.LBB57_93:                              ;   in Loop: Header=BB57_89 Depth=1
	s_and_not1_b32 vcc_lo, exec_lo, s6
	s_cbranch_vccnz .LBB57_88
; %bb.94:                               ;   in Loop: Header=BB57_89 Depth=1
	s_lshl_b32 s0, s0, 2
	s_mov_b32 s8, s1
	s_add_i32 s0, s0, 0
.LBB57_95:                              ;   Parent Loop BB57_89 Depth=1
                                        ; =>  This Inner Loop Header: Depth=2
	s_delay_alu instid0(SALU_CYCLE_1)
	v_mov_b32_e32 v4, s0
	s_add_i32 s8, s8, -1
	s_add_i32 s0, s0, 4
	s_cmp_lg_u32 s8, 0
	ds_load_b32 v4, v4
	s_waitcnt lgkmcnt(0)
	v_cmp_gt_i32_e32 vcc_lo, v5, v4
	v_add_co_ci_u32_e32 v3, vcc_lo, 0, v3, vcc_lo
	s_cbranch_scc1 .LBB57_95
	s_branch .LBB57_88
.LBB57_96:
	s_nop 0
	s_sendmsg sendmsg(MSG_DEALLOC_VGPRS)
	s_endpgm
	.section	.rodata,"a",@progbits
	.p2align	6, 0x0
	.amdhsa_kernel _ZN9rocsparseL26csrgemm_fill_block_per_rowILj1024ELj64ELj4096ELj137ELj64Eii21rocsparse_complex_numIfEEEvT5_PKS3_S5_NS_24const_host_device_scalarIT6_EEPKT4_S5_PKS7_SB_S5_SD_S8_SB_S5_SD_SB_PS3_PS7_21rocsparse_index_base_SG_SG_SG_bbb
		.amdhsa_group_segment_fixed_size 0
		.amdhsa_private_segment_fixed_size 0
		.amdhsa_kernarg_size 156
		.amdhsa_user_sgpr_count 15
		.amdhsa_user_sgpr_dispatch_ptr 0
		.amdhsa_user_sgpr_queue_ptr 0
		.amdhsa_user_sgpr_kernarg_segment_ptr 1
		.amdhsa_user_sgpr_dispatch_id 0
		.amdhsa_user_sgpr_private_segment_size 0
		.amdhsa_wavefront_size32 1
		.amdhsa_uses_dynamic_stack 0
		.amdhsa_enable_private_segment 0
		.amdhsa_system_sgpr_workgroup_id_x 1
		.amdhsa_system_sgpr_workgroup_id_y 0
		.amdhsa_system_sgpr_workgroup_id_z 0
		.amdhsa_system_sgpr_workgroup_info 0
		.amdhsa_system_vgpr_workitem_id 0
		.amdhsa_next_free_vgpr 17
		.amdhsa_next_free_sgpr 45
		.amdhsa_reserve_vcc 1
		.amdhsa_float_round_mode_32 0
		.amdhsa_float_round_mode_16_64 0
		.amdhsa_float_denorm_mode_32 3
		.amdhsa_float_denorm_mode_16_64 3
		.amdhsa_dx10_clamp 1
		.amdhsa_ieee_mode 1
		.amdhsa_fp16_overflow 0
		.amdhsa_workgroup_processor_mode 1
		.amdhsa_memory_ordered 1
		.amdhsa_forward_progress 0
		.amdhsa_shared_vgpr_count 0
		.amdhsa_exception_fp_ieee_invalid_op 0
		.amdhsa_exception_fp_denorm_src 0
		.amdhsa_exception_fp_ieee_div_zero 0
		.amdhsa_exception_fp_ieee_overflow 0
		.amdhsa_exception_fp_ieee_underflow 0
		.amdhsa_exception_fp_ieee_inexact 0
		.amdhsa_exception_int_div_zero 0
	.end_amdhsa_kernel
	.section	.text._ZN9rocsparseL26csrgemm_fill_block_per_rowILj1024ELj64ELj4096ELj137ELj64Eii21rocsparse_complex_numIfEEEvT5_PKS3_S5_NS_24const_host_device_scalarIT6_EEPKT4_S5_PKS7_SB_S5_SD_S8_SB_S5_SD_SB_PS3_PS7_21rocsparse_index_base_SG_SG_SG_bbb,"axG",@progbits,_ZN9rocsparseL26csrgemm_fill_block_per_rowILj1024ELj64ELj4096ELj137ELj64Eii21rocsparse_complex_numIfEEEvT5_PKS3_S5_NS_24const_host_device_scalarIT6_EEPKT4_S5_PKS7_SB_S5_SD_S8_SB_S5_SD_SB_PS3_PS7_21rocsparse_index_base_SG_SG_SG_bbb,comdat
.Lfunc_end57:
	.size	_ZN9rocsparseL26csrgemm_fill_block_per_rowILj1024ELj64ELj4096ELj137ELj64Eii21rocsparse_complex_numIfEEEvT5_PKS3_S5_NS_24const_host_device_scalarIT6_EEPKT4_S5_PKS7_SB_S5_SD_S8_SB_S5_SD_SB_PS3_PS7_21rocsparse_index_base_SG_SG_SG_bbb, .Lfunc_end57-_ZN9rocsparseL26csrgemm_fill_block_per_rowILj1024ELj64ELj4096ELj137ELj64Eii21rocsparse_complex_numIfEEEvT5_PKS3_S5_NS_24const_host_device_scalarIT6_EEPKT4_S5_PKS7_SB_S5_SD_S8_SB_S5_SD_SB_PS3_PS7_21rocsparse_index_base_SG_SG_SG_bbb
                                        ; -- End function
	.section	.AMDGPU.csdata,"",@progbits
; Kernel info:
; codeLenInByte = 3348
; NumSgprs: 47
; NumVgprs: 17
; ScratchSize: 0
; MemoryBound: 0
; FloatMode: 240
; IeeeMode: 1
; LDSByteSize: 0 bytes/workgroup (compile time only)
; SGPRBlocks: 5
; VGPRBlocks: 2
; NumSGPRsForWavesPerEU: 47
; NumVGPRsForWavesPerEU: 17
; Occupancy: 16
; WaveLimiterHint : 1
; COMPUTE_PGM_RSRC2:SCRATCH_EN: 0
; COMPUTE_PGM_RSRC2:USER_SGPR: 15
; COMPUTE_PGM_RSRC2:TRAP_HANDLER: 0
; COMPUTE_PGM_RSRC2:TGID_X_EN: 1
; COMPUTE_PGM_RSRC2:TGID_Y_EN: 0
; COMPUTE_PGM_RSRC2:TGID_Z_EN: 0
; COMPUTE_PGM_RSRC2:TIDIG_COMP_CNT: 0
	.section	.text._ZN9rocsparseL26csrgemm_fill_block_per_rowILj1024ELj64ELj8192ELj137ELj32Eii21rocsparse_complex_numIfEEEvT5_PKS3_S5_NS_24const_host_device_scalarIT6_EEPKT4_S5_PKS7_SB_S5_SD_S8_SB_S5_SD_SB_PS3_PS7_21rocsparse_index_base_SG_SG_SG_bbb,"axG",@progbits,_ZN9rocsparseL26csrgemm_fill_block_per_rowILj1024ELj64ELj8192ELj137ELj32Eii21rocsparse_complex_numIfEEEvT5_PKS3_S5_NS_24const_host_device_scalarIT6_EEPKT4_S5_PKS7_SB_S5_SD_S8_SB_S5_SD_SB_PS3_PS7_21rocsparse_index_base_SG_SG_SG_bbb,comdat
	.globl	_ZN9rocsparseL26csrgemm_fill_block_per_rowILj1024ELj64ELj8192ELj137ELj32Eii21rocsparse_complex_numIfEEEvT5_PKS3_S5_NS_24const_host_device_scalarIT6_EEPKT4_S5_PKS7_SB_S5_SD_S8_SB_S5_SD_SB_PS3_PS7_21rocsparse_index_base_SG_SG_SG_bbb ; -- Begin function _ZN9rocsparseL26csrgemm_fill_block_per_rowILj1024ELj64ELj8192ELj137ELj32Eii21rocsparse_complex_numIfEEEvT5_PKS3_S5_NS_24const_host_device_scalarIT6_EEPKT4_S5_PKS7_SB_S5_SD_S8_SB_S5_SD_SB_PS3_PS7_21rocsparse_index_base_SG_SG_SG_bbb
	.p2align	8
	.type	_ZN9rocsparseL26csrgemm_fill_block_per_rowILj1024ELj64ELj8192ELj137ELj32Eii21rocsparse_complex_numIfEEEvT5_PKS3_S5_NS_24const_host_device_scalarIT6_EEPKT4_S5_PKS7_SB_S5_SD_S8_SB_S5_SD_SB_PS3_PS7_21rocsparse_index_base_SG_SG_SG_bbb,@function
_ZN9rocsparseL26csrgemm_fill_block_per_rowILj1024ELj64ELj8192ELj137ELj32Eii21rocsparse_complex_numIfEEEvT5_PKS3_S5_NS_24const_host_device_scalarIT6_EEPKT4_S5_PKS7_SB_S5_SD_S8_SB_S5_SD_SB_PS3_PS7_21rocsparse_index_base_SG_SG_SG_bbb: ; @_ZN9rocsparseL26csrgemm_fill_block_per_rowILj1024ELj64ELj8192ELj137ELj32Eii21rocsparse_complex_numIfEEEvT5_PKS3_S5_NS_24const_host_device_scalarIT6_EEPKT4_S5_PKS7_SB_S5_SD_S8_SB_S5_SD_SB_PS3_PS7_21rocsparse_index_base_SG_SG_SG_bbb
; %bb.0:
	s_clause 0x6
	s_load_b32 s12, s[0:1], 0x98
	s_load_b256 s[36:43], s[0:1], 0x60
	s_load_b256 s[4:11], s[0:1], 0x40
	s_load_b128 s[24:27], s[0:1], 0x8
	s_load_b256 s[16:23], s[0:1], 0x20
	s_load_b64 s[34:35], s[0:1], 0x80
	s_load_b128 s[44:47], s[0:1], 0x88
	s_mov_b32 s3, 0
	s_mov_b32 s13, 0
	s_waitcnt lgkmcnt(0)
	s_bitcmp1_b32 s12, 0
	s_cselect_b32 s28, -1, 0
	s_bitcmp1_b32 s12, 16
	s_cselect_b32 s2, -1, 0
	s_delay_alu instid0(SALU_CYCLE_1) | instskip(SKIP_2) | instid1(VALU_DEP_1)
	s_xor_b32 s14, s2, -1
	s_bitcmp0_b32 s12, 0
	v_cndmask_b32_e64 v1, 0, 1, s14
	v_cmp_ne_u32_e32 vcc_lo, 1, v1
	s_cbranch_scc1 .LBB58_5
; %bb.1:
	s_load_b64 s[2:3], s[0:1], 0x18
	s_and_b32 vcc_lo, exec_lo, vcc_lo
	s_waitcnt lgkmcnt(0)
	s_mov_b32 s13, s2
	s_cbranch_vccnz .LBB58_3
; %bb.2:
	s_load_b32 s13, s[2:3], 0x0
.LBB58_3:
	s_and_not1_b32 vcc_lo, exec_lo, s14
	s_cbranch_vccnz .LBB58_5
; %bb.4:
	s_load_b32 s3, s[2:3], 0x4
.LBB58_5:
	s_bitcmp1_b32 s12, 8
	s_cselect_b32 s14, -1, 0
	s_bfe_u32 s2, s12, 0x10008
	s_mov_b32 s12, 0
	s_cmp_eq_u32 s2, 0
	s_mov_b32 s2, 0
	s_cbranch_scc1 .LBB58_11
; %bb.6:
	v_cmp_ne_u32_e32 vcc_lo, 1, v1
	s_mov_b32 s2, s8
	s_cbranch_vccnz .LBB58_8
; %bb.7:
	s_load_b32 s2, s[8:9], 0x0
.LBB58_8:
	v_cmp_ne_u32_e32 vcc_lo, 1, v1
	s_cbranch_vccnz .LBB58_10
; %bb.9:
	s_load_b32 s9, s[8:9], 0x4
.LBB58_10:
	s_waitcnt lgkmcnt(0)
	s_mov_b32 s12, s9
.LBB58_11:
	s_load_b32 s33, s[0:1], 0x0
	v_lshlrev_b32_e32 v1, 2, v0
	v_dual_mov_b32 v3, 0 :: v_dual_lshlrev_b32 v6, 3, v0
	s_mov_b32 s1, 0
	s_delay_alu instid0(VALU_DEP_2) | instskip(NEXT) | instid1(VALU_DEP_2)
	v_add_nc_u32_e32 v5, 0, v1
	v_add3_u32 v2, 0, 0x8000, v6
	s_delay_alu instid0(VALU_DEP_2) | instskip(NEXT) | instid1(VALU_DEP_2)
	v_add3_u32 v1, v5, v1, 0x8000
	v_add_nc_u32_e32 v4, 0x2000, v2
	v_add_nc_u32_e32 v7, 0x4000, v2
	;; [unrolled: 1-line block ×3, first 2 shown]
	s_waitcnt lgkmcnt(0)
	v_dual_mov_b32 v12, s33 :: v_dual_add_nc_u32 v9, 0x8000, v2
	v_mov_b32_e32 v10, s33
	ds_store_2addr_b32 v1, v3, v3 offset1:1
	ds_store_2addr_b32 v4, v3, v3 offset1:1
	ds_store_2addr_b32 v7, v3, v3 offset1:1
	ds_store_2addr_b32 v8, v3, v3 offset1:1
	v_dual_mov_b32 v1, s33 :: v_dual_mov_b32 v4, s33
	v_dual_mov_b32 v7, s33 :: v_dual_mov_b32 v8, s33
	v_mov_b32_e32 v11, s33
	v_mov_b32_e32 v13, s33
	ds_store_2addr_stride64_b32 v5, v1, v4 offset1:16
	ds_store_2addr_stride64_b32 v5, v7, v8 offset0:32 offset1:48
	ds_store_2addr_stride64_b32 v5, v10, v11 offset0:64 offset1:80
	v_add_nc_u32_e32 v1, 0xa000, v2
	v_add_nc_u32_e32 v4, 0xc000, v2
	;; [unrolled: 1-line block ×3, first 2 shown]
	ds_store_2addr_stride64_b32 v5, v12, v13 offset0:96 offset1:112
	ds_store_2addr_b32 v9, v3, v3 offset1:1
	ds_store_2addr_b32 v1, v3, v3 offset1:1
	;; [unrolled: 1-line block ×4, first 2 shown]
	s_waitcnt lgkmcnt(0)
	s_barrier
	buffer_gl0_inv
	s_load_b32 s0, s[24:25], 0x0
	s_waitcnt lgkmcnt(0)
	s_add_i32 s0, s0, s15
	s_delay_alu instid0(SALU_CYCLE_1) | instskip(NEXT) | instid1(SALU_CYCLE_1)
	s_lshl_b64 s[0:1], s[0:1], 2
	s_add_u32 s0, s26, s0
	s_addc_u32 s1, s27, s1
	s_and_not1_b32 vcc_lo, exec_lo, s28
	s_load_b32 s48, s[0:1], 0x0
	s_cbranch_vccnz .LBB58_31
; %bb.12:
	s_waitcnt lgkmcnt(0)
	s_ashr_i32 s49, s48, 31
	v_lshrrev_b32_e32 v1, 6, v0
	s_lshl_b64 s[0:1], s[48:49], 2
	s_delay_alu instid0(SALU_CYCLE_1) | instskip(SKIP_1) | instid1(VALU_DEP_1)
	s_add_u32 s0, s16, s0
	s_addc_u32 s1, s17, s1
	v_subrev_nc_u32_e32 v1, s44, v1
	s_load_b64 s[0:1], s[0:1], 0x0
	s_waitcnt lgkmcnt(0)
	s_delay_alu instid0(VALU_DEP_1) | instskip(SKIP_2) | instid1(VALU_DEP_1)
	v_add_nc_u32_e32 v1, s0, v1
	s_sub_i32 s0, s1, s44
	s_mov_b32 s1, exec_lo
	v_cmpx_gt_i32_e64 s0, v1
	s_cbranch_execz .LBB58_30
; %bb.13:
	v_and_b32_e32 v2, 63, v0
	s_mov_b32 s8, 0
	s_delay_alu instid0(VALU_DEP_1)
	v_subrev_nc_u32_e32 v7, s45, v2
	s_branch .LBB58_15
.LBB58_14:                              ;   in Loop: Header=BB58_15 Depth=1
	s_or_b32 exec_lo, exec_lo, s9
	v_add_nc_u32_e32 v1, 16, v1
	s_delay_alu instid0(VALU_DEP_1) | instskip(SKIP_1) | instid1(SALU_CYCLE_1)
	v_cmp_le_i32_e32 vcc_lo, s0, v1
	s_or_b32 s8, vcc_lo, s8
	s_and_not1_b32 exec_lo, exec_lo, s8
	s_cbranch_execz .LBB58_30
.LBB58_15:                              ; =>This Loop Header: Depth=1
                                        ;     Child Loop BB58_18 Depth 2
                                        ;       Child Loop BB58_20 Depth 3
	v_ashrrev_i32_e32 v2, 31, v1
	s_mov_b32 s9, exec_lo
	s_delay_alu instid0(VALU_DEP_1) | instskip(NEXT) | instid1(VALU_DEP_1)
	v_lshlrev_b64 v[3:4], 2, v[1:2]
	v_add_co_u32 v3, vcc_lo, s18, v3
	s_delay_alu instid0(VALU_DEP_2) | instskip(SKIP_3) | instid1(VALU_DEP_1)
	v_add_co_ci_u32_e32 v4, vcc_lo, s19, v4, vcc_lo
	global_load_b32 v3, v[3:4], off
	s_waitcnt vmcnt(0)
	v_subrev_nc_u32_e32 v3, s44, v3
	v_ashrrev_i32_e32 v4, 31, v3
	s_delay_alu instid0(VALU_DEP_1) | instskip(NEXT) | instid1(VALU_DEP_1)
	v_lshlrev_b64 v[3:4], 2, v[3:4]
	v_add_co_u32 v3, vcc_lo, s22, v3
	s_delay_alu instid0(VALU_DEP_2) | instskip(SKIP_4) | instid1(VALU_DEP_1)
	v_add_co_ci_u32_e32 v4, vcc_lo, s23, v4, vcc_lo
	global_load_b64 v[3:4], v[3:4], off
	s_waitcnt vmcnt(0)
	v_subrev_nc_u32_e32 v8, s45, v4
	v_add_nc_u32_e32 v3, v3, v7
	v_cmpx_lt_i32_e64 v3, v8
	s_cbranch_execz .LBB58_14
; %bb.16:                               ;   in Loop: Header=BB58_15 Depth=1
	v_lshlrev_b64 v[9:10], 3, v[1:2]
	s_mov_b32 s15, 0
	s_delay_alu instid0(VALU_DEP_1) | instskip(NEXT) | instid1(VALU_DEP_2)
	v_add_co_u32 v9, vcc_lo, s20, v9
	v_add_co_ci_u32_e32 v10, vcc_lo, s21, v10, vcc_lo
	global_load_b64 v[10:11], v[9:10], off
	s_waitcnt vmcnt(0)
	v_mul_f32_e64 v2, v11, -s3
	s_delay_alu instid0(VALU_DEP_1) | instskip(NEXT) | instid1(VALU_DEP_1)
	v_dual_mul_f32 v9, s13, v11 :: v_dual_fmac_f32 v2, s13, v10
	v_fmac_f32_e32 v9, s3, v10
	s_branch .LBB58_18
.LBB58_17:                              ;   in Loop: Header=BB58_18 Depth=2
	s_or_b32 exec_lo, exec_lo, s16
	v_add_nc_u32_e32 v3, 64, v3
	s_delay_alu instid0(VALU_DEP_1) | instskip(SKIP_1) | instid1(SALU_CYCLE_1)
	v_cmp_ge_i32_e32 vcc_lo, v3, v8
	s_or_b32 s15, vcc_lo, s15
	s_and_not1_b32 exec_lo, exec_lo, s15
	s_cbranch_execz .LBB58_14
.LBB58_18:                              ;   Parent Loop BB58_15 Depth=1
                                        ; =>  This Loop Header: Depth=2
                                        ;       Child Loop BB58_20 Depth 3
	v_ashrrev_i32_e32 v4, 31, v3
	s_mov_b32 s16, 0
	s_delay_alu instid0(VALU_DEP_1) | instskip(SKIP_1) | instid1(VALU_DEP_2)
	v_lshlrev_b64 v[10:11], 2, v[3:4]
	v_lshlrev_b64 v[12:13], 3, v[3:4]
	v_add_co_u32 v10, vcc_lo, s4, v10
	s_delay_alu instid0(VALU_DEP_3)
	v_add_co_ci_u32_e32 v11, vcc_lo, s5, v11, vcc_lo
	global_load_b32 v4, v[10:11], off
	v_add_co_u32 v10, vcc_lo, s6, v12
	v_add_co_ci_u32_e32 v11, vcc_lo, s7, v13, vcc_lo
	global_load_b64 v[12:13], v[10:11], off
	s_waitcnt vmcnt(1)
	v_subrev_nc_u32_e32 v4, s45, v4
	s_delay_alu instid0(VALU_DEP_1) | instskip(SKIP_3) | instid1(VALU_DEP_2)
	v_mul_lo_u32 v14, 0x89, v4
	s_waitcnt vmcnt(0)
	v_mul_f32_e64 v10, v13, -v9
	v_mul_f32_e32 v11, v2, v13
	v_fmac_f32_e32 v10, v2, v12
	s_delay_alu instid0(VALU_DEP_2)
	v_dual_fmac_f32 v11, v9, v12 :: v_dual_and_b32 v12, 0x1fff, v14
	s_branch .LBB58_20
.LBB58_19:                              ;   in Loop: Header=BB58_20 Depth=3
	s_or_b32 exec_lo, exec_lo, s17
	s_xor_b32 s17, s24, -1
	s_delay_alu instid0(SALU_CYCLE_1) | instskip(NEXT) | instid1(SALU_CYCLE_1)
	s_and_b32 s17, exec_lo, s17
	s_or_b32 s16, s17, s16
	s_delay_alu instid0(SALU_CYCLE_1)
	s_and_not1_b32 exec_lo, exec_lo, s16
	s_cbranch_execz .LBB58_17
.LBB58_20:                              ;   Parent Loop BB58_15 Depth=1
                                        ;     Parent Loop BB58_18 Depth=2
                                        ; =>    This Inner Loop Header: Depth=3
	s_delay_alu instid0(VALU_DEP_1)
	v_lshl_add_u32 v13, v12, 2, 0
	s_mov_b32 s17, exec_lo
                                        ; implicit-def: $sgpr24
	ds_load_b32 v14, v13
	s_waitcnt lgkmcnt(0)
	v_cmpx_ne_u32_e64 v14, v4
	s_xor_b32 s17, exec_lo, s17
	s_cbranch_execz .LBB58_28
; %bb.21:                               ;   in Loop: Header=BB58_20 Depth=3
	s_mov_b32 s25, exec_lo
                                        ; implicit-def: $sgpr24
	v_cmpx_ne_u32_e64 s33, v14
	s_xor_b32 s25, exec_lo, s25
; %bb.22:                               ;   in Loop: Header=BB58_20 Depth=3
	v_add_nc_u32_e32 v12, 1, v12
	s_mov_b32 s24, -1
                                        ; implicit-def: $vgpr13
	s_delay_alu instid0(VALU_DEP_1)
	v_and_b32_e32 v12, 0x1fff, v12
; %bb.23:                               ;   in Loop: Header=BB58_20 Depth=3
	s_and_not1_saveexec_b32 s25, s25
	s_cbranch_execz .LBB58_27
; %bb.24:                               ;   in Loop: Header=BB58_20 Depth=3
	v_mov_b32_e32 v14, s33
	s_mov_b32 s26, -1
	s_mov_b32 s27, exec_lo
	ds_cmpstore_rtn_b32 v14, v13, v4, v14
	s_waitcnt lgkmcnt(0)
	v_cmpx_eq_u32_e64 s33, v14
	s_cbranch_execz .LBB58_26
; %bb.25:                               ;   in Loop: Header=BB58_20 Depth=3
	v_lshl_add_u32 v13, v12, 2, v13
	s_xor_b32 s26, exec_lo, -1
	ds_add_f32 v13, v10 offset:32768
	ds_add_f32 v13, v11 offset:32772
.LBB58_26:                              ;   in Loop: Header=BB58_20 Depth=3
	s_or_b32 exec_lo, exec_lo, s27
	s_delay_alu instid0(SALU_CYCLE_1) | instskip(SKIP_1) | instid1(SALU_CYCLE_1)
	s_and_not1_b32 s24, s24, exec_lo
	s_and_b32 s26, s26, exec_lo
	s_or_b32 s24, s24, s26
.LBB58_27:                              ;   in Loop: Header=BB58_20 Depth=3
	s_or_b32 exec_lo, exec_lo, s25
	s_delay_alu instid0(SALU_CYCLE_1)
	s_and_b32 s24, s24, exec_lo
                                        ; implicit-def: $vgpr13
.LBB58_28:                              ;   in Loop: Header=BB58_20 Depth=3
	s_and_not1_saveexec_b32 s17, s17
	s_cbranch_execz .LBB58_19
; %bb.29:                               ;   in Loop: Header=BB58_20 Depth=3
	v_lshl_add_u32 v13, v12, 2, v13
	s_and_not1_b32 s24, s24, exec_lo
	ds_add_f32 v13, v10 offset:32768
	ds_add_f32 v13, v11 offset:32772
	s_branch .LBB58_19
.LBB58_30:
	s_or_b32 exec_lo, exec_lo, s1
.LBB58_31:
	s_delay_alu instid0(SALU_CYCLE_1)
	s_and_not1_b32 vcc_lo, exec_lo, s14
	s_cbranch_vccnz .LBB58_48
; %bb.32:
	s_waitcnt lgkmcnt(0)
	s_ashr_i32 s49, s48, 31
	v_subrev_nc_u32_e32 v1, s47, v0
	s_lshl_b64 s[0:1], s[48:49], 2
	s_delay_alu instid0(SALU_CYCLE_1)
	s_add_u32 s0, s10, s0
	s_addc_u32 s1, s11, s1
	s_load_b64 s[0:1], s[0:1], 0x0
	s_waitcnt lgkmcnt(0)
	v_add_nc_u32_e32 v1, s0, v1
	s_sub_i32 s0, s1, s47
	s_mov_b32 s1, exec_lo
	s_delay_alu instid0(VALU_DEP_1)
	v_cmpx_gt_i32_e64 s0, v1
	s_cbranch_execz .LBB58_47
; %bb.33:
	s_mov_b32 s3, 0
	s_branch .LBB58_35
.LBB58_34:                              ;   in Loop: Header=BB58_35 Depth=1
	s_or_b32 exec_lo, exec_lo, s4
	v_add_nc_u32_e32 v1, 0x400, v1
	s_delay_alu instid0(VALU_DEP_1) | instskip(SKIP_1) | instid1(SALU_CYCLE_1)
	v_cmp_le_i32_e32 vcc_lo, s0, v1
	s_or_b32 s3, vcc_lo, s3
	s_and_not1_b32 exec_lo, exec_lo, s3
	s_cbranch_execz .LBB58_47
.LBB58_35:                              ; =>This Loop Header: Depth=1
                                        ;     Child Loop BB58_37 Depth 2
	v_ashrrev_i32_e32 v2, 31, v1
	s_mov_b32 s4, 0
	s_delay_alu instid0(VALU_DEP_1) | instskip(SKIP_1) | instid1(VALU_DEP_2)
	v_lshlrev_b64 v[3:4], 2, v[1:2]
	v_lshlrev_b64 v[7:8], 3, v[1:2]
	v_add_co_u32 v3, vcc_lo, s36, v3
	s_delay_alu instid0(VALU_DEP_3) | instskip(NEXT) | instid1(VALU_DEP_3)
	v_add_co_ci_u32_e32 v4, vcc_lo, s37, v4, vcc_lo
	v_add_co_u32 v2, vcc_lo, s38, v7
	global_load_b32 v4, v[3:4], off
	v_add_co_ci_u32_e32 v3, vcc_lo, s39, v8, vcc_lo
	global_load_b64 v[7:8], v[2:3], off
	s_waitcnt vmcnt(1)
	v_subrev_nc_u32_e32 v2, s47, v4
	s_delay_alu instid0(VALU_DEP_1) | instskip(SKIP_2) | instid1(VALU_DEP_1)
	v_mul_lo_u32 v9, 0x89, v2
	s_waitcnt vmcnt(0)
	v_mul_f32_e64 v3, v8, -s12
	v_dual_mul_f32 v4, s2, v8 :: v_dual_fmac_f32 v3, s2, v7
	s_delay_alu instid0(VALU_DEP_1)
	v_dual_fmac_f32 v4, s12, v7 :: v_dual_and_b32 v7, 0x1fff, v9
	s_branch .LBB58_37
.LBB58_36:                              ;   in Loop: Header=BB58_37 Depth=2
	s_or_b32 exec_lo, exec_lo, s5
	s_xor_b32 s5, s6, -1
	s_delay_alu instid0(SALU_CYCLE_1) | instskip(NEXT) | instid1(SALU_CYCLE_1)
	s_and_b32 s5, exec_lo, s5
	s_or_b32 s4, s5, s4
	s_delay_alu instid0(SALU_CYCLE_1)
	s_and_not1_b32 exec_lo, exec_lo, s4
	s_cbranch_execz .LBB58_34
.LBB58_37:                              ;   Parent Loop BB58_35 Depth=1
                                        ; =>  This Inner Loop Header: Depth=2
	s_delay_alu instid0(VALU_DEP_1)
	v_lshl_add_u32 v8, v7, 2, 0
	s_mov_b32 s5, exec_lo
                                        ; implicit-def: $sgpr6
	ds_load_b32 v9, v8
	s_waitcnt lgkmcnt(0)
	v_cmpx_ne_u32_e64 v9, v2
	s_xor_b32 s5, exec_lo, s5
	s_cbranch_execz .LBB58_45
; %bb.38:                               ;   in Loop: Header=BB58_37 Depth=2
	s_mov_b32 s7, exec_lo
                                        ; implicit-def: $sgpr6
	v_cmpx_ne_u32_e64 s33, v9
	s_xor_b32 s7, exec_lo, s7
; %bb.39:                               ;   in Loop: Header=BB58_37 Depth=2
	v_add_nc_u32_e32 v7, 1, v7
	s_mov_b32 s6, -1
                                        ; implicit-def: $vgpr8
	s_delay_alu instid0(VALU_DEP_1)
	v_and_b32_e32 v7, 0x1fff, v7
; %bb.40:                               ;   in Loop: Header=BB58_37 Depth=2
	s_and_not1_saveexec_b32 s7, s7
	s_cbranch_execz .LBB58_44
; %bb.41:                               ;   in Loop: Header=BB58_37 Depth=2
	v_mov_b32_e32 v9, s33
	s_mov_b32 s8, -1
	s_mov_b32 s9, exec_lo
	ds_cmpstore_rtn_b32 v9, v8, v2, v9
	s_waitcnt lgkmcnt(0)
	v_cmpx_eq_u32_e64 s33, v9
	s_cbranch_execz .LBB58_43
; %bb.42:                               ;   in Loop: Header=BB58_37 Depth=2
	v_lshl_add_u32 v8, v7, 2, v8
	s_xor_b32 s8, exec_lo, -1
	ds_add_f32 v8, v3 offset:32768
	ds_add_f32 v8, v4 offset:32772
.LBB58_43:                              ;   in Loop: Header=BB58_37 Depth=2
	s_or_b32 exec_lo, exec_lo, s9
	s_delay_alu instid0(SALU_CYCLE_1) | instskip(SKIP_1) | instid1(SALU_CYCLE_1)
	s_and_not1_b32 s6, s6, exec_lo
	s_and_b32 s8, s8, exec_lo
	s_or_b32 s6, s6, s8
.LBB58_44:                              ;   in Loop: Header=BB58_37 Depth=2
	s_or_b32 exec_lo, exec_lo, s7
	s_delay_alu instid0(SALU_CYCLE_1)
	s_and_b32 s6, s6, exec_lo
                                        ; implicit-def: $vgpr8
.LBB58_45:                              ;   in Loop: Header=BB58_37 Depth=2
	s_and_not1_saveexec_b32 s5, s5
	s_cbranch_execz .LBB58_36
; %bb.46:                               ;   in Loop: Header=BB58_37 Depth=2
	v_lshl_add_u32 v8, v7, 2, v8
	s_and_not1_b32 s6, s6, exec_lo
	ds_add_f32 v8, v3 offset:32768
	ds_add_f32 v8, v4 offset:32772
	s_branch .LBB58_36
.LBB58_47:
	s_or_b32 exec_lo, exec_lo, s1
.LBB58_48:
	v_mbcnt_lo_u32_b32 v1, -1, 0
	v_lshrrev_b32_e32 v2, 3, v0
	s_add_i32 s70, 0, 0x1807c
	v_cmp_eq_u32_e32 vcc_lo, 0x3ff, v0
	v_cmp_lt_u32_e64 s0, 31, v0
	v_xor_b32_e32 v1, 63, v1
	v_dual_mov_b32 v8, 0 :: v_dual_and_b32 v3, 0x7c, v2
	v_cmp_lt_u32_e64 s1, 63, v0
	v_cmp_lt_u32_e64 s2, 0x5f, v0
	s_delay_alu instid0(VALU_DEP_4) | instskip(NEXT) | instid1(VALU_DEP_4)
	v_lshrrev_b64 v[1:2], v1, -1
	v_add3_u32 v4, 0, 0x18000, v3
	v_cmp_lt_u32_e64 s3, 0x7f, v0
	v_cmp_lt_u32_e64 s4, 0x9f, v0
	;; [unrolled: 1-line block ×28, first 2 shown]
	v_add3_u32 v6, v6, 0, 0x8000
	v_or_b32_e32 v7, 0xfffffc00, v0
	v_mov_b32_e32 v9, s70
	s_mov_b32 s36, 0
	s_add_i32 s37, 0, 0x18000
	s_add_i32 s38, 0, 0x18004
	s_add_i32 s39, 0, 0x18008
	s_add_i32 s44, 0, 0x1800c
	s_add_i32 s45, 0, 0x18010
	s_add_i32 s47, 0, 0x18014
	s_add_i32 s49, 0, 0x18018
	s_add_i32 s50, 0, 0x1801c
	s_add_i32 s51, 0, 0x18020
	s_add_i32 s52, 0, 0x18024
	s_add_i32 s53, 0, 0x18028
	s_add_i32 s54, 0, 0x1802c
	s_add_i32 s55, 0, 0x18030
	s_add_i32 s56, 0, 0x18034
	s_add_i32 s57, 0, 0x18038
	s_add_i32 s58, 0, 0x1803c
	s_add_i32 s59, 0, 0x18040
	s_add_i32 s60, 0, 0x18044
	s_add_i32 s61, 0, 0x18048
	s_add_i32 s62, 0, 0x1804c
	s_add_i32 s63, 0, 0x18050
	s_add_i32 s64, 0, 0x18054
	s_add_i32 s65, 0, 0x18058
	s_add_i32 s66, 0, 0x1805c
	s_add_i32 s67, 0, 0x18060
	s_add_i32 s68, 0, 0x18064
	s_add_i32 s69, 0, 0x18068
	s_add_i32 s71, 0, 0x1806c
	s_add_i32 s72, 0, 0x18070
	s_add_i32 s73, 0, 0x18074
	s_add_i32 s74, 0, 0x18078
	s_waitcnt lgkmcnt(0)
	s_barrier
	buffer_gl0_inv
	s_branch .LBB58_50
.LBB58_49:                              ;   in Loop: Header=BB58_50 Depth=1
	s_or_b32 exec_lo, exec_lo, s31
	s_waitcnt lgkmcnt(0)
	s_barrier
	buffer_gl0_inv
	ds_load_b32 v2, v9
	v_add_nc_u32_e32 v7, 0x400, v7
	v_add_nc_u32_e32 v6, 0x2000, v6
	v_add_nc_u32_e32 v5, 0x1000, v5
	s_delay_alu instid0(VALU_DEP_3) | instskip(NEXT) | instid1(VALU_DEP_1)
	v_cmp_lt_u32_e64 s31, 0x1bff, v7
	s_or_b32 s36, s31, s36
	s_waitcnt lgkmcnt(0)
	v_add_nc_u32_e32 v8, v2, v8
	s_and_not1_b32 exec_lo, exec_lo, s36
	s_cbranch_execz .LBB58_116
.LBB58_50:                              ; =>This Inner Loop Header: Depth=1
	ds_load_b32 v10, v5
	ds_load_2addr_b32 v[2:3], v6 offset1:1
	s_waitcnt lgkmcnt(0)
	s_barrier
	buffer_gl0_inv
	v_cmp_gt_i32_e64 s31, s33, v10
	s_delay_alu instid0(VALU_DEP_1) | instskip(NEXT) | instid1(SALU_CYCLE_1)
	s_bcnt1_i32_b32 s75, s31
	v_dual_mov_b32 v12, s75 :: v_dual_and_b32 v11, s31, v1
	s_delay_alu instid0(VALU_DEP_1)
	v_bcnt_u32_b32 v11, v11, 0
	ds_store_b32 v4, v12
	s_waitcnt lgkmcnt(0)
	s_barrier
	buffer_gl0_inv
	s_and_saveexec_b32 s75, s0
	s_cbranch_execnz .LBB58_83
; %bb.51:                               ;   in Loop: Header=BB58_50 Depth=1
	s_or_b32 exec_lo, exec_lo, s75
	s_and_saveexec_b32 s75, s1
	s_cbranch_execnz .LBB58_84
.LBB58_52:                              ;   in Loop: Header=BB58_50 Depth=1
	s_or_b32 exec_lo, exec_lo, s75
	s_and_saveexec_b32 s75, s2
	s_cbranch_execnz .LBB58_85
.LBB58_53:                              ;   in Loop: Header=BB58_50 Depth=1
	s_or_b32 exec_lo, exec_lo, s75
	s_and_saveexec_b32 s75, s3
	s_cbranch_execnz .LBB58_86
.LBB58_54:                              ;   in Loop: Header=BB58_50 Depth=1
	s_or_b32 exec_lo, exec_lo, s75
	s_and_saveexec_b32 s75, s4
	s_cbranch_execnz .LBB58_87
.LBB58_55:                              ;   in Loop: Header=BB58_50 Depth=1
	s_or_b32 exec_lo, exec_lo, s75
	s_and_saveexec_b32 s75, s5
	s_cbranch_execnz .LBB58_88
.LBB58_56:                              ;   in Loop: Header=BB58_50 Depth=1
	s_or_b32 exec_lo, exec_lo, s75
	s_and_saveexec_b32 s75, s6
	s_cbranch_execnz .LBB58_89
.LBB58_57:                              ;   in Loop: Header=BB58_50 Depth=1
	s_or_b32 exec_lo, exec_lo, s75
	s_and_saveexec_b32 s75, s7
	s_cbranch_execnz .LBB58_90
.LBB58_58:                              ;   in Loop: Header=BB58_50 Depth=1
	s_or_b32 exec_lo, exec_lo, s75
	s_and_saveexec_b32 s75, s8
	s_cbranch_execnz .LBB58_91
.LBB58_59:                              ;   in Loop: Header=BB58_50 Depth=1
	s_or_b32 exec_lo, exec_lo, s75
	s_and_saveexec_b32 s75, s9
	s_cbranch_execnz .LBB58_92
.LBB58_60:                              ;   in Loop: Header=BB58_50 Depth=1
	s_or_b32 exec_lo, exec_lo, s75
	s_and_saveexec_b32 s75, s10
	s_cbranch_execnz .LBB58_93
.LBB58_61:                              ;   in Loop: Header=BB58_50 Depth=1
	s_or_b32 exec_lo, exec_lo, s75
	s_and_saveexec_b32 s75, s11
	s_cbranch_execnz .LBB58_94
.LBB58_62:                              ;   in Loop: Header=BB58_50 Depth=1
	s_or_b32 exec_lo, exec_lo, s75
	s_and_saveexec_b32 s75, s12
	s_cbranch_execnz .LBB58_95
.LBB58_63:                              ;   in Loop: Header=BB58_50 Depth=1
	s_or_b32 exec_lo, exec_lo, s75
	s_and_saveexec_b32 s75, s13
	s_cbranch_execnz .LBB58_96
.LBB58_64:                              ;   in Loop: Header=BB58_50 Depth=1
	s_or_b32 exec_lo, exec_lo, s75
	s_and_saveexec_b32 s75, s14
	s_cbranch_execnz .LBB58_97
.LBB58_65:                              ;   in Loop: Header=BB58_50 Depth=1
	s_or_b32 exec_lo, exec_lo, s75
	s_and_saveexec_b32 s75, s15
	s_cbranch_execnz .LBB58_98
.LBB58_66:                              ;   in Loop: Header=BB58_50 Depth=1
	s_or_b32 exec_lo, exec_lo, s75
	s_and_saveexec_b32 s75, s16
	s_cbranch_execnz .LBB58_99
.LBB58_67:                              ;   in Loop: Header=BB58_50 Depth=1
	s_or_b32 exec_lo, exec_lo, s75
	s_and_saveexec_b32 s75, s17
	s_cbranch_execnz .LBB58_100
.LBB58_68:                              ;   in Loop: Header=BB58_50 Depth=1
	s_or_b32 exec_lo, exec_lo, s75
	s_and_saveexec_b32 s75, s18
	s_cbranch_execnz .LBB58_101
.LBB58_69:                              ;   in Loop: Header=BB58_50 Depth=1
	s_or_b32 exec_lo, exec_lo, s75
	s_and_saveexec_b32 s75, s19
	s_cbranch_execnz .LBB58_102
.LBB58_70:                              ;   in Loop: Header=BB58_50 Depth=1
	s_or_b32 exec_lo, exec_lo, s75
	s_and_saveexec_b32 s75, s20
	s_cbranch_execnz .LBB58_103
.LBB58_71:                              ;   in Loop: Header=BB58_50 Depth=1
	s_or_b32 exec_lo, exec_lo, s75
	s_and_saveexec_b32 s75, s21
	s_cbranch_execnz .LBB58_104
.LBB58_72:                              ;   in Loop: Header=BB58_50 Depth=1
	s_or_b32 exec_lo, exec_lo, s75
	s_and_saveexec_b32 s75, s22
	s_cbranch_execnz .LBB58_105
.LBB58_73:                              ;   in Loop: Header=BB58_50 Depth=1
	s_or_b32 exec_lo, exec_lo, s75
	s_and_saveexec_b32 s75, s23
	s_cbranch_execnz .LBB58_106
.LBB58_74:                              ;   in Loop: Header=BB58_50 Depth=1
	s_or_b32 exec_lo, exec_lo, s75
	s_and_saveexec_b32 s75, s24
	s_cbranch_execnz .LBB58_107
.LBB58_75:                              ;   in Loop: Header=BB58_50 Depth=1
	s_or_b32 exec_lo, exec_lo, s75
	s_and_saveexec_b32 s75, s25
	s_cbranch_execnz .LBB58_108
.LBB58_76:                              ;   in Loop: Header=BB58_50 Depth=1
	s_or_b32 exec_lo, exec_lo, s75
	s_and_saveexec_b32 s75, s26
	s_cbranch_execnz .LBB58_109
.LBB58_77:                              ;   in Loop: Header=BB58_50 Depth=1
	s_or_b32 exec_lo, exec_lo, s75
	s_and_saveexec_b32 s75, s27
	s_cbranch_execnz .LBB58_110
.LBB58_78:                              ;   in Loop: Header=BB58_50 Depth=1
	s_or_b32 exec_lo, exec_lo, s75
	s_and_saveexec_b32 s75, s28
	s_cbranch_execnz .LBB58_111
.LBB58_79:                              ;   in Loop: Header=BB58_50 Depth=1
	s_or_b32 exec_lo, exec_lo, s75
	s_and_saveexec_b32 s75, s29
	s_cbranch_execnz .LBB58_112
.LBB58_80:                              ;   in Loop: Header=BB58_50 Depth=1
	s_or_b32 exec_lo, exec_lo, s75
	s_and_saveexec_b32 s75, s30
	s_cbranch_execnz .LBB58_113
.LBB58_81:                              ;   in Loop: Header=BB58_50 Depth=1
	s_or_b32 exec_lo, exec_lo, s75
	s_and_saveexec_b32 s75, s31
	s_cbranch_execnz .LBB58_114
.LBB58_82:                              ;   in Loop: Header=BB58_50 Depth=1
	s_or_b32 exec_lo, exec_lo, s75
	s_and_saveexec_b32 s31, vcc_lo
	s_cbranch_execz .LBB58_49
	s_branch .LBB58_115
.LBB58_83:                              ;   in Loop: Header=BB58_50 Depth=1
	v_mov_b32_e32 v12, s37
	ds_load_b32 v12, v12
	s_waitcnt lgkmcnt(0)
	v_add_nc_u32_e32 v11, v12, v11
	s_or_b32 exec_lo, exec_lo, s75
	s_and_saveexec_b32 s75, s1
	s_cbranch_execz .LBB58_52
.LBB58_84:                              ;   in Loop: Header=BB58_50 Depth=1
	v_mov_b32_e32 v12, s38
	ds_load_b32 v12, v12
	s_waitcnt lgkmcnt(0)
	v_add_nc_u32_e32 v11, v12, v11
	s_or_b32 exec_lo, exec_lo, s75
	s_and_saveexec_b32 s75, s2
	s_cbranch_execz .LBB58_53
.LBB58_85:                              ;   in Loop: Header=BB58_50 Depth=1
	v_mov_b32_e32 v12, s39
	ds_load_b32 v12, v12
	s_waitcnt lgkmcnt(0)
	v_add_nc_u32_e32 v11, v12, v11
	s_or_b32 exec_lo, exec_lo, s75
	s_and_saveexec_b32 s75, s3
	s_cbranch_execz .LBB58_54
.LBB58_86:                              ;   in Loop: Header=BB58_50 Depth=1
	v_mov_b32_e32 v12, s44
	ds_load_b32 v12, v12
	s_waitcnt lgkmcnt(0)
	v_add_nc_u32_e32 v11, v12, v11
	s_or_b32 exec_lo, exec_lo, s75
	s_and_saveexec_b32 s75, s4
	s_cbranch_execz .LBB58_55
.LBB58_87:                              ;   in Loop: Header=BB58_50 Depth=1
	v_mov_b32_e32 v12, s45
	ds_load_b32 v12, v12
	s_waitcnt lgkmcnt(0)
	v_add_nc_u32_e32 v11, v12, v11
	s_or_b32 exec_lo, exec_lo, s75
	s_and_saveexec_b32 s75, s5
	s_cbranch_execz .LBB58_56
.LBB58_88:                              ;   in Loop: Header=BB58_50 Depth=1
	v_mov_b32_e32 v12, s47
	ds_load_b32 v12, v12
	s_waitcnt lgkmcnt(0)
	v_add_nc_u32_e32 v11, v12, v11
	s_or_b32 exec_lo, exec_lo, s75
	s_and_saveexec_b32 s75, s6
	s_cbranch_execz .LBB58_57
.LBB58_89:                              ;   in Loop: Header=BB58_50 Depth=1
	v_mov_b32_e32 v12, s49
	ds_load_b32 v12, v12
	s_waitcnt lgkmcnt(0)
	v_add_nc_u32_e32 v11, v12, v11
	s_or_b32 exec_lo, exec_lo, s75
	s_and_saveexec_b32 s75, s7
	s_cbranch_execz .LBB58_58
.LBB58_90:                              ;   in Loop: Header=BB58_50 Depth=1
	v_mov_b32_e32 v12, s50
	ds_load_b32 v12, v12
	s_waitcnt lgkmcnt(0)
	v_add_nc_u32_e32 v11, v12, v11
	s_or_b32 exec_lo, exec_lo, s75
	s_and_saveexec_b32 s75, s8
	s_cbranch_execz .LBB58_59
.LBB58_91:                              ;   in Loop: Header=BB58_50 Depth=1
	v_mov_b32_e32 v12, s51
	ds_load_b32 v12, v12
	s_waitcnt lgkmcnt(0)
	v_add_nc_u32_e32 v11, v12, v11
	s_or_b32 exec_lo, exec_lo, s75
	s_and_saveexec_b32 s75, s9
	s_cbranch_execz .LBB58_60
.LBB58_92:                              ;   in Loop: Header=BB58_50 Depth=1
	v_mov_b32_e32 v12, s52
	ds_load_b32 v12, v12
	s_waitcnt lgkmcnt(0)
	v_add_nc_u32_e32 v11, v12, v11
	s_or_b32 exec_lo, exec_lo, s75
	s_and_saveexec_b32 s75, s10
	s_cbranch_execz .LBB58_61
.LBB58_93:                              ;   in Loop: Header=BB58_50 Depth=1
	v_mov_b32_e32 v12, s53
	ds_load_b32 v12, v12
	s_waitcnt lgkmcnt(0)
	v_add_nc_u32_e32 v11, v12, v11
	s_or_b32 exec_lo, exec_lo, s75
	s_and_saveexec_b32 s75, s11
	s_cbranch_execz .LBB58_62
.LBB58_94:                              ;   in Loop: Header=BB58_50 Depth=1
	v_mov_b32_e32 v12, s54
	ds_load_b32 v12, v12
	s_waitcnt lgkmcnt(0)
	v_add_nc_u32_e32 v11, v12, v11
	s_or_b32 exec_lo, exec_lo, s75
	s_and_saveexec_b32 s75, s12
	s_cbranch_execz .LBB58_63
.LBB58_95:                              ;   in Loop: Header=BB58_50 Depth=1
	v_mov_b32_e32 v12, s55
	ds_load_b32 v12, v12
	s_waitcnt lgkmcnt(0)
	v_add_nc_u32_e32 v11, v12, v11
	s_or_b32 exec_lo, exec_lo, s75
	s_and_saveexec_b32 s75, s13
	s_cbranch_execz .LBB58_64
.LBB58_96:                              ;   in Loop: Header=BB58_50 Depth=1
	v_mov_b32_e32 v12, s56
	ds_load_b32 v12, v12
	s_waitcnt lgkmcnt(0)
	v_add_nc_u32_e32 v11, v12, v11
	s_or_b32 exec_lo, exec_lo, s75
	s_and_saveexec_b32 s75, s14
	s_cbranch_execz .LBB58_65
.LBB58_97:                              ;   in Loop: Header=BB58_50 Depth=1
	v_mov_b32_e32 v12, s57
	ds_load_b32 v12, v12
	s_waitcnt lgkmcnt(0)
	v_add_nc_u32_e32 v11, v12, v11
	s_or_b32 exec_lo, exec_lo, s75
	s_and_saveexec_b32 s75, s15
	s_cbranch_execz .LBB58_66
.LBB58_98:                              ;   in Loop: Header=BB58_50 Depth=1
	v_mov_b32_e32 v12, s58
	ds_load_b32 v12, v12
	s_waitcnt lgkmcnt(0)
	v_add_nc_u32_e32 v11, v12, v11
	s_or_b32 exec_lo, exec_lo, s75
	s_and_saveexec_b32 s75, s16
	s_cbranch_execz .LBB58_67
.LBB58_99:                              ;   in Loop: Header=BB58_50 Depth=1
	v_mov_b32_e32 v12, s59
	ds_load_b32 v12, v12
	s_waitcnt lgkmcnt(0)
	v_add_nc_u32_e32 v11, v12, v11
	s_or_b32 exec_lo, exec_lo, s75
	s_and_saveexec_b32 s75, s17
	s_cbranch_execz .LBB58_68
.LBB58_100:                             ;   in Loop: Header=BB58_50 Depth=1
	v_mov_b32_e32 v12, s60
	ds_load_b32 v12, v12
	s_waitcnt lgkmcnt(0)
	v_add_nc_u32_e32 v11, v12, v11
	s_or_b32 exec_lo, exec_lo, s75
	s_and_saveexec_b32 s75, s18
	s_cbranch_execz .LBB58_69
.LBB58_101:                             ;   in Loop: Header=BB58_50 Depth=1
	v_mov_b32_e32 v12, s61
	ds_load_b32 v12, v12
	s_waitcnt lgkmcnt(0)
	v_add_nc_u32_e32 v11, v12, v11
	s_or_b32 exec_lo, exec_lo, s75
	s_and_saveexec_b32 s75, s19
	s_cbranch_execz .LBB58_70
.LBB58_102:                             ;   in Loop: Header=BB58_50 Depth=1
	v_mov_b32_e32 v12, s62
	ds_load_b32 v12, v12
	s_waitcnt lgkmcnt(0)
	v_add_nc_u32_e32 v11, v12, v11
	s_or_b32 exec_lo, exec_lo, s75
	s_and_saveexec_b32 s75, s20
	s_cbranch_execz .LBB58_71
.LBB58_103:                             ;   in Loop: Header=BB58_50 Depth=1
	v_mov_b32_e32 v12, s63
	ds_load_b32 v12, v12
	s_waitcnt lgkmcnt(0)
	v_add_nc_u32_e32 v11, v12, v11
	s_or_b32 exec_lo, exec_lo, s75
	s_and_saveexec_b32 s75, s21
	s_cbranch_execz .LBB58_72
.LBB58_104:                             ;   in Loop: Header=BB58_50 Depth=1
	v_mov_b32_e32 v12, s64
	ds_load_b32 v12, v12
	s_waitcnt lgkmcnt(0)
	v_add_nc_u32_e32 v11, v12, v11
	s_or_b32 exec_lo, exec_lo, s75
	s_and_saveexec_b32 s75, s22
	s_cbranch_execz .LBB58_73
.LBB58_105:                             ;   in Loop: Header=BB58_50 Depth=1
	v_mov_b32_e32 v12, s65
	ds_load_b32 v12, v12
	s_waitcnt lgkmcnt(0)
	v_add_nc_u32_e32 v11, v12, v11
	s_or_b32 exec_lo, exec_lo, s75
	s_and_saveexec_b32 s75, s23
	s_cbranch_execz .LBB58_74
.LBB58_106:                             ;   in Loop: Header=BB58_50 Depth=1
	v_mov_b32_e32 v12, s66
	ds_load_b32 v12, v12
	s_waitcnt lgkmcnt(0)
	v_add_nc_u32_e32 v11, v12, v11
	s_or_b32 exec_lo, exec_lo, s75
	s_and_saveexec_b32 s75, s24
	s_cbranch_execz .LBB58_75
.LBB58_107:                             ;   in Loop: Header=BB58_50 Depth=1
	v_mov_b32_e32 v12, s67
	ds_load_b32 v12, v12
	s_waitcnt lgkmcnt(0)
	v_add_nc_u32_e32 v11, v12, v11
	s_or_b32 exec_lo, exec_lo, s75
	s_and_saveexec_b32 s75, s25
	s_cbranch_execz .LBB58_76
.LBB58_108:                             ;   in Loop: Header=BB58_50 Depth=1
	v_mov_b32_e32 v12, s68
	ds_load_b32 v12, v12
	s_waitcnt lgkmcnt(0)
	v_add_nc_u32_e32 v11, v12, v11
	s_or_b32 exec_lo, exec_lo, s75
	s_and_saveexec_b32 s75, s26
	s_cbranch_execz .LBB58_77
.LBB58_109:                             ;   in Loop: Header=BB58_50 Depth=1
	v_mov_b32_e32 v12, s69
	ds_load_b32 v12, v12
	s_waitcnt lgkmcnt(0)
	v_add_nc_u32_e32 v11, v12, v11
	s_or_b32 exec_lo, exec_lo, s75
	s_and_saveexec_b32 s75, s27
	s_cbranch_execz .LBB58_78
.LBB58_110:                             ;   in Loop: Header=BB58_50 Depth=1
	v_mov_b32_e32 v12, s71
	ds_load_b32 v12, v12
	s_waitcnt lgkmcnt(0)
	v_add_nc_u32_e32 v11, v12, v11
	s_or_b32 exec_lo, exec_lo, s75
	s_and_saveexec_b32 s75, s28
	s_cbranch_execz .LBB58_79
.LBB58_111:                             ;   in Loop: Header=BB58_50 Depth=1
	v_mov_b32_e32 v12, s72
	ds_load_b32 v12, v12
	s_waitcnt lgkmcnt(0)
	v_add_nc_u32_e32 v11, v12, v11
	s_or_b32 exec_lo, exec_lo, s75
	s_and_saveexec_b32 s75, s29
	s_cbranch_execz .LBB58_80
.LBB58_112:                             ;   in Loop: Header=BB58_50 Depth=1
	v_mov_b32_e32 v12, s73
	ds_load_b32 v12, v12
	s_waitcnt lgkmcnt(0)
	v_add_nc_u32_e32 v11, v12, v11
	s_or_b32 exec_lo, exec_lo, s75
	s_and_saveexec_b32 s75, s30
	s_cbranch_execz .LBB58_81
.LBB58_113:                             ;   in Loop: Header=BB58_50 Depth=1
	v_mov_b32_e32 v12, s74
	ds_load_b32 v12, v12
	s_waitcnt lgkmcnt(0)
	v_add_nc_u32_e32 v11, v12, v11
	s_or_b32 exec_lo, exec_lo, s75
	s_and_saveexec_b32 s75, s31
	s_cbranch_execz .LBB58_82
.LBB58_114:                             ;   in Loop: Header=BB58_50 Depth=1
	s_delay_alu instid0(VALU_DEP_1) | instskip(NEXT) | instid1(VALU_DEP_1)
	v_add3_u32 v12, v8, -1, v11
	v_lshlrev_b32_e32 v13, 3, v12
	v_lshl_add_u32 v12, v12, 2, 0
	s_delay_alu instid0(VALU_DEP_2)
	v_add3_u32 v13, 0, v13, 0x8000
	ds_store_b32 v12, v10
	ds_store_2addr_b32 v13, v2, v3 offset1:1
	s_or_b32 exec_lo, exec_lo, s75
	s_and_saveexec_b32 s31, vcc_lo
	s_cbranch_execz .LBB58_49
.LBB58_115:                             ;   in Loop: Header=BB58_50 Depth=1
	v_mov_b32_e32 v2, s70
	ds_store_b32 v2, v11
	s_branch .LBB58_49
.LBB58_116:
	s_or_b32 exec_lo, exec_lo, s36
	s_ashr_i32 s49, s48, 31
	s_mov_b32 s3, exec_lo
	s_lshl_b64 s[0:1], s[48:49], 2
	s_delay_alu instid0(SALU_CYCLE_1) | instskip(SKIP_4) | instid1(SALU_CYCLE_1)
	s_add_u32 s0, s40, s0
	s_addc_u32 s1, s41, s1
	s_load_b64 s[0:1], s[0:1], 0x0
	s_waitcnt lgkmcnt(0)
	s_sub_i32 s2, s1, s0
	v_cmpx_gt_i32_e64 s2, v0
	s_cbranch_execz .LBB58_126
; %bb.117:
	s_sub_i32 s3, s0, s46
	s_sub_i32 s0, s0, s1
	s_and_b32 s1, s2, 7
	s_cmp_lt_u32 s0, -7
	s_mov_b32 s7, 0
	s_cselect_b32 s4, -1, 0
	s_and_b32 s5, s2, -8
	s_cmp_lg_u32 s1, 0
	s_cselect_b32 s6, -1, 0
	s_branch .LBB58_119
.LBB58_118:                             ;   in Loop: Header=BB58_119 Depth=1
	s_delay_alu instid0(VALU_DEP_1) | instskip(SKIP_3) | instid1(VALU_DEP_3)
	v_ashrrev_i32_e32 v4, 31, v3
	v_add_nc_u32_e32 v0, 0x400, v0
	s_waitcnt lgkmcnt(1)
	v_add_nc_u32_e32 v8, s46, v5
	v_lshlrev_b64 v[6:7], 2, v[3:4]
	v_lshlrev_b64 v[3:4], 3, v[3:4]
	v_cmp_le_i32_e32 vcc_lo, s2, v0
	s_delay_alu instid0(VALU_DEP_3) | instskip(NEXT) | instid1(VALU_DEP_1)
	v_add_co_u32 v5, s0, s42, v6
	v_add_co_ci_u32_e64 v6, s0, s43, v7, s0
	s_delay_alu instid0(VALU_DEP_4) | instskip(NEXT) | instid1(VALU_DEP_1)
	v_add_co_u32 v3, s0, s34, v3
	v_add_co_ci_u32_e64 v4, s0, s35, v4, s0
	s_or_b32 s7, vcc_lo, s7
	global_store_b32 v[5:6], v8, off
	s_waitcnt lgkmcnt(0)
	global_store_b64 v[3:4], v[1:2], off
	s_and_not1_b32 exec_lo, exec_lo, s7
	s_cbranch_execz .LBB58_126
.LBB58_119:                             ; =>This Loop Header: Depth=1
                                        ;     Child Loop BB58_121 Depth 2
                                        ;     Child Loop BB58_125 Depth 2
	v_lshlrev_b32_e32 v1, 2, v0
	s_and_not1_b32 vcc_lo, exec_lo, s4
	s_mov_b32 s0, 0
	s_delay_alu instid0(VALU_DEP_1) | instskip(NEXT) | instid1(VALU_DEP_1)
	v_dual_mov_b32 v3, s3 :: v_dual_add_nc_u32 v2, 0, v1
	v_add3_u32 v1, v2, v1, 0x8000
	ds_load_b32 v5, v2
	ds_load_2addr_b32 v[1:2], v1 offset1:1
	s_cbranch_vccnz .LBB58_123
; %bb.120:                              ;   in Loop: Header=BB58_119 Depth=1
	v_mov_b32_e32 v3, s3
	s_mov_b32 s8, 0
	s_set_inst_prefetch_distance 0x1
	.p2align	6
.LBB58_121:                             ;   Parent Loop BB58_119 Depth=1
                                        ; =>  This Inner Loop Header: Depth=2
	v_mov_b32_e32 v4, s8
	s_add_i32 s0, s0, 8
	s_add_i32 s8, s8, 32
	s_cmp_eq_u32 s5, s0
	ds_load_2addr_b32 v[6:7], v4 offset1:1
	ds_load_2addr_b32 v[8:9], v4 offset0:2 offset1:3
	ds_load_2addr_b32 v[10:11], v4 offset0:4 offset1:5
	ds_load_2addr_b32 v[12:13], v4 offset0:6 offset1:7
	s_waitcnt lgkmcnt(3)
	v_cmp_gt_i32_e32 vcc_lo, v5, v6
	v_cndmask_b32_e64 v4, 0, 1, vcc_lo
	s_waitcnt lgkmcnt(2)
	v_cmp_gt_i32_e32 vcc_lo, v5, v8
	v_cndmask_b32_e64 v6, 0, 1, vcc_lo
	v_cmp_gt_i32_e32 vcc_lo, v5, v7
	v_add_co_ci_u32_e32 v3, vcc_lo, v3, v4, vcc_lo
	s_waitcnt lgkmcnt(1)
	v_cmp_gt_i32_e32 vcc_lo, v5, v10
	v_cndmask_b32_e64 v4, 0, 1, vcc_lo
	v_cmp_gt_i32_e32 vcc_lo, v5, v9
	v_add_co_ci_u32_e32 v3, vcc_lo, v3, v6, vcc_lo
	;; [unrolled: 5-line block ×3, first 2 shown]
	v_cmp_gt_i32_e32 vcc_lo, v5, v13
	s_delay_alu instid0(VALU_DEP_2)
	v_add_co_ci_u32_e32 v3, vcc_lo, v3, v6, vcc_lo
	s_cbranch_scc0 .LBB58_121
; %bb.122:                              ;   in Loop: Header=BB58_119 Depth=1
	s_set_inst_prefetch_distance 0x2
	s_mov_b32 s0, s5
.LBB58_123:                             ;   in Loop: Header=BB58_119 Depth=1
	s_and_not1_b32 vcc_lo, exec_lo, s6
	s_cbranch_vccnz .LBB58_118
; %bb.124:                              ;   in Loop: Header=BB58_119 Depth=1
	s_lshl_b32 s0, s0, 2
	s_mov_b32 s8, s1
	s_add_i32 s0, s0, 0
.LBB58_125:                             ;   Parent Loop BB58_119 Depth=1
                                        ; =>  This Inner Loop Header: Depth=2
	s_delay_alu instid0(SALU_CYCLE_1)
	v_mov_b32_e32 v4, s0
	s_add_i32 s8, s8, -1
	s_add_i32 s0, s0, 4
	s_cmp_lg_u32 s8, 0
	ds_load_b32 v4, v4
	s_waitcnt lgkmcnt(0)
	v_cmp_gt_i32_e32 vcc_lo, v5, v4
	v_add_co_ci_u32_e32 v3, vcc_lo, 0, v3, vcc_lo
	s_cbranch_scc1 .LBB58_125
	s_branch .LBB58_118
.LBB58_126:
	s_nop 0
	s_sendmsg sendmsg(MSG_DEALLOC_VGPRS)
	s_endpgm
	.section	.rodata,"a",@progbits
	.p2align	6, 0x0
	.amdhsa_kernel _ZN9rocsparseL26csrgemm_fill_block_per_rowILj1024ELj64ELj8192ELj137ELj32Eii21rocsparse_complex_numIfEEEvT5_PKS3_S5_NS_24const_host_device_scalarIT6_EEPKT4_S5_PKS7_SB_S5_SD_S8_SB_S5_SD_SB_PS3_PS7_21rocsparse_index_base_SG_SG_SG_bbb
		.amdhsa_group_segment_fixed_size 0
		.amdhsa_private_segment_fixed_size 0
		.amdhsa_kernarg_size 156
		.amdhsa_user_sgpr_count 15
		.amdhsa_user_sgpr_dispatch_ptr 0
		.amdhsa_user_sgpr_queue_ptr 0
		.amdhsa_user_sgpr_kernarg_segment_ptr 1
		.amdhsa_user_sgpr_dispatch_id 0
		.amdhsa_user_sgpr_private_segment_size 0
		.amdhsa_wavefront_size32 1
		.amdhsa_uses_dynamic_stack 0
		.amdhsa_enable_private_segment 0
		.amdhsa_system_sgpr_workgroup_id_x 1
		.amdhsa_system_sgpr_workgroup_id_y 0
		.amdhsa_system_sgpr_workgroup_id_z 0
		.amdhsa_system_sgpr_workgroup_info 0
		.amdhsa_system_vgpr_workitem_id 0
		.amdhsa_next_free_vgpr 15
		.amdhsa_next_free_sgpr 76
		.amdhsa_reserve_vcc 1
		.amdhsa_float_round_mode_32 0
		.amdhsa_float_round_mode_16_64 0
		.amdhsa_float_denorm_mode_32 3
		.amdhsa_float_denorm_mode_16_64 3
		.amdhsa_dx10_clamp 1
		.amdhsa_ieee_mode 1
		.amdhsa_fp16_overflow 0
		.amdhsa_workgroup_processor_mode 1
		.amdhsa_memory_ordered 1
		.amdhsa_forward_progress 0
		.amdhsa_shared_vgpr_count 0
		.amdhsa_exception_fp_ieee_invalid_op 0
		.amdhsa_exception_fp_denorm_src 0
		.amdhsa_exception_fp_ieee_div_zero 0
		.amdhsa_exception_fp_ieee_overflow 0
		.amdhsa_exception_fp_ieee_underflow 0
		.amdhsa_exception_fp_ieee_inexact 0
		.amdhsa_exception_int_div_zero 0
	.end_amdhsa_kernel
	.section	.text._ZN9rocsparseL26csrgemm_fill_block_per_rowILj1024ELj64ELj8192ELj137ELj32Eii21rocsparse_complex_numIfEEEvT5_PKS3_S5_NS_24const_host_device_scalarIT6_EEPKT4_S5_PKS7_SB_S5_SD_S8_SB_S5_SD_SB_PS3_PS7_21rocsparse_index_base_SG_SG_SG_bbb,"axG",@progbits,_ZN9rocsparseL26csrgemm_fill_block_per_rowILj1024ELj64ELj8192ELj137ELj32Eii21rocsparse_complex_numIfEEEvT5_PKS3_S5_NS_24const_host_device_scalarIT6_EEPKT4_S5_PKS7_SB_S5_SD_S8_SB_S5_SD_SB_PS3_PS7_21rocsparse_index_base_SG_SG_SG_bbb,comdat
.Lfunc_end58:
	.size	_ZN9rocsparseL26csrgemm_fill_block_per_rowILj1024ELj64ELj8192ELj137ELj32Eii21rocsparse_complex_numIfEEEvT5_PKS3_S5_NS_24const_host_device_scalarIT6_EEPKT4_S5_PKS7_SB_S5_SD_S8_SB_S5_SD_SB_PS3_PS7_21rocsparse_index_base_SG_SG_SG_bbb, .Lfunc_end58-_ZN9rocsparseL26csrgemm_fill_block_per_rowILj1024ELj64ELj8192ELj137ELj32Eii21rocsparse_complex_numIfEEEvT5_PKS3_S5_NS_24const_host_device_scalarIT6_EEPKT4_S5_PKS7_SB_S5_SD_S8_SB_S5_SD_SB_PS3_PS7_21rocsparse_index_base_SG_SG_SG_bbb
                                        ; -- End function
	.section	.AMDGPU.csdata,"",@progbits
; Kernel info:
; codeLenInByte = 4696
; NumSgprs: 78
; NumVgprs: 15
; ScratchSize: 0
; MemoryBound: 0
; FloatMode: 240
; IeeeMode: 1
; LDSByteSize: 0 bytes/workgroup (compile time only)
; SGPRBlocks: 9
; VGPRBlocks: 1
; NumSGPRsForWavesPerEU: 78
; NumVGPRsForWavesPerEU: 15
; Occupancy: 16
; WaveLimiterHint : 1
; COMPUTE_PGM_RSRC2:SCRATCH_EN: 0
; COMPUTE_PGM_RSRC2:USER_SGPR: 15
; COMPUTE_PGM_RSRC2:TRAP_HANDLER: 0
; COMPUTE_PGM_RSRC2:TGID_X_EN: 1
; COMPUTE_PGM_RSRC2:TGID_Y_EN: 0
; COMPUTE_PGM_RSRC2:TGID_Z_EN: 0
; COMPUTE_PGM_RSRC2:TIDIG_COMP_CNT: 0
	.section	.text._ZN9rocsparseL26csrgemm_fill_block_per_rowILj1024ELj64ELj8192ELj137ELj64Eii21rocsparse_complex_numIfEEEvT5_PKS3_S5_NS_24const_host_device_scalarIT6_EEPKT4_S5_PKS7_SB_S5_SD_S8_SB_S5_SD_SB_PS3_PS7_21rocsparse_index_base_SG_SG_SG_bbb,"axG",@progbits,_ZN9rocsparseL26csrgemm_fill_block_per_rowILj1024ELj64ELj8192ELj137ELj64Eii21rocsparse_complex_numIfEEEvT5_PKS3_S5_NS_24const_host_device_scalarIT6_EEPKT4_S5_PKS7_SB_S5_SD_S8_SB_S5_SD_SB_PS3_PS7_21rocsparse_index_base_SG_SG_SG_bbb,comdat
	.globl	_ZN9rocsparseL26csrgemm_fill_block_per_rowILj1024ELj64ELj8192ELj137ELj64Eii21rocsparse_complex_numIfEEEvT5_PKS3_S5_NS_24const_host_device_scalarIT6_EEPKT4_S5_PKS7_SB_S5_SD_S8_SB_S5_SD_SB_PS3_PS7_21rocsparse_index_base_SG_SG_SG_bbb ; -- Begin function _ZN9rocsparseL26csrgemm_fill_block_per_rowILj1024ELj64ELj8192ELj137ELj64Eii21rocsparse_complex_numIfEEEvT5_PKS3_S5_NS_24const_host_device_scalarIT6_EEPKT4_S5_PKS7_SB_S5_SD_S8_SB_S5_SD_SB_PS3_PS7_21rocsparse_index_base_SG_SG_SG_bbb
	.p2align	8
	.type	_ZN9rocsparseL26csrgemm_fill_block_per_rowILj1024ELj64ELj8192ELj137ELj64Eii21rocsparse_complex_numIfEEEvT5_PKS3_S5_NS_24const_host_device_scalarIT6_EEPKT4_S5_PKS7_SB_S5_SD_S8_SB_S5_SD_SB_PS3_PS7_21rocsparse_index_base_SG_SG_SG_bbb,@function
_ZN9rocsparseL26csrgemm_fill_block_per_rowILj1024ELj64ELj8192ELj137ELj64Eii21rocsparse_complex_numIfEEEvT5_PKS3_S5_NS_24const_host_device_scalarIT6_EEPKT4_S5_PKS7_SB_S5_SD_S8_SB_S5_SD_SB_PS3_PS7_21rocsparse_index_base_SG_SG_SG_bbb: ; @_ZN9rocsparseL26csrgemm_fill_block_per_rowILj1024ELj64ELj8192ELj137ELj64Eii21rocsparse_complex_numIfEEEvT5_PKS3_S5_NS_24const_host_device_scalarIT6_EEPKT4_S5_PKS7_SB_S5_SD_S8_SB_S5_SD_SB_PS3_PS7_21rocsparse_index_base_SG_SG_SG_bbb
; %bb.0:
	s_clause 0x6
	s_load_b32 s12, s[0:1], 0x98
	s_load_b256 s[16:23], s[0:1], 0x60
	s_load_b256 s[4:11], s[0:1], 0x40
	s_load_b128 s[40:43], s[0:1], 0x8
	s_load_b256 s[24:31], s[0:1], 0x20
	s_load_b64 s[34:35], s[0:1], 0x80
	s_load_b128 s[36:39], s[0:1], 0x88
	s_mov_b32 s3, 0
	s_mov_b32 s13, 0
	s_waitcnt lgkmcnt(0)
	s_bitcmp1_b32 s12, 0
	s_cselect_b32 s44, -1, 0
	s_bitcmp1_b32 s12, 16
	s_cselect_b32 s2, -1, 0
	s_delay_alu instid0(SALU_CYCLE_1) | instskip(SKIP_2) | instid1(VALU_DEP_1)
	s_xor_b32 s14, s2, -1
	s_bitcmp0_b32 s12, 0
	v_cndmask_b32_e64 v1, 0, 1, s14
	v_cmp_ne_u32_e32 vcc_lo, 1, v1
	s_cbranch_scc1 .LBB59_5
; %bb.1:
	s_load_b64 s[2:3], s[0:1], 0x18
	s_and_b32 vcc_lo, exec_lo, vcc_lo
	s_waitcnt lgkmcnt(0)
	s_mov_b32 s13, s2
	s_cbranch_vccnz .LBB59_3
; %bb.2:
	s_load_b32 s13, s[2:3], 0x0
.LBB59_3:
	s_and_not1_b32 vcc_lo, exec_lo, s14
	s_cbranch_vccnz .LBB59_5
; %bb.4:
	s_load_b32 s3, s[2:3], 0x4
.LBB59_5:
	s_bitcmp1_b32 s12, 8
	s_cselect_b32 s14, -1, 0
	s_bfe_u32 s2, s12, 0x10008
	s_mov_b32 s12, 0
	s_cmp_eq_u32 s2, 0
	s_mov_b32 s2, 0
	s_cbranch_scc1 .LBB59_11
; %bb.6:
	v_cmp_ne_u32_e32 vcc_lo, 1, v1
	s_mov_b32 s2, s8
	s_cbranch_vccnz .LBB59_8
; %bb.7:
	s_load_b32 s2, s[8:9], 0x0
.LBB59_8:
	v_cmp_ne_u32_e32 vcc_lo, 1, v1
	s_cbranch_vccnz .LBB59_10
; %bb.9:
	s_load_b32 s9, s[8:9], 0x4
.LBB59_10:
	s_waitcnt lgkmcnt(0)
	s_mov_b32 s12, s9
.LBB59_11:
	s_load_b32 s33, s[0:1], 0x0
	v_lshlrev_b32_e32 v1, 2, v0
	v_dual_mov_b32 v3, 0 :: v_dual_lshlrev_b32 v6, 3, v0
	s_mov_b32 s1, 0
	s_delay_alu instid0(VALU_DEP_2) | instskip(NEXT) | instid1(VALU_DEP_2)
	v_add_nc_u32_e32 v5, 0, v1
	v_add3_u32 v2, 0, 0x8000, v6
	s_delay_alu instid0(VALU_DEP_2) | instskip(NEXT) | instid1(VALU_DEP_2)
	v_add3_u32 v1, v5, v1, 0x8000
	v_add_nc_u32_e32 v4, 0x2000, v2
	v_add_nc_u32_e32 v7, 0x4000, v2
	;; [unrolled: 1-line block ×3, first 2 shown]
	s_waitcnt lgkmcnt(0)
	v_dual_mov_b32 v12, s33 :: v_dual_add_nc_u32 v9, 0x8000, v2
	v_mov_b32_e32 v10, s33
	ds_store_2addr_b32 v1, v3, v3 offset1:1
	ds_store_2addr_b32 v4, v3, v3 offset1:1
	;; [unrolled: 1-line block ×4, first 2 shown]
	v_dual_mov_b32 v1, s33 :: v_dual_mov_b32 v4, s33
	v_dual_mov_b32 v7, s33 :: v_dual_mov_b32 v8, s33
	v_mov_b32_e32 v11, s33
	v_mov_b32_e32 v13, s33
	ds_store_2addr_stride64_b32 v5, v1, v4 offset1:16
	ds_store_2addr_stride64_b32 v5, v7, v8 offset0:32 offset1:48
	ds_store_2addr_stride64_b32 v5, v10, v11 offset0:64 offset1:80
	v_add_nc_u32_e32 v1, 0xa000, v2
	v_add_nc_u32_e32 v4, 0xc000, v2
	;; [unrolled: 1-line block ×3, first 2 shown]
	ds_store_2addr_stride64_b32 v5, v12, v13 offset0:96 offset1:112
	ds_store_2addr_b32 v9, v3, v3 offset1:1
	ds_store_2addr_b32 v1, v3, v3 offset1:1
	;; [unrolled: 1-line block ×4, first 2 shown]
	s_waitcnt lgkmcnt(0)
	s_barrier
	buffer_gl0_inv
	s_load_b32 s0, s[40:41], 0x0
	v_lshrrev_b32_e32 v7, 6, v0
	s_waitcnt lgkmcnt(0)
	s_add_i32 s0, s0, s15
	s_delay_alu instid0(SALU_CYCLE_1) | instskip(NEXT) | instid1(SALU_CYCLE_1)
	s_lshl_b64 s[0:1], s[0:1], 2
	s_add_u32 s0, s42, s0
	s_addc_u32 s1, s43, s1
	s_and_not1_b32 vcc_lo, exec_lo, s44
	s_load_b32 s40, s[0:1], 0x0
	s_cbranch_vccnz .LBB59_31
; %bb.12:
	s_waitcnt lgkmcnt(0)
	s_ashr_i32 s41, s40, 31
	v_subrev_nc_u32_e32 v1, s36, v7
	s_lshl_b64 s[0:1], s[40:41], 2
	s_delay_alu instid0(SALU_CYCLE_1)
	s_add_u32 s0, s24, s0
	s_addc_u32 s1, s25, s1
	s_load_b64 s[0:1], s[0:1], 0x0
	s_waitcnt lgkmcnt(0)
	v_add_nc_u32_e32 v1, s0, v1
	s_sub_i32 s0, s1, s36
	s_mov_b32 s1, exec_lo
	s_delay_alu instid0(VALU_DEP_1)
	v_cmpx_gt_i32_e64 s0, v1
	s_cbranch_execz .LBB59_30
; %bb.13:
	v_and_b32_e32 v2, 63, v0
	s_mov_b32 s8, 0
	s_delay_alu instid0(VALU_DEP_1)
	v_subrev_nc_u32_e32 v8, s37, v2
	s_branch .LBB59_15
.LBB59_14:                              ;   in Loop: Header=BB59_15 Depth=1
	s_or_b32 exec_lo, exec_lo, s9
	v_add_nc_u32_e32 v1, 16, v1
	s_delay_alu instid0(VALU_DEP_1) | instskip(SKIP_1) | instid1(SALU_CYCLE_1)
	v_cmp_le_i32_e32 vcc_lo, s0, v1
	s_or_b32 s8, vcc_lo, s8
	s_and_not1_b32 exec_lo, exec_lo, s8
	s_cbranch_execz .LBB59_30
.LBB59_15:                              ; =>This Loop Header: Depth=1
                                        ;     Child Loop BB59_18 Depth 2
                                        ;       Child Loop BB59_20 Depth 3
	v_ashrrev_i32_e32 v2, 31, v1
	s_mov_b32 s9, exec_lo
	s_delay_alu instid0(VALU_DEP_1) | instskip(NEXT) | instid1(VALU_DEP_1)
	v_lshlrev_b64 v[3:4], 2, v[1:2]
	v_add_co_u32 v3, vcc_lo, s26, v3
	s_delay_alu instid0(VALU_DEP_2) | instskip(SKIP_3) | instid1(VALU_DEP_1)
	v_add_co_ci_u32_e32 v4, vcc_lo, s27, v4, vcc_lo
	global_load_b32 v3, v[3:4], off
	s_waitcnt vmcnt(0)
	v_subrev_nc_u32_e32 v3, s36, v3
	v_ashrrev_i32_e32 v4, 31, v3
	s_delay_alu instid0(VALU_DEP_1) | instskip(NEXT) | instid1(VALU_DEP_1)
	v_lshlrev_b64 v[3:4], 2, v[3:4]
	v_add_co_u32 v3, vcc_lo, s30, v3
	s_delay_alu instid0(VALU_DEP_2) | instskip(SKIP_4) | instid1(VALU_DEP_1)
	v_add_co_ci_u32_e32 v4, vcc_lo, s31, v4, vcc_lo
	global_load_b64 v[3:4], v[3:4], off
	s_waitcnt vmcnt(0)
	v_subrev_nc_u32_e32 v9, s37, v4
	v_add_nc_u32_e32 v3, v3, v8
	v_cmpx_lt_i32_e64 v3, v9
	s_cbranch_execz .LBB59_14
; %bb.16:                               ;   in Loop: Header=BB59_15 Depth=1
	v_lshlrev_b64 v[10:11], 3, v[1:2]
	s_mov_b32 s15, 0
	s_delay_alu instid0(VALU_DEP_1) | instskip(NEXT) | instid1(VALU_DEP_2)
	v_add_co_u32 v10, vcc_lo, s28, v10
	v_add_co_ci_u32_e32 v11, vcc_lo, s29, v11, vcc_lo
	global_load_b64 v[11:12], v[10:11], off
	s_waitcnt vmcnt(0)
	v_mul_f32_e64 v2, v12, -s3
	v_mul_f32_e32 v10, s13, v12
	s_delay_alu instid0(VALU_DEP_2) | instskip(NEXT) | instid1(VALU_DEP_2)
	v_fmac_f32_e32 v2, s13, v11
	v_fmac_f32_e32 v10, s3, v11
	s_branch .LBB59_18
.LBB59_17:                              ;   in Loop: Header=BB59_18 Depth=2
	s_or_b32 exec_lo, exec_lo, s24
	v_add_nc_u32_e32 v3, 64, v3
	s_delay_alu instid0(VALU_DEP_1) | instskip(SKIP_1) | instid1(SALU_CYCLE_1)
	v_cmp_ge_i32_e32 vcc_lo, v3, v9
	s_or_b32 s15, vcc_lo, s15
	s_and_not1_b32 exec_lo, exec_lo, s15
	s_cbranch_execz .LBB59_14
.LBB59_18:                              ;   Parent Loop BB59_15 Depth=1
                                        ; =>  This Loop Header: Depth=2
                                        ;       Child Loop BB59_20 Depth 3
	v_ashrrev_i32_e32 v4, 31, v3
	s_mov_b32 s24, 0
	s_delay_alu instid0(VALU_DEP_1) | instskip(SKIP_1) | instid1(VALU_DEP_2)
	v_lshlrev_b64 v[11:12], 2, v[3:4]
	v_lshlrev_b64 v[13:14], 3, v[3:4]
	v_add_co_u32 v11, vcc_lo, s4, v11
	s_delay_alu instid0(VALU_DEP_3)
	v_add_co_ci_u32_e32 v12, vcc_lo, s5, v12, vcc_lo
	global_load_b32 v4, v[11:12], off
	v_add_co_u32 v11, vcc_lo, s6, v13
	v_add_co_ci_u32_e32 v12, vcc_lo, s7, v14, vcc_lo
	global_load_b64 v[13:14], v[11:12], off
	s_waitcnt vmcnt(1)
	v_subrev_nc_u32_e32 v4, s37, v4
	s_delay_alu instid0(VALU_DEP_1) | instskip(SKIP_3) | instid1(VALU_DEP_2)
	v_mul_lo_u32 v15, 0x89, v4
	s_waitcnt vmcnt(0)
	v_mul_f32_e64 v11, v14, -v10
	v_mul_f32_e32 v12, v2, v14
	v_fmac_f32_e32 v11, v2, v13
	s_delay_alu instid0(VALU_DEP_2)
	v_dual_fmac_f32 v12, v10, v13 :: v_dual_and_b32 v13, 0x1fff, v15
	s_branch .LBB59_20
.LBB59_19:                              ;   in Loop: Header=BB59_20 Depth=3
	s_or_b32 exec_lo, exec_lo, s25
	s_xor_b32 s25, s41, -1
	s_delay_alu instid0(SALU_CYCLE_1) | instskip(NEXT) | instid1(SALU_CYCLE_1)
	s_and_b32 s25, exec_lo, s25
	s_or_b32 s24, s25, s24
	s_delay_alu instid0(SALU_CYCLE_1)
	s_and_not1_b32 exec_lo, exec_lo, s24
	s_cbranch_execz .LBB59_17
.LBB59_20:                              ;   Parent Loop BB59_15 Depth=1
                                        ;     Parent Loop BB59_18 Depth=2
                                        ; =>    This Inner Loop Header: Depth=3
	s_delay_alu instid0(VALU_DEP_1)
	v_lshl_add_u32 v14, v13, 2, 0
	s_mov_b32 s25, exec_lo
                                        ; implicit-def: $sgpr41
	ds_load_b32 v15, v14
	s_waitcnt lgkmcnt(0)
	v_cmpx_ne_u32_e64 v15, v4
	s_xor_b32 s25, exec_lo, s25
	s_cbranch_execz .LBB59_28
; %bb.21:                               ;   in Loop: Header=BB59_20 Depth=3
	s_mov_b32 s42, exec_lo
                                        ; implicit-def: $sgpr41
	v_cmpx_ne_u32_e64 s33, v15
	s_xor_b32 s42, exec_lo, s42
; %bb.22:                               ;   in Loop: Header=BB59_20 Depth=3
	v_add_nc_u32_e32 v13, 1, v13
	s_mov_b32 s41, -1
                                        ; implicit-def: $vgpr14
	s_delay_alu instid0(VALU_DEP_1)
	v_and_b32_e32 v13, 0x1fff, v13
; %bb.23:                               ;   in Loop: Header=BB59_20 Depth=3
	s_and_not1_saveexec_b32 s42, s42
	s_cbranch_execz .LBB59_27
; %bb.24:                               ;   in Loop: Header=BB59_20 Depth=3
	v_mov_b32_e32 v15, s33
	s_mov_b32 s43, -1
	s_mov_b32 s44, exec_lo
	ds_cmpstore_rtn_b32 v15, v14, v4, v15
	s_waitcnt lgkmcnt(0)
	v_cmpx_eq_u32_e64 s33, v15
	s_cbranch_execz .LBB59_26
; %bb.25:                               ;   in Loop: Header=BB59_20 Depth=3
	v_lshl_add_u32 v14, v13, 2, v14
	s_xor_b32 s43, exec_lo, -1
	ds_add_f32 v14, v11 offset:32768
	ds_add_f32 v14, v12 offset:32772
.LBB59_26:                              ;   in Loop: Header=BB59_20 Depth=3
	s_or_b32 exec_lo, exec_lo, s44
	s_delay_alu instid0(SALU_CYCLE_1) | instskip(SKIP_1) | instid1(SALU_CYCLE_1)
	s_and_not1_b32 s41, s41, exec_lo
	s_and_b32 s43, s43, exec_lo
	s_or_b32 s41, s41, s43
.LBB59_27:                              ;   in Loop: Header=BB59_20 Depth=3
	s_or_b32 exec_lo, exec_lo, s42
	s_delay_alu instid0(SALU_CYCLE_1)
	s_and_b32 s41, s41, exec_lo
                                        ; implicit-def: $vgpr14
.LBB59_28:                              ;   in Loop: Header=BB59_20 Depth=3
	s_and_not1_saveexec_b32 s25, s25
	s_cbranch_execz .LBB59_19
; %bb.29:                               ;   in Loop: Header=BB59_20 Depth=3
	v_lshl_add_u32 v14, v13, 2, v14
	s_and_not1_b32 s41, s41, exec_lo
	ds_add_f32 v14, v11 offset:32768
	ds_add_f32 v14, v12 offset:32772
	s_branch .LBB59_19
.LBB59_30:
	s_or_b32 exec_lo, exec_lo, s1
.LBB59_31:
	s_delay_alu instid0(SALU_CYCLE_1)
	s_and_not1_b32 vcc_lo, exec_lo, s14
	s_cbranch_vccnz .LBB59_48
; %bb.32:
	s_waitcnt lgkmcnt(0)
	s_ashr_i32 s41, s40, 31
	v_subrev_nc_u32_e32 v1, s39, v0
	s_lshl_b64 s[0:1], s[40:41], 2
	s_delay_alu instid0(SALU_CYCLE_1)
	s_add_u32 s0, s10, s0
	s_addc_u32 s1, s11, s1
	s_load_b64 s[0:1], s[0:1], 0x0
	s_waitcnt lgkmcnt(0)
	v_add_nc_u32_e32 v1, s0, v1
	s_sub_i32 s0, s1, s39
	s_mov_b32 s1, exec_lo
	s_delay_alu instid0(VALU_DEP_1)
	v_cmpx_gt_i32_e64 s0, v1
	s_cbranch_execz .LBB59_47
; %bb.33:
	s_mov_b32 s3, 0
	s_branch .LBB59_35
.LBB59_34:                              ;   in Loop: Header=BB59_35 Depth=1
	s_or_b32 exec_lo, exec_lo, s4
	v_add_nc_u32_e32 v1, 0x400, v1
	s_delay_alu instid0(VALU_DEP_1) | instskip(SKIP_1) | instid1(SALU_CYCLE_1)
	v_cmp_le_i32_e32 vcc_lo, s0, v1
	s_or_b32 s3, vcc_lo, s3
	s_and_not1_b32 exec_lo, exec_lo, s3
	s_cbranch_execz .LBB59_47
.LBB59_35:                              ; =>This Loop Header: Depth=1
                                        ;     Child Loop BB59_37 Depth 2
	v_ashrrev_i32_e32 v2, 31, v1
	s_mov_b32 s4, 0
	s_delay_alu instid0(VALU_DEP_1) | instskip(SKIP_1) | instid1(VALU_DEP_2)
	v_lshlrev_b64 v[3:4], 2, v[1:2]
	v_lshlrev_b64 v[8:9], 3, v[1:2]
	v_add_co_u32 v3, vcc_lo, s16, v3
	s_delay_alu instid0(VALU_DEP_3) | instskip(NEXT) | instid1(VALU_DEP_3)
	v_add_co_ci_u32_e32 v4, vcc_lo, s17, v4, vcc_lo
	v_add_co_u32 v2, vcc_lo, s18, v8
	global_load_b32 v4, v[3:4], off
	v_add_co_ci_u32_e32 v3, vcc_lo, s19, v9, vcc_lo
	global_load_b64 v[8:9], v[2:3], off
	s_waitcnt vmcnt(1)
	v_subrev_nc_u32_e32 v2, s39, v4
	s_delay_alu instid0(VALU_DEP_1) | instskip(SKIP_2) | instid1(VALU_DEP_1)
	v_mul_lo_u32 v10, 0x89, v2
	s_waitcnt vmcnt(0)
	v_mul_f32_e64 v3, v9, -s12
	v_dual_mul_f32 v4, s2, v9 :: v_dual_fmac_f32 v3, s2, v8
	s_delay_alu instid0(VALU_DEP_1) | instskip(NEXT) | instid1(VALU_DEP_4)
	v_fmac_f32_e32 v4, s12, v8
	v_and_b32_e32 v8, 0x1fff, v10
	s_branch .LBB59_37
.LBB59_36:                              ;   in Loop: Header=BB59_37 Depth=2
	s_or_b32 exec_lo, exec_lo, s5
	s_xor_b32 s5, s6, -1
	s_delay_alu instid0(SALU_CYCLE_1) | instskip(NEXT) | instid1(SALU_CYCLE_1)
	s_and_b32 s5, exec_lo, s5
	s_or_b32 s4, s5, s4
	s_delay_alu instid0(SALU_CYCLE_1)
	s_and_not1_b32 exec_lo, exec_lo, s4
	s_cbranch_execz .LBB59_34
.LBB59_37:                              ;   Parent Loop BB59_35 Depth=1
                                        ; =>  This Inner Loop Header: Depth=2
	s_delay_alu instid0(VALU_DEP_1)
	v_lshl_add_u32 v9, v8, 2, 0
	s_mov_b32 s5, exec_lo
                                        ; implicit-def: $sgpr6
	ds_load_b32 v10, v9
	s_waitcnt lgkmcnt(0)
	v_cmpx_ne_u32_e64 v10, v2
	s_xor_b32 s5, exec_lo, s5
	s_cbranch_execz .LBB59_45
; %bb.38:                               ;   in Loop: Header=BB59_37 Depth=2
	s_mov_b32 s7, exec_lo
                                        ; implicit-def: $sgpr6
	v_cmpx_ne_u32_e64 s33, v10
	s_xor_b32 s7, exec_lo, s7
; %bb.39:                               ;   in Loop: Header=BB59_37 Depth=2
	v_add_nc_u32_e32 v8, 1, v8
	s_mov_b32 s6, -1
                                        ; implicit-def: $vgpr9
	s_delay_alu instid0(VALU_DEP_1)
	v_and_b32_e32 v8, 0x1fff, v8
; %bb.40:                               ;   in Loop: Header=BB59_37 Depth=2
	s_and_not1_saveexec_b32 s7, s7
	s_cbranch_execz .LBB59_44
; %bb.41:                               ;   in Loop: Header=BB59_37 Depth=2
	v_mov_b32_e32 v10, s33
	s_mov_b32 s8, -1
	s_mov_b32 s9, exec_lo
	ds_cmpstore_rtn_b32 v10, v9, v2, v10
	s_waitcnt lgkmcnt(0)
	v_cmpx_eq_u32_e64 s33, v10
	s_cbranch_execz .LBB59_43
; %bb.42:                               ;   in Loop: Header=BB59_37 Depth=2
	v_lshl_add_u32 v9, v8, 2, v9
	s_xor_b32 s8, exec_lo, -1
	ds_add_f32 v9, v3 offset:32768
	ds_add_f32 v9, v4 offset:32772
.LBB59_43:                              ;   in Loop: Header=BB59_37 Depth=2
	s_or_b32 exec_lo, exec_lo, s9
	s_delay_alu instid0(SALU_CYCLE_1) | instskip(SKIP_1) | instid1(SALU_CYCLE_1)
	s_and_not1_b32 s6, s6, exec_lo
	s_and_b32 s8, s8, exec_lo
	s_or_b32 s6, s6, s8
.LBB59_44:                              ;   in Loop: Header=BB59_37 Depth=2
	s_or_b32 exec_lo, exec_lo, s7
	s_delay_alu instid0(SALU_CYCLE_1)
	s_and_b32 s6, s6, exec_lo
                                        ; implicit-def: $vgpr9
.LBB59_45:                              ;   in Loop: Header=BB59_37 Depth=2
	s_and_not1_saveexec_b32 s5, s5
	s_cbranch_execz .LBB59_36
; %bb.46:                               ;   in Loop: Header=BB59_37 Depth=2
	v_lshl_add_u32 v9, v8, 2, v9
	s_and_not1_b32 s6, s6, exec_lo
	ds_add_f32 v9, v3 offset:32768
	ds_add_f32 v9, v4 offset:32772
	s_branch .LBB59_36
.LBB59_47:
	s_or_b32 exec_lo, exec_lo, s1
.LBB59_48:
	v_mbcnt_lo_u32_b32 v1, -1, 0
	s_add_i32 s36, 0, 0x1803c
	s_delay_alu instid0(SALU_CYCLE_1) | instskip(SKIP_1) | instid1(VALU_DEP_3)
	v_dual_mov_b32 v9, s36 :: v_dual_lshlrev_b32 v2, 2, v7
	v_cmp_eq_u32_e32 vcc_lo, 0x3ff, v0
	v_xor_b32_e32 v1, 63, v1
	v_cmp_lt_u32_e64 s0, 63, v0
	s_delay_alu instid0(VALU_DEP_4)
	v_add3_u32 v4, 0, 0x18000, v2
	v_cmp_lt_u32_e64 s1, 0x7f, v0
	v_cmp_lt_u32_e64 s2, 0xbf, v0
	v_lshrrev_b64 v[1:2], v1, -1
	v_cmp_lt_u32_e64 s3, 0xff, v0
	v_cmp_lt_u32_e64 s4, 0x13f, v0
	;; [unrolled: 1-line block ×12, first 2 shown]
	v_add3_u32 v6, v6, 0, 0x8000
	v_or_b32_e32 v7, 0xfffffc00, v0
	v_mov_b32_e32 v8, 0
	s_mov_b32 s16, 0
	s_add_i32 s17, 0, 0x18000
	s_add_i32 s18, 0, 0x18004
	;; [unrolled: 1-line block ×15, first 2 shown]
	s_waitcnt lgkmcnt(0)
	s_barrier
	buffer_gl0_inv
	s_branch .LBB59_50
.LBB59_49:                              ;   in Loop: Header=BB59_50 Depth=1
	s_or_b32 exec_lo, exec_lo, s15
	s_waitcnt lgkmcnt(0)
	s_barrier
	buffer_gl0_inv
	ds_load_b32 v2, v9
	v_add_nc_u32_e32 v7, 0x400, v7
	v_add_nc_u32_e32 v6, 0x2000, v6
	;; [unrolled: 1-line block ×3, first 2 shown]
	s_delay_alu instid0(VALU_DEP_3) | instskip(NEXT) | instid1(VALU_DEP_1)
	v_cmp_lt_u32_e64 s15, 0x1bff, v7
	s_or_b32 s16, s15, s16
	s_waitcnt lgkmcnt(0)
	v_add_nc_u32_e32 v8, v2, v8
	s_and_not1_b32 exec_lo, exec_lo, s16
	s_cbranch_execz .LBB59_84
.LBB59_50:                              ; =>This Inner Loop Header: Depth=1
	ds_load_b32 v10, v5
	ds_load_2addr_b32 v[2:3], v6 offset1:1
	s_waitcnt lgkmcnt(0)
	s_barrier
	buffer_gl0_inv
	v_cmp_gt_i32_e64 s15, s33, v10
	s_delay_alu instid0(VALU_DEP_1) | instskip(NEXT) | instid1(SALU_CYCLE_1)
	s_bcnt1_i32_b32 s43, s15
	v_dual_mov_b32 v12, s43 :: v_dual_and_b32 v11, s15, v1
	s_delay_alu instid0(VALU_DEP_1)
	v_bcnt_u32_b32 v11, v11, 0
	ds_store_b32 v4, v12
	s_waitcnt lgkmcnt(0)
	s_barrier
	buffer_gl0_inv
	s_and_saveexec_b32 s43, s0
	s_cbranch_execnz .LBB59_67
; %bb.51:                               ;   in Loop: Header=BB59_50 Depth=1
	s_or_b32 exec_lo, exec_lo, s43
	s_and_saveexec_b32 s43, s1
	s_cbranch_execnz .LBB59_68
.LBB59_52:                              ;   in Loop: Header=BB59_50 Depth=1
	s_or_b32 exec_lo, exec_lo, s43
	s_and_saveexec_b32 s43, s2
	s_cbranch_execnz .LBB59_69
.LBB59_53:                              ;   in Loop: Header=BB59_50 Depth=1
	s_or_b32 exec_lo, exec_lo, s43
	s_and_saveexec_b32 s43, s3
	s_cbranch_execnz .LBB59_70
.LBB59_54:                              ;   in Loop: Header=BB59_50 Depth=1
	s_or_b32 exec_lo, exec_lo, s43
	s_and_saveexec_b32 s43, s4
	s_cbranch_execnz .LBB59_71
.LBB59_55:                              ;   in Loop: Header=BB59_50 Depth=1
	s_or_b32 exec_lo, exec_lo, s43
	s_and_saveexec_b32 s43, s5
	s_cbranch_execnz .LBB59_72
.LBB59_56:                              ;   in Loop: Header=BB59_50 Depth=1
	s_or_b32 exec_lo, exec_lo, s43
	s_and_saveexec_b32 s43, s6
	s_cbranch_execnz .LBB59_73
.LBB59_57:                              ;   in Loop: Header=BB59_50 Depth=1
	s_or_b32 exec_lo, exec_lo, s43
	s_and_saveexec_b32 s43, s7
	s_cbranch_execnz .LBB59_74
.LBB59_58:                              ;   in Loop: Header=BB59_50 Depth=1
	s_or_b32 exec_lo, exec_lo, s43
	s_and_saveexec_b32 s43, s8
	s_cbranch_execnz .LBB59_75
.LBB59_59:                              ;   in Loop: Header=BB59_50 Depth=1
	s_or_b32 exec_lo, exec_lo, s43
	s_and_saveexec_b32 s43, s9
	s_cbranch_execnz .LBB59_76
.LBB59_60:                              ;   in Loop: Header=BB59_50 Depth=1
	s_or_b32 exec_lo, exec_lo, s43
	s_and_saveexec_b32 s43, s10
	s_cbranch_execnz .LBB59_77
.LBB59_61:                              ;   in Loop: Header=BB59_50 Depth=1
	s_or_b32 exec_lo, exec_lo, s43
	s_and_saveexec_b32 s43, s11
	s_cbranch_execnz .LBB59_78
.LBB59_62:                              ;   in Loop: Header=BB59_50 Depth=1
	s_or_b32 exec_lo, exec_lo, s43
	s_and_saveexec_b32 s43, s12
	s_cbranch_execnz .LBB59_79
.LBB59_63:                              ;   in Loop: Header=BB59_50 Depth=1
	s_or_b32 exec_lo, exec_lo, s43
	s_and_saveexec_b32 s43, s13
	s_cbranch_execnz .LBB59_80
.LBB59_64:                              ;   in Loop: Header=BB59_50 Depth=1
	s_or_b32 exec_lo, exec_lo, s43
	s_and_saveexec_b32 s43, s14
	s_cbranch_execnz .LBB59_81
.LBB59_65:                              ;   in Loop: Header=BB59_50 Depth=1
	s_or_b32 exec_lo, exec_lo, s43
	s_and_saveexec_b32 s43, s15
	s_cbranch_execnz .LBB59_82
.LBB59_66:                              ;   in Loop: Header=BB59_50 Depth=1
	s_or_b32 exec_lo, exec_lo, s43
	s_and_saveexec_b32 s15, vcc_lo
	s_cbranch_execz .LBB59_49
	s_branch .LBB59_83
.LBB59_67:                              ;   in Loop: Header=BB59_50 Depth=1
	v_mov_b32_e32 v12, s17
	ds_load_b32 v12, v12
	s_waitcnt lgkmcnt(0)
	v_add_nc_u32_e32 v11, v12, v11
	s_or_b32 exec_lo, exec_lo, s43
	s_and_saveexec_b32 s43, s1
	s_cbranch_execz .LBB59_52
.LBB59_68:                              ;   in Loop: Header=BB59_50 Depth=1
	v_mov_b32_e32 v12, s18
	ds_load_b32 v12, v12
	s_waitcnt lgkmcnt(0)
	v_add_nc_u32_e32 v11, v12, v11
	s_or_b32 exec_lo, exec_lo, s43
	s_and_saveexec_b32 s43, s2
	s_cbranch_execz .LBB59_53
.LBB59_69:                              ;   in Loop: Header=BB59_50 Depth=1
	v_mov_b32_e32 v12, s19
	ds_load_b32 v12, v12
	s_waitcnt lgkmcnt(0)
	v_add_nc_u32_e32 v11, v12, v11
	s_or_b32 exec_lo, exec_lo, s43
	s_and_saveexec_b32 s43, s3
	s_cbranch_execz .LBB59_54
.LBB59_70:                              ;   in Loop: Header=BB59_50 Depth=1
	v_mov_b32_e32 v12, s24
	ds_load_b32 v12, v12
	s_waitcnt lgkmcnt(0)
	v_add_nc_u32_e32 v11, v12, v11
	s_or_b32 exec_lo, exec_lo, s43
	s_and_saveexec_b32 s43, s4
	s_cbranch_execz .LBB59_55
.LBB59_71:                              ;   in Loop: Header=BB59_50 Depth=1
	v_mov_b32_e32 v12, s25
	ds_load_b32 v12, v12
	s_waitcnt lgkmcnt(0)
	v_add_nc_u32_e32 v11, v12, v11
	s_or_b32 exec_lo, exec_lo, s43
	s_and_saveexec_b32 s43, s5
	s_cbranch_execz .LBB59_56
.LBB59_72:                              ;   in Loop: Header=BB59_50 Depth=1
	v_mov_b32_e32 v12, s26
	ds_load_b32 v12, v12
	s_waitcnt lgkmcnt(0)
	v_add_nc_u32_e32 v11, v12, v11
	s_or_b32 exec_lo, exec_lo, s43
	s_and_saveexec_b32 s43, s6
	s_cbranch_execz .LBB59_57
.LBB59_73:                              ;   in Loop: Header=BB59_50 Depth=1
	v_mov_b32_e32 v12, s27
	ds_load_b32 v12, v12
	s_waitcnt lgkmcnt(0)
	v_add_nc_u32_e32 v11, v12, v11
	s_or_b32 exec_lo, exec_lo, s43
	s_and_saveexec_b32 s43, s7
	s_cbranch_execz .LBB59_58
.LBB59_74:                              ;   in Loop: Header=BB59_50 Depth=1
	v_mov_b32_e32 v12, s28
	ds_load_b32 v12, v12
	s_waitcnt lgkmcnt(0)
	v_add_nc_u32_e32 v11, v12, v11
	s_or_b32 exec_lo, exec_lo, s43
	s_and_saveexec_b32 s43, s8
	s_cbranch_execz .LBB59_59
.LBB59_75:                              ;   in Loop: Header=BB59_50 Depth=1
	v_mov_b32_e32 v12, s29
	ds_load_b32 v12, v12
	s_waitcnt lgkmcnt(0)
	v_add_nc_u32_e32 v11, v12, v11
	s_or_b32 exec_lo, exec_lo, s43
	s_and_saveexec_b32 s43, s9
	s_cbranch_execz .LBB59_60
.LBB59_76:                              ;   in Loop: Header=BB59_50 Depth=1
	v_mov_b32_e32 v12, s30
	ds_load_b32 v12, v12
	s_waitcnt lgkmcnt(0)
	v_add_nc_u32_e32 v11, v12, v11
	s_or_b32 exec_lo, exec_lo, s43
	s_and_saveexec_b32 s43, s10
	s_cbranch_execz .LBB59_61
.LBB59_77:                              ;   in Loop: Header=BB59_50 Depth=1
	v_mov_b32_e32 v12, s31
	ds_load_b32 v12, v12
	s_waitcnt lgkmcnt(0)
	v_add_nc_u32_e32 v11, v12, v11
	s_or_b32 exec_lo, exec_lo, s43
	s_and_saveexec_b32 s43, s11
	s_cbranch_execz .LBB59_62
.LBB59_78:                              ;   in Loop: Header=BB59_50 Depth=1
	v_mov_b32_e32 v12, s37
	ds_load_b32 v12, v12
	s_waitcnt lgkmcnt(0)
	v_add_nc_u32_e32 v11, v12, v11
	s_or_b32 exec_lo, exec_lo, s43
	s_and_saveexec_b32 s43, s12
	s_cbranch_execz .LBB59_63
.LBB59_79:                              ;   in Loop: Header=BB59_50 Depth=1
	v_mov_b32_e32 v12, s39
	ds_load_b32 v12, v12
	s_waitcnt lgkmcnt(0)
	v_add_nc_u32_e32 v11, v12, v11
	s_or_b32 exec_lo, exec_lo, s43
	s_and_saveexec_b32 s43, s13
	s_cbranch_execz .LBB59_64
.LBB59_80:                              ;   in Loop: Header=BB59_50 Depth=1
	v_mov_b32_e32 v12, s41
	ds_load_b32 v12, v12
	s_waitcnt lgkmcnt(0)
	v_add_nc_u32_e32 v11, v12, v11
	s_or_b32 exec_lo, exec_lo, s43
	s_and_saveexec_b32 s43, s14
	s_cbranch_execz .LBB59_65
.LBB59_81:                              ;   in Loop: Header=BB59_50 Depth=1
	v_mov_b32_e32 v12, s42
	ds_load_b32 v12, v12
	s_waitcnt lgkmcnt(0)
	v_add_nc_u32_e32 v11, v12, v11
	s_or_b32 exec_lo, exec_lo, s43
	s_and_saveexec_b32 s43, s15
	s_cbranch_execz .LBB59_66
.LBB59_82:                              ;   in Loop: Header=BB59_50 Depth=1
	s_delay_alu instid0(VALU_DEP_1) | instskip(NEXT) | instid1(VALU_DEP_1)
	v_add3_u32 v12, v8, -1, v11
	v_lshlrev_b32_e32 v13, 3, v12
	v_lshl_add_u32 v12, v12, 2, 0
	s_delay_alu instid0(VALU_DEP_2)
	v_add3_u32 v13, 0, v13, 0x8000
	ds_store_b32 v12, v10
	ds_store_2addr_b32 v13, v2, v3 offset1:1
	s_or_b32 exec_lo, exec_lo, s43
	s_and_saveexec_b32 s15, vcc_lo
	s_cbranch_execz .LBB59_49
.LBB59_83:                              ;   in Loop: Header=BB59_50 Depth=1
	v_mov_b32_e32 v2, s36
	ds_store_b32 v2, v11
	s_branch .LBB59_49
.LBB59_84:
	s_or_b32 exec_lo, exec_lo, s16
	s_ashr_i32 s41, s40, 31
	s_mov_b32 s3, exec_lo
	s_lshl_b64 s[0:1], s[40:41], 2
	s_delay_alu instid0(SALU_CYCLE_1) | instskip(SKIP_4) | instid1(SALU_CYCLE_1)
	s_add_u32 s0, s20, s0
	s_addc_u32 s1, s21, s1
	s_load_b64 s[0:1], s[0:1], 0x0
	s_waitcnt lgkmcnt(0)
	s_sub_i32 s2, s1, s0
	v_cmpx_gt_i32_e64 s2, v0
	s_cbranch_execz .LBB59_94
; %bb.85:
	s_sub_i32 s3, s0, s38
	s_sub_i32 s0, s0, s1
	s_and_b32 s1, s2, 7
	s_cmp_lt_u32 s0, -7
	s_mov_b32 s7, 0
	s_cselect_b32 s4, -1, 0
	s_and_b32 s5, s2, -8
	s_cmp_lg_u32 s1, 0
	s_cselect_b32 s6, -1, 0
	s_branch .LBB59_87
.LBB59_86:                              ;   in Loop: Header=BB59_87 Depth=1
	s_delay_alu instid0(VALU_DEP_1) | instskip(SKIP_3) | instid1(VALU_DEP_3)
	v_ashrrev_i32_e32 v4, 31, v3
	v_add_nc_u32_e32 v0, 0x400, v0
	s_waitcnt lgkmcnt(1)
	v_add_nc_u32_e32 v8, s38, v5
	v_lshlrev_b64 v[6:7], 2, v[3:4]
	v_lshlrev_b64 v[3:4], 3, v[3:4]
	v_cmp_le_i32_e32 vcc_lo, s2, v0
	s_delay_alu instid0(VALU_DEP_3) | instskip(NEXT) | instid1(VALU_DEP_1)
	v_add_co_u32 v5, s0, s22, v6
	v_add_co_ci_u32_e64 v6, s0, s23, v7, s0
	s_delay_alu instid0(VALU_DEP_4) | instskip(NEXT) | instid1(VALU_DEP_1)
	v_add_co_u32 v3, s0, s34, v3
	v_add_co_ci_u32_e64 v4, s0, s35, v4, s0
	s_or_b32 s7, vcc_lo, s7
	global_store_b32 v[5:6], v8, off
	s_waitcnt lgkmcnt(0)
	global_store_b64 v[3:4], v[1:2], off
	s_and_not1_b32 exec_lo, exec_lo, s7
	s_cbranch_execz .LBB59_94
.LBB59_87:                              ; =>This Loop Header: Depth=1
                                        ;     Child Loop BB59_89 Depth 2
                                        ;     Child Loop BB59_93 Depth 2
	v_lshlrev_b32_e32 v1, 2, v0
	s_and_not1_b32 vcc_lo, exec_lo, s4
	s_mov_b32 s0, 0
	s_delay_alu instid0(VALU_DEP_1) | instskip(NEXT) | instid1(VALU_DEP_1)
	v_dual_mov_b32 v3, s3 :: v_dual_add_nc_u32 v2, 0, v1
	v_add3_u32 v1, v2, v1, 0x8000
	ds_load_b32 v5, v2
	ds_load_2addr_b32 v[1:2], v1 offset1:1
	s_cbranch_vccnz .LBB59_91
; %bb.88:                               ;   in Loop: Header=BB59_87 Depth=1
	v_mov_b32_e32 v3, s3
	s_mov_b32 s8, 0
	s_set_inst_prefetch_distance 0x1
	.p2align	6
.LBB59_89:                              ;   Parent Loop BB59_87 Depth=1
                                        ; =>  This Inner Loop Header: Depth=2
	v_mov_b32_e32 v4, s8
	s_add_i32 s0, s0, 8
	s_add_i32 s8, s8, 32
	s_cmp_eq_u32 s5, s0
	ds_load_2addr_b32 v[6:7], v4 offset1:1
	ds_load_2addr_b32 v[8:9], v4 offset0:2 offset1:3
	ds_load_2addr_b32 v[10:11], v4 offset0:4 offset1:5
	ds_load_2addr_b32 v[12:13], v4 offset0:6 offset1:7
	s_waitcnt lgkmcnt(3)
	v_cmp_gt_i32_e32 vcc_lo, v5, v6
	v_cndmask_b32_e64 v4, 0, 1, vcc_lo
	s_waitcnt lgkmcnt(2)
	v_cmp_gt_i32_e32 vcc_lo, v5, v8
	v_cndmask_b32_e64 v6, 0, 1, vcc_lo
	v_cmp_gt_i32_e32 vcc_lo, v5, v7
	v_add_co_ci_u32_e32 v3, vcc_lo, v3, v4, vcc_lo
	s_waitcnt lgkmcnt(1)
	v_cmp_gt_i32_e32 vcc_lo, v5, v10
	v_cndmask_b32_e64 v4, 0, 1, vcc_lo
	v_cmp_gt_i32_e32 vcc_lo, v5, v9
	v_add_co_ci_u32_e32 v3, vcc_lo, v3, v6, vcc_lo
	;; [unrolled: 5-line block ×3, first 2 shown]
	v_cmp_gt_i32_e32 vcc_lo, v5, v13
	s_delay_alu instid0(VALU_DEP_2)
	v_add_co_ci_u32_e32 v3, vcc_lo, v3, v6, vcc_lo
	s_cbranch_scc0 .LBB59_89
; %bb.90:                               ;   in Loop: Header=BB59_87 Depth=1
	s_set_inst_prefetch_distance 0x2
	s_mov_b32 s0, s5
.LBB59_91:                              ;   in Loop: Header=BB59_87 Depth=1
	s_and_not1_b32 vcc_lo, exec_lo, s6
	s_cbranch_vccnz .LBB59_86
; %bb.92:                               ;   in Loop: Header=BB59_87 Depth=1
	s_lshl_b32 s0, s0, 2
	s_mov_b32 s8, s1
	s_add_i32 s0, s0, 0
.LBB59_93:                              ;   Parent Loop BB59_87 Depth=1
                                        ; =>  This Inner Loop Header: Depth=2
	s_delay_alu instid0(SALU_CYCLE_1)
	v_mov_b32_e32 v4, s0
	s_add_i32 s8, s8, -1
	s_add_i32 s0, s0, 4
	s_cmp_lg_u32 s8, 0
	ds_load_b32 v4, v4
	s_waitcnt lgkmcnt(0)
	v_cmp_gt_i32_e32 vcc_lo, v5, v4
	v_add_co_ci_u32_e32 v3, vcc_lo, 0, v3, vcc_lo
	s_cbranch_scc1 .LBB59_93
	s_branch .LBB59_86
.LBB59_94:
	s_nop 0
	s_sendmsg sendmsg(MSG_DEALLOC_VGPRS)
	s_endpgm
	.section	.rodata,"a",@progbits
	.p2align	6, 0x0
	.amdhsa_kernel _ZN9rocsparseL26csrgemm_fill_block_per_rowILj1024ELj64ELj8192ELj137ELj64Eii21rocsparse_complex_numIfEEEvT5_PKS3_S5_NS_24const_host_device_scalarIT6_EEPKT4_S5_PKS7_SB_S5_SD_S8_SB_S5_SD_SB_PS3_PS7_21rocsparse_index_base_SG_SG_SG_bbb
		.amdhsa_group_segment_fixed_size 0
		.amdhsa_private_segment_fixed_size 0
		.amdhsa_kernarg_size 156
		.amdhsa_user_sgpr_count 15
		.amdhsa_user_sgpr_dispatch_ptr 0
		.amdhsa_user_sgpr_queue_ptr 0
		.amdhsa_user_sgpr_kernarg_segment_ptr 1
		.amdhsa_user_sgpr_dispatch_id 0
		.amdhsa_user_sgpr_private_segment_size 0
		.amdhsa_wavefront_size32 1
		.amdhsa_uses_dynamic_stack 0
		.amdhsa_enable_private_segment 0
		.amdhsa_system_sgpr_workgroup_id_x 1
		.amdhsa_system_sgpr_workgroup_id_y 0
		.amdhsa_system_sgpr_workgroup_id_z 0
		.amdhsa_system_sgpr_workgroup_info 0
		.amdhsa_system_vgpr_workitem_id 0
		.amdhsa_next_free_vgpr 16
		.amdhsa_next_free_sgpr 45
		.amdhsa_reserve_vcc 1
		.amdhsa_float_round_mode_32 0
		.amdhsa_float_round_mode_16_64 0
		.amdhsa_float_denorm_mode_32 3
		.amdhsa_float_denorm_mode_16_64 3
		.amdhsa_dx10_clamp 1
		.amdhsa_ieee_mode 1
		.amdhsa_fp16_overflow 0
		.amdhsa_workgroup_processor_mode 1
		.amdhsa_memory_ordered 1
		.amdhsa_forward_progress 0
		.amdhsa_shared_vgpr_count 0
		.amdhsa_exception_fp_ieee_invalid_op 0
		.amdhsa_exception_fp_denorm_src 0
		.amdhsa_exception_fp_ieee_div_zero 0
		.amdhsa_exception_fp_ieee_overflow 0
		.amdhsa_exception_fp_ieee_underflow 0
		.amdhsa_exception_fp_ieee_inexact 0
		.amdhsa_exception_int_div_zero 0
	.end_amdhsa_kernel
	.section	.text._ZN9rocsparseL26csrgemm_fill_block_per_rowILj1024ELj64ELj8192ELj137ELj64Eii21rocsparse_complex_numIfEEEvT5_PKS3_S5_NS_24const_host_device_scalarIT6_EEPKT4_S5_PKS7_SB_S5_SD_S8_SB_S5_SD_SB_PS3_PS7_21rocsparse_index_base_SG_SG_SG_bbb,"axG",@progbits,_ZN9rocsparseL26csrgemm_fill_block_per_rowILj1024ELj64ELj8192ELj137ELj64Eii21rocsparse_complex_numIfEEEvT5_PKS3_S5_NS_24const_host_device_scalarIT6_EEPKT4_S5_PKS7_SB_S5_SD_S8_SB_S5_SD_SB_PS3_PS7_21rocsparse_index_base_SG_SG_SG_bbb,comdat
.Lfunc_end59:
	.size	_ZN9rocsparseL26csrgemm_fill_block_per_rowILj1024ELj64ELj8192ELj137ELj64Eii21rocsparse_complex_numIfEEEvT5_PKS3_S5_NS_24const_host_device_scalarIT6_EEPKT4_S5_PKS7_SB_S5_SD_S8_SB_S5_SD_SB_PS3_PS7_21rocsparse_index_base_SG_SG_SG_bbb, .Lfunc_end59-_ZN9rocsparseL26csrgemm_fill_block_per_rowILj1024ELj64ELj8192ELj137ELj64Eii21rocsparse_complex_numIfEEEvT5_PKS3_S5_NS_24const_host_device_scalarIT6_EEPKT4_S5_PKS7_SB_S5_SD_S8_SB_S5_SD_SB_PS3_PS7_21rocsparse_index_base_SG_SG_SG_bbb
                                        ; -- End function
	.section	.AMDGPU.csdata,"",@progbits
; Kernel info:
; codeLenInByte = 3672
; NumSgprs: 47
; NumVgprs: 16
; ScratchSize: 0
; MemoryBound: 0
; FloatMode: 240
; IeeeMode: 1
; LDSByteSize: 0 bytes/workgroup (compile time only)
; SGPRBlocks: 5
; VGPRBlocks: 1
; NumSGPRsForWavesPerEU: 47
; NumVGPRsForWavesPerEU: 16
; Occupancy: 16
; WaveLimiterHint : 1
; COMPUTE_PGM_RSRC2:SCRATCH_EN: 0
; COMPUTE_PGM_RSRC2:USER_SGPR: 15
; COMPUTE_PGM_RSRC2:TRAP_HANDLER: 0
; COMPUTE_PGM_RSRC2:TGID_X_EN: 1
; COMPUTE_PGM_RSRC2:TGID_Y_EN: 0
; COMPUTE_PGM_RSRC2:TGID_Z_EN: 0
; COMPUTE_PGM_RSRC2:TIDIG_COMP_CNT: 0
	.section	.text._ZN9rocsparseL26csrgemm_fill_block_per_rowILj1024ELj64ELj16384ELj137ELj32Eii21rocsparse_complex_numIfEEEvT5_PKS3_S5_NS_24const_host_device_scalarIT6_EEPKT4_S5_PKS7_SB_S5_SD_S8_SB_S5_SD_SB_PS3_PS7_21rocsparse_index_base_SG_SG_SG_bbb,"axG",@progbits,_ZN9rocsparseL26csrgemm_fill_block_per_rowILj1024ELj64ELj16384ELj137ELj32Eii21rocsparse_complex_numIfEEEvT5_PKS3_S5_NS_24const_host_device_scalarIT6_EEPKT4_S5_PKS7_SB_S5_SD_S8_SB_S5_SD_SB_PS3_PS7_21rocsparse_index_base_SG_SG_SG_bbb,comdat
	.globl	_ZN9rocsparseL26csrgemm_fill_block_per_rowILj1024ELj64ELj16384ELj137ELj32Eii21rocsparse_complex_numIfEEEvT5_PKS3_S5_NS_24const_host_device_scalarIT6_EEPKT4_S5_PKS7_SB_S5_SD_S8_SB_S5_SD_SB_PS3_PS7_21rocsparse_index_base_SG_SG_SG_bbb ; -- Begin function _ZN9rocsparseL26csrgemm_fill_block_per_rowILj1024ELj64ELj16384ELj137ELj32Eii21rocsparse_complex_numIfEEEvT5_PKS3_S5_NS_24const_host_device_scalarIT6_EEPKT4_S5_PKS7_SB_S5_SD_S8_SB_S5_SD_SB_PS3_PS7_21rocsparse_index_base_SG_SG_SG_bbb
	.p2align	8
	.type	_ZN9rocsparseL26csrgemm_fill_block_per_rowILj1024ELj64ELj16384ELj137ELj32Eii21rocsparse_complex_numIfEEEvT5_PKS3_S5_NS_24const_host_device_scalarIT6_EEPKT4_S5_PKS7_SB_S5_SD_S8_SB_S5_SD_SB_PS3_PS7_21rocsparse_index_base_SG_SG_SG_bbb,@function
_ZN9rocsparseL26csrgemm_fill_block_per_rowILj1024ELj64ELj16384ELj137ELj32Eii21rocsparse_complex_numIfEEEvT5_PKS3_S5_NS_24const_host_device_scalarIT6_EEPKT4_S5_PKS7_SB_S5_SD_S8_SB_S5_SD_SB_PS3_PS7_21rocsparse_index_base_SG_SG_SG_bbb: ; @_ZN9rocsparseL26csrgemm_fill_block_per_rowILj1024ELj64ELj16384ELj137ELj32Eii21rocsparse_complex_numIfEEEvT5_PKS3_S5_NS_24const_host_device_scalarIT6_EEPKT4_S5_PKS7_SB_S5_SD_S8_SB_S5_SD_SB_PS3_PS7_21rocsparse_index_base_SG_SG_SG_bbb
; %bb.0:
	s_clause 0x6
	s_load_b32 s12, s[0:1], 0x98
	s_load_b256 s[36:43], s[0:1], 0x60
	s_load_b256 s[4:11], s[0:1], 0x40
	s_load_b128 s[24:27], s[0:1], 0x8
	s_load_b256 s[16:23], s[0:1], 0x20
	s_load_b64 s[34:35], s[0:1], 0x80
	s_load_b128 s[44:47], s[0:1], 0x88
	s_mov_b32 s3, 0
	s_mov_b32 s13, 0
	s_waitcnt lgkmcnt(0)
	s_bitcmp1_b32 s12, 0
	s_cselect_b32 s28, -1, 0
	s_bitcmp1_b32 s12, 16
	s_cselect_b32 s2, -1, 0
	s_delay_alu instid0(SALU_CYCLE_1) | instskip(SKIP_2) | instid1(VALU_DEP_1)
	s_xor_b32 s14, s2, -1
	s_bitcmp0_b32 s12, 0
	v_cndmask_b32_e64 v1, 0, 1, s14
	v_cmp_ne_u32_e32 vcc_lo, 1, v1
	s_cbranch_scc1 .LBB60_5
; %bb.1:
	s_load_b64 s[2:3], s[0:1], 0x18
	s_and_b32 vcc_lo, exec_lo, vcc_lo
	s_waitcnt lgkmcnt(0)
	s_mov_b32 s13, s2
	s_cbranch_vccnz .LBB60_3
; %bb.2:
	s_load_b32 s13, s[2:3], 0x0
.LBB60_3:
	s_and_not1_b32 vcc_lo, exec_lo, s14
	s_cbranch_vccnz .LBB60_5
; %bb.4:
	s_load_b32 s3, s[2:3], 0x4
.LBB60_5:
	s_bitcmp1_b32 s12, 8
	s_cselect_b32 s14, -1, 0
	s_bfe_u32 s2, s12, 0x10008
	s_mov_b32 s12, 0
	s_cmp_eq_u32 s2, 0
	s_mov_b32 s2, 0
	s_cbranch_scc1 .LBB60_11
; %bb.6:
	v_cmp_ne_u32_e32 vcc_lo, 1, v1
	s_mov_b32 s2, s8
	s_cbranch_vccnz .LBB60_8
; %bb.7:
	s_load_b32 s2, s[8:9], 0x0
.LBB60_8:
	v_cmp_ne_u32_e32 vcc_lo, 1, v1
	s_cbranch_vccnz .LBB60_10
; %bb.9:
	s_load_b32 s9, s[8:9], 0x4
.LBB60_10:
	s_waitcnt lgkmcnt(0)
	s_mov_b32 s12, s9
.LBB60_11:
	s_load_b32 s33, s[0:1], 0x0
	v_lshlrev_b32_e32 v7, 3, v0
	v_lshl_add_u32 v5, v0, 2, 0
	v_or_b32_e32 v6, 0xfffffc00, v0
	v_mov_b32_e32 v1, 0
	s_mov_b32 s0, 0
	s_delay_alu instid0(VALU_DEP_2)
	v_dual_mov_b32 v3, v5 :: v_dual_mov_b32 v8, v6
	s_waitcnt lgkmcnt(0)
	v_mov_b32_e32 v4, s33
	v_add3_u32 v2, v7, 0, 0x10004
.LBB60_12:                              ; =>This Inner Loop Header: Depth=1
	s_delay_alu instid0(VALU_DEP_3)
	v_add_nc_u32_e32 v8, 0x400, v8
	ds_store_b32 v3, v4
	v_add_nc_u32_e32 v9, -4, v2
	v_add_nc_u32_e32 v2, 0x2000, v2
	v_add_nc_u32_e32 v3, 0x1000, v3
	v_cmp_lt_u32_e32 vcc_lo, 0x3bff, v8
	ds_store_2addr_b32 v9, v1, v1 offset1:1
	s_or_b32 s0, vcc_lo, s0
	s_delay_alu instid0(SALU_CYCLE_1)
	s_and_not1_b32 exec_lo, exec_lo, s0
	s_cbranch_execnz .LBB60_12
; %bb.13:
	s_or_b32 exec_lo, exec_lo, s0
	s_waitcnt lgkmcnt(0)
	s_barrier
	buffer_gl0_inv
	s_load_b32 s0, s[24:25], 0x0
	s_mov_b32 s1, 0
	s_waitcnt lgkmcnt(0)
	s_add_i32 s0, s0, s15
	s_delay_alu instid0(SALU_CYCLE_1) | instskip(NEXT) | instid1(SALU_CYCLE_1)
	s_lshl_b64 s[0:1], s[0:1], 2
	s_add_u32 s0, s26, s0
	s_addc_u32 s1, s27, s1
	s_and_b32 vcc_lo, exec_lo, s28
	s_load_b32 s48, s[0:1], 0x0
	s_cbranch_vccz .LBB60_33
; %bb.14:
	s_waitcnt lgkmcnt(0)
	s_ashr_i32 s49, s48, 31
	v_lshrrev_b32_e32 v1, 6, v0
	s_lshl_b64 s[0:1], s[48:49], 2
	s_delay_alu instid0(SALU_CYCLE_1) | instskip(SKIP_1) | instid1(VALU_DEP_1)
	s_add_u32 s0, s16, s0
	s_addc_u32 s1, s17, s1
	v_subrev_nc_u32_e32 v1, s44, v1
	s_load_b64 s[0:1], s[0:1], 0x0
	s_waitcnt lgkmcnt(0)
	s_delay_alu instid0(VALU_DEP_1) | instskip(SKIP_2) | instid1(VALU_DEP_1)
	v_add_nc_u32_e32 v1, s0, v1
	s_sub_i32 s0, s1, s44
	s_mov_b32 s1, exec_lo
	v_cmpx_gt_i32_e64 s0, v1
	s_cbranch_execz .LBB60_32
; %bb.15:
	v_and_b32_e32 v2, 63, v0
	s_mov_b32 s8, 0
	s_delay_alu instid0(VALU_DEP_1)
	v_subrev_nc_u32_e32 v8, s45, v2
	s_branch .LBB60_17
.LBB60_16:                              ;   in Loop: Header=BB60_17 Depth=1
	s_or_b32 exec_lo, exec_lo, s9
	v_add_nc_u32_e32 v1, 16, v1
	s_delay_alu instid0(VALU_DEP_1) | instskip(SKIP_1) | instid1(SALU_CYCLE_1)
	v_cmp_le_i32_e32 vcc_lo, s0, v1
	s_or_b32 s8, vcc_lo, s8
	s_and_not1_b32 exec_lo, exec_lo, s8
	s_cbranch_execz .LBB60_32
.LBB60_17:                              ; =>This Loop Header: Depth=1
                                        ;     Child Loop BB60_20 Depth 2
                                        ;       Child Loop BB60_22 Depth 3
	v_ashrrev_i32_e32 v2, 31, v1
	s_mov_b32 s9, exec_lo
	s_delay_alu instid0(VALU_DEP_1) | instskip(NEXT) | instid1(VALU_DEP_1)
	v_lshlrev_b64 v[3:4], 2, v[1:2]
	v_add_co_u32 v3, vcc_lo, s18, v3
	s_delay_alu instid0(VALU_DEP_2) | instskip(SKIP_3) | instid1(VALU_DEP_1)
	v_add_co_ci_u32_e32 v4, vcc_lo, s19, v4, vcc_lo
	global_load_b32 v3, v[3:4], off
	s_waitcnt vmcnt(0)
	v_subrev_nc_u32_e32 v3, s44, v3
	v_ashrrev_i32_e32 v4, 31, v3
	s_delay_alu instid0(VALU_DEP_1) | instskip(NEXT) | instid1(VALU_DEP_1)
	v_lshlrev_b64 v[3:4], 2, v[3:4]
	v_add_co_u32 v3, vcc_lo, s22, v3
	s_delay_alu instid0(VALU_DEP_2) | instskip(SKIP_4) | instid1(VALU_DEP_1)
	v_add_co_ci_u32_e32 v4, vcc_lo, s23, v4, vcc_lo
	global_load_b64 v[3:4], v[3:4], off
	s_waitcnt vmcnt(0)
	v_subrev_nc_u32_e32 v9, s45, v4
	v_add_nc_u32_e32 v3, v3, v8
	v_cmpx_lt_i32_e64 v3, v9
	s_cbranch_execz .LBB60_16
; %bb.18:                               ;   in Loop: Header=BB60_17 Depth=1
	v_lshlrev_b64 v[10:11], 3, v[1:2]
	s_mov_b32 s15, 0
	s_delay_alu instid0(VALU_DEP_1) | instskip(NEXT) | instid1(VALU_DEP_2)
	v_add_co_u32 v10, vcc_lo, s20, v10
	v_add_co_ci_u32_e32 v11, vcc_lo, s21, v11, vcc_lo
	global_load_b64 v[11:12], v[10:11], off
	s_waitcnt vmcnt(0)
	v_mul_f32_e64 v2, v12, -s3
	v_mul_f32_e32 v10, s13, v12
	s_delay_alu instid0(VALU_DEP_2) | instskip(NEXT) | instid1(VALU_DEP_2)
	v_fmac_f32_e32 v2, s13, v11
	v_fmac_f32_e32 v10, s3, v11
	s_branch .LBB60_20
.LBB60_19:                              ;   in Loop: Header=BB60_20 Depth=2
	s_or_b32 exec_lo, exec_lo, s16
	v_add_nc_u32_e32 v3, 64, v3
	s_delay_alu instid0(VALU_DEP_1) | instskip(SKIP_1) | instid1(SALU_CYCLE_1)
	v_cmp_ge_i32_e32 vcc_lo, v3, v9
	s_or_b32 s15, vcc_lo, s15
	s_and_not1_b32 exec_lo, exec_lo, s15
	s_cbranch_execz .LBB60_16
.LBB60_20:                              ;   Parent Loop BB60_17 Depth=1
                                        ; =>  This Loop Header: Depth=2
                                        ;       Child Loop BB60_22 Depth 3
	v_ashrrev_i32_e32 v4, 31, v3
	s_mov_b32 s16, 0
	s_delay_alu instid0(VALU_DEP_1) | instskip(SKIP_1) | instid1(VALU_DEP_2)
	v_lshlrev_b64 v[11:12], 2, v[3:4]
	v_lshlrev_b64 v[13:14], 3, v[3:4]
	v_add_co_u32 v11, vcc_lo, s4, v11
	s_delay_alu instid0(VALU_DEP_3)
	v_add_co_ci_u32_e32 v12, vcc_lo, s5, v12, vcc_lo
	global_load_b32 v4, v[11:12], off
	v_add_co_u32 v11, vcc_lo, s6, v13
	v_add_co_ci_u32_e32 v12, vcc_lo, s7, v14, vcc_lo
	global_load_b64 v[13:14], v[11:12], off
	s_waitcnt vmcnt(1)
	v_subrev_nc_u32_e32 v4, s45, v4
	s_delay_alu instid0(VALU_DEP_1) | instskip(SKIP_3) | instid1(VALU_DEP_2)
	v_mul_lo_u32 v15, 0x89, v4
	s_waitcnt vmcnt(0)
	v_mul_f32_e64 v11, v14, -v10
	v_mul_f32_e32 v12, v2, v14
	v_fmac_f32_e32 v11, v2, v13
	s_delay_alu instid0(VALU_DEP_2)
	v_dual_fmac_f32 v12, v10, v13 :: v_dual_and_b32 v13, 0x3fff, v15
	s_branch .LBB60_22
.LBB60_21:                              ;   in Loop: Header=BB60_22 Depth=3
	s_or_b32 exec_lo, exec_lo, s17
	s_xor_b32 s17, s24, -1
	s_delay_alu instid0(SALU_CYCLE_1) | instskip(NEXT) | instid1(SALU_CYCLE_1)
	s_and_b32 s17, exec_lo, s17
	s_or_b32 s16, s17, s16
	s_delay_alu instid0(SALU_CYCLE_1)
	s_and_not1_b32 exec_lo, exec_lo, s16
	s_cbranch_execz .LBB60_19
.LBB60_22:                              ;   Parent Loop BB60_17 Depth=1
                                        ;     Parent Loop BB60_20 Depth=2
                                        ; =>    This Inner Loop Header: Depth=3
	s_delay_alu instid0(VALU_DEP_1)
	v_lshl_add_u32 v14, v13, 2, 0
	s_mov_b32 s17, exec_lo
                                        ; implicit-def: $sgpr24
	ds_load_b32 v15, v14
	s_waitcnt lgkmcnt(0)
	v_cmpx_ne_u32_e64 v15, v4
	s_xor_b32 s17, exec_lo, s17
	s_cbranch_execz .LBB60_30
; %bb.23:                               ;   in Loop: Header=BB60_22 Depth=3
	s_mov_b32 s25, exec_lo
                                        ; implicit-def: $sgpr24
	v_cmpx_ne_u32_e64 s33, v15
	s_xor_b32 s25, exec_lo, s25
; %bb.24:                               ;   in Loop: Header=BB60_22 Depth=3
	v_add_nc_u32_e32 v13, 1, v13
	s_mov_b32 s24, -1
                                        ; implicit-def: $vgpr14
	s_delay_alu instid0(VALU_DEP_1)
	v_and_b32_e32 v13, 0x3fff, v13
; %bb.25:                               ;   in Loop: Header=BB60_22 Depth=3
	s_and_not1_saveexec_b32 s25, s25
	s_cbranch_execz .LBB60_29
; %bb.26:                               ;   in Loop: Header=BB60_22 Depth=3
	v_mov_b32_e32 v15, s33
	s_mov_b32 s27, -1
	s_mov_b32 s26, exec_lo
	ds_cmpstore_rtn_b32 v14, v14, v4, v15
	s_waitcnt lgkmcnt(0)
	v_cmpx_eq_u32_e64 s33, v14
	s_cbranch_execz .LBB60_28
; %bb.27:                               ;   in Loop: Header=BB60_22 Depth=3
	v_lshlrev_b32_e32 v14, 3, v13
	s_xor_b32 s27, exec_lo, -1
	s_delay_alu instid0(VALU_DEP_1)
	v_add3_u32 v14, 0, v14, 0x10000
	ds_add_f32 v14, v11
	ds_add_f32 v14, v12 offset:4
.LBB60_28:                              ;   in Loop: Header=BB60_22 Depth=3
	s_or_b32 exec_lo, exec_lo, s26
	s_delay_alu instid0(SALU_CYCLE_1) | instskip(SKIP_1) | instid1(SALU_CYCLE_1)
	s_and_not1_b32 s24, s24, exec_lo
	s_and_b32 s26, s27, exec_lo
	s_or_b32 s24, s24, s26
.LBB60_29:                              ;   in Loop: Header=BB60_22 Depth=3
	s_or_b32 exec_lo, exec_lo, s25
	s_delay_alu instid0(SALU_CYCLE_1)
	s_and_b32 s24, s24, exec_lo
.LBB60_30:                              ;   in Loop: Header=BB60_22 Depth=3
	s_and_not1_saveexec_b32 s17, s17
	s_cbranch_execz .LBB60_21
; %bb.31:                               ;   in Loop: Header=BB60_22 Depth=3
	v_lshlrev_b32_e32 v14, 3, v13
	s_and_not1_b32 s24, s24, exec_lo
	s_delay_alu instid0(VALU_DEP_1)
	v_add3_u32 v14, 0, v14, 0x10000
	ds_add_f32 v14, v11
	ds_add_f32 v14, v12 offset:4
	s_branch .LBB60_21
.LBB60_32:
	s_or_b32 exec_lo, exec_lo, s1
.LBB60_33:
	s_delay_alu instid0(SALU_CYCLE_1)
	s_and_not1_b32 vcc_lo, exec_lo, s14
	s_cbranch_vccnz .LBB60_50
; %bb.34:
	s_waitcnt lgkmcnt(0)
	s_ashr_i32 s49, s48, 31
	v_subrev_nc_u32_e32 v1, s47, v0
	s_lshl_b64 s[0:1], s[48:49], 2
	s_delay_alu instid0(SALU_CYCLE_1)
	s_add_u32 s0, s10, s0
	s_addc_u32 s1, s11, s1
	s_load_b64 s[0:1], s[0:1], 0x0
	s_waitcnt lgkmcnt(0)
	v_add_nc_u32_e32 v1, s0, v1
	s_sub_i32 s0, s1, s47
	s_mov_b32 s1, exec_lo
	s_delay_alu instid0(VALU_DEP_1)
	v_cmpx_gt_i32_e64 s0, v1
	s_cbranch_execz .LBB60_49
; %bb.35:
	s_mov_b32 s3, 0
	s_branch .LBB60_37
.LBB60_36:                              ;   in Loop: Header=BB60_37 Depth=1
	s_or_b32 exec_lo, exec_lo, s4
	v_add_nc_u32_e32 v1, 0x400, v1
	s_delay_alu instid0(VALU_DEP_1) | instskip(SKIP_1) | instid1(SALU_CYCLE_1)
	v_cmp_le_i32_e32 vcc_lo, s0, v1
	s_or_b32 s3, vcc_lo, s3
	s_and_not1_b32 exec_lo, exec_lo, s3
	s_cbranch_execz .LBB60_49
.LBB60_37:                              ; =>This Loop Header: Depth=1
                                        ;     Child Loop BB60_39 Depth 2
	v_ashrrev_i32_e32 v2, 31, v1
	s_mov_b32 s4, 0
	s_delay_alu instid0(VALU_DEP_1) | instskip(SKIP_1) | instid1(VALU_DEP_2)
	v_lshlrev_b64 v[3:4], 2, v[1:2]
	v_lshlrev_b64 v[8:9], 3, v[1:2]
	v_add_co_u32 v3, vcc_lo, s36, v3
	s_delay_alu instid0(VALU_DEP_3) | instskip(NEXT) | instid1(VALU_DEP_3)
	v_add_co_ci_u32_e32 v4, vcc_lo, s37, v4, vcc_lo
	v_add_co_u32 v2, vcc_lo, s38, v8
	global_load_b32 v4, v[3:4], off
	v_add_co_ci_u32_e32 v3, vcc_lo, s39, v9, vcc_lo
	global_load_b64 v[8:9], v[2:3], off
	s_waitcnt vmcnt(1)
	v_subrev_nc_u32_e32 v2, s47, v4
	s_delay_alu instid0(VALU_DEP_1) | instskip(SKIP_2) | instid1(VALU_DEP_1)
	v_mul_lo_u32 v10, 0x89, v2
	s_waitcnt vmcnt(0)
	v_mul_f32_e64 v3, v9, -s12
	v_dual_mul_f32 v4, s2, v9 :: v_dual_fmac_f32 v3, s2, v8
	s_delay_alu instid0(VALU_DEP_1) | instskip(NEXT) | instid1(VALU_DEP_4)
	v_fmac_f32_e32 v4, s12, v8
	v_and_b32_e32 v8, 0x3fff, v10
	s_branch .LBB60_39
.LBB60_38:                              ;   in Loop: Header=BB60_39 Depth=2
	s_or_b32 exec_lo, exec_lo, s5
	s_xor_b32 s5, s6, -1
	s_delay_alu instid0(SALU_CYCLE_1) | instskip(NEXT) | instid1(SALU_CYCLE_1)
	s_and_b32 s5, exec_lo, s5
	s_or_b32 s4, s5, s4
	s_delay_alu instid0(SALU_CYCLE_1)
	s_and_not1_b32 exec_lo, exec_lo, s4
	s_cbranch_execz .LBB60_36
.LBB60_39:                              ;   Parent Loop BB60_37 Depth=1
                                        ; =>  This Inner Loop Header: Depth=2
	s_delay_alu instid0(VALU_DEP_1)
	v_lshl_add_u32 v9, v8, 2, 0
	s_mov_b32 s5, exec_lo
                                        ; implicit-def: $sgpr6
	ds_load_b32 v10, v9
	s_waitcnt lgkmcnt(0)
	v_cmpx_ne_u32_e64 v10, v2
	s_xor_b32 s5, exec_lo, s5
	s_cbranch_execz .LBB60_47
; %bb.40:                               ;   in Loop: Header=BB60_39 Depth=2
	s_mov_b32 s7, exec_lo
                                        ; implicit-def: $sgpr6
	v_cmpx_ne_u32_e64 s33, v10
	s_xor_b32 s7, exec_lo, s7
; %bb.41:                               ;   in Loop: Header=BB60_39 Depth=2
	v_add_nc_u32_e32 v8, 1, v8
	s_mov_b32 s6, -1
                                        ; implicit-def: $vgpr9
	s_delay_alu instid0(VALU_DEP_1)
	v_and_b32_e32 v8, 0x3fff, v8
; %bb.42:                               ;   in Loop: Header=BB60_39 Depth=2
	s_and_not1_saveexec_b32 s7, s7
	s_cbranch_execz .LBB60_46
; %bb.43:                               ;   in Loop: Header=BB60_39 Depth=2
	v_mov_b32_e32 v10, s33
	s_mov_b32 s9, -1
	s_mov_b32 s8, exec_lo
	ds_cmpstore_rtn_b32 v9, v9, v2, v10
	s_waitcnt lgkmcnt(0)
	v_cmpx_eq_u32_e64 s33, v9
	s_cbranch_execz .LBB60_45
; %bb.44:                               ;   in Loop: Header=BB60_39 Depth=2
	v_lshlrev_b32_e32 v9, 3, v8
	s_xor_b32 s9, exec_lo, -1
	s_delay_alu instid0(VALU_DEP_1)
	v_add3_u32 v9, 0, v9, 0x10000
	ds_add_f32 v9, v3
	ds_add_f32 v9, v4 offset:4
.LBB60_45:                              ;   in Loop: Header=BB60_39 Depth=2
	s_or_b32 exec_lo, exec_lo, s8
	s_delay_alu instid0(SALU_CYCLE_1) | instskip(SKIP_1) | instid1(SALU_CYCLE_1)
	s_and_not1_b32 s6, s6, exec_lo
	s_and_b32 s8, s9, exec_lo
	s_or_b32 s6, s6, s8
.LBB60_46:                              ;   in Loop: Header=BB60_39 Depth=2
	s_or_b32 exec_lo, exec_lo, s7
	s_delay_alu instid0(SALU_CYCLE_1)
	s_and_b32 s6, s6, exec_lo
.LBB60_47:                              ;   in Loop: Header=BB60_39 Depth=2
	s_and_not1_saveexec_b32 s5, s5
	s_cbranch_execz .LBB60_38
; %bb.48:                               ;   in Loop: Header=BB60_39 Depth=2
	v_lshlrev_b32_e32 v9, 3, v8
	s_and_not1_b32 s6, s6, exec_lo
	s_delay_alu instid0(VALU_DEP_1)
	v_add3_u32 v9, 0, v9, 0x10000
	ds_add_f32 v9, v3
	ds_add_f32 v9, v4 offset:4
	s_branch .LBB60_38
.LBB60_49:
	s_or_b32 exec_lo, exec_lo, s1
.LBB60_50:
	v_mbcnt_lo_u32_b32 v1, -1, 0
	v_lshrrev_b32_e32 v2, 3, v0
	s_add_i32 s70, 0, 0x3007c
	v_cmp_eq_u32_e32 vcc_lo, 0x3ff, v0
	v_cmp_lt_u32_e64 s0, 31, v0
	v_xor_b32_e32 v1, 63, v1
	v_dual_mov_b32 v8, 0 :: v_dual_and_b32 v3, 0x7c, v2
	v_cmp_lt_u32_e64 s1, 63, v0
	v_cmp_lt_u32_e64 s2, 0x5f, v0
	s_delay_alu instid0(VALU_DEP_4) | instskip(NEXT) | instid1(VALU_DEP_4)
	v_lshrrev_b64 v[1:2], v1, -1
	v_add3_u32 v4, 0, 0x30000, v3
	v_cmp_lt_u32_e64 s3, 0x7f, v0
	v_cmp_lt_u32_e64 s4, 0x9f, v0
	;; [unrolled: 1-line block ×28, first 2 shown]
	v_add3_u32 v7, v7, 0, 0x10000
	v_mov_b32_e32 v9, s70
	s_mov_b32 s36, 0
	s_add_i32 s37, 0, 0x30000
	s_add_i32 s38, 0, 0x30004
	;; [unrolled: 1-line block ×31, first 2 shown]
	s_waitcnt lgkmcnt(0)
	s_barrier
	buffer_gl0_inv
	s_branch .LBB60_52
.LBB60_51:                              ;   in Loop: Header=BB60_52 Depth=1
	s_or_b32 exec_lo, exec_lo, s31
	s_waitcnt lgkmcnt(0)
	s_barrier
	buffer_gl0_inv
	ds_load_b32 v2, v9
	v_add_nc_u32_e32 v6, 0x400, v6
	v_add_nc_u32_e32 v7, 0x2000, v7
	;; [unrolled: 1-line block ×3, first 2 shown]
	s_delay_alu instid0(VALU_DEP_3) | instskip(NEXT) | instid1(VALU_DEP_1)
	v_cmp_lt_u32_e64 s31, 0x3bff, v6
	s_or_b32 s36, s31, s36
	s_waitcnt lgkmcnt(0)
	v_add_nc_u32_e32 v8, v2, v8
	s_and_not1_b32 exec_lo, exec_lo, s36
	s_cbranch_execz .LBB60_118
.LBB60_52:                              ; =>This Inner Loop Header: Depth=1
	ds_load_b32 v10, v5
	ds_load_2addr_b32 v[2:3], v7 offset1:1
	s_waitcnt lgkmcnt(0)
	s_barrier
	buffer_gl0_inv
	v_cmp_gt_i32_e64 s31, s33, v10
	s_delay_alu instid0(VALU_DEP_1) | instskip(NEXT) | instid1(SALU_CYCLE_1)
	s_bcnt1_i32_b32 s75, s31
	v_dual_mov_b32 v12, s75 :: v_dual_and_b32 v11, s31, v1
	s_delay_alu instid0(VALU_DEP_1)
	v_bcnt_u32_b32 v11, v11, 0
	ds_store_b32 v4, v12
	s_waitcnt lgkmcnt(0)
	s_barrier
	buffer_gl0_inv
	s_and_saveexec_b32 s75, s0
	s_cbranch_execnz .LBB60_85
; %bb.53:                               ;   in Loop: Header=BB60_52 Depth=1
	s_or_b32 exec_lo, exec_lo, s75
	s_and_saveexec_b32 s75, s1
	s_cbranch_execnz .LBB60_86
.LBB60_54:                              ;   in Loop: Header=BB60_52 Depth=1
	s_or_b32 exec_lo, exec_lo, s75
	s_and_saveexec_b32 s75, s2
	s_cbranch_execnz .LBB60_87
.LBB60_55:                              ;   in Loop: Header=BB60_52 Depth=1
	s_or_b32 exec_lo, exec_lo, s75
	s_and_saveexec_b32 s75, s3
	s_cbranch_execnz .LBB60_88
.LBB60_56:                              ;   in Loop: Header=BB60_52 Depth=1
	s_or_b32 exec_lo, exec_lo, s75
	s_and_saveexec_b32 s75, s4
	s_cbranch_execnz .LBB60_89
.LBB60_57:                              ;   in Loop: Header=BB60_52 Depth=1
	s_or_b32 exec_lo, exec_lo, s75
	s_and_saveexec_b32 s75, s5
	s_cbranch_execnz .LBB60_90
.LBB60_58:                              ;   in Loop: Header=BB60_52 Depth=1
	s_or_b32 exec_lo, exec_lo, s75
	s_and_saveexec_b32 s75, s6
	s_cbranch_execnz .LBB60_91
.LBB60_59:                              ;   in Loop: Header=BB60_52 Depth=1
	s_or_b32 exec_lo, exec_lo, s75
	s_and_saveexec_b32 s75, s7
	s_cbranch_execnz .LBB60_92
.LBB60_60:                              ;   in Loop: Header=BB60_52 Depth=1
	s_or_b32 exec_lo, exec_lo, s75
	s_and_saveexec_b32 s75, s8
	s_cbranch_execnz .LBB60_93
.LBB60_61:                              ;   in Loop: Header=BB60_52 Depth=1
	s_or_b32 exec_lo, exec_lo, s75
	s_and_saveexec_b32 s75, s9
	s_cbranch_execnz .LBB60_94
.LBB60_62:                              ;   in Loop: Header=BB60_52 Depth=1
	s_or_b32 exec_lo, exec_lo, s75
	s_and_saveexec_b32 s75, s10
	s_cbranch_execnz .LBB60_95
.LBB60_63:                              ;   in Loop: Header=BB60_52 Depth=1
	s_or_b32 exec_lo, exec_lo, s75
	s_and_saveexec_b32 s75, s11
	s_cbranch_execnz .LBB60_96
.LBB60_64:                              ;   in Loop: Header=BB60_52 Depth=1
	s_or_b32 exec_lo, exec_lo, s75
	s_and_saveexec_b32 s75, s12
	s_cbranch_execnz .LBB60_97
.LBB60_65:                              ;   in Loop: Header=BB60_52 Depth=1
	s_or_b32 exec_lo, exec_lo, s75
	s_and_saveexec_b32 s75, s13
	s_cbranch_execnz .LBB60_98
.LBB60_66:                              ;   in Loop: Header=BB60_52 Depth=1
	s_or_b32 exec_lo, exec_lo, s75
	s_and_saveexec_b32 s75, s14
	s_cbranch_execnz .LBB60_99
.LBB60_67:                              ;   in Loop: Header=BB60_52 Depth=1
	s_or_b32 exec_lo, exec_lo, s75
	s_and_saveexec_b32 s75, s15
	s_cbranch_execnz .LBB60_100
.LBB60_68:                              ;   in Loop: Header=BB60_52 Depth=1
	s_or_b32 exec_lo, exec_lo, s75
	s_and_saveexec_b32 s75, s16
	s_cbranch_execnz .LBB60_101
.LBB60_69:                              ;   in Loop: Header=BB60_52 Depth=1
	s_or_b32 exec_lo, exec_lo, s75
	s_and_saveexec_b32 s75, s17
	s_cbranch_execnz .LBB60_102
.LBB60_70:                              ;   in Loop: Header=BB60_52 Depth=1
	s_or_b32 exec_lo, exec_lo, s75
	s_and_saveexec_b32 s75, s18
	s_cbranch_execnz .LBB60_103
.LBB60_71:                              ;   in Loop: Header=BB60_52 Depth=1
	s_or_b32 exec_lo, exec_lo, s75
	s_and_saveexec_b32 s75, s19
	s_cbranch_execnz .LBB60_104
.LBB60_72:                              ;   in Loop: Header=BB60_52 Depth=1
	s_or_b32 exec_lo, exec_lo, s75
	s_and_saveexec_b32 s75, s20
	s_cbranch_execnz .LBB60_105
.LBB60_73:                              ;   in Loop: Header=BB60_52 Depth=1
	s_or_b32 exec_lo, exec_lo, s75
	s_and_saveexec_b32 s75, s21
	s_cbranch_execnz .LBB60_106
.LBB60_74:                              ;   in Loop: Header=BB60_52 Depth=1
	s_or_b32 exec_lo, exec_lo, s75
	s_and_saveexec_b32 s75, s22
	s_cbranch_execnz .LBB60_107
.LBB60_75:                              ;   in Loop: Header=BB60_52 Depth=1
	s_or_b32 exec_lo, exec_lo, s75
	s_and_saveexec_b32 s75, s23
	s_cbranch_execnz .LBB60_108
.LBB60_76:                              ;   in Loop: Header=BB60_52 Depth=1
	s_or_b32 exec_lo, exec_lo, s75
	s_and_saveexec_b32 s75, s24
	s_cbranch_execnz .LBB60_109
.LBB60_77:                              ;   in Loop: Header=BB60_52 Depth=1
	s_or_b32 exec_lo, exec_lo, s75
	s_and_saveexec_b32 s75, s25
	s_cbranch_execnz .LBB60_110
.LBB60_78:                              ;   in Loop: Header=BB60_52 Depth=1
	s_or_b32 exec_lo, exec_lo, s75
	s_and_saveexec_b32 s75, s26
	s_cbranch_execnz .LBB60_111
.LBB60_79:                              ;   in Loop: Header=BB60_52 Depth=1
	s_or_b32 exec_lo, exec_lo, s75
	s_and_saveexec_b32 s75, s27
	s_cbranch_execnz .LBB60_112
.LBB60_80:                              ;   in Loop: Header=BB60_52 Depth=1
	s_or_b32 exec_lo, exec_lo, s75
	s_and_saveexec_b32 s75, s28
	s_cbranch_execnz .LBB60_113
.LBB60_81:                              ;   in Loop: Header=BB60_52 Depth=1
	s_or_b32 exec_lo, exec_lo, s75
	s_and_saveexec_b32 s75, s29
	s_cbranch_execnz .LBB60_114
.LBB60_82:                              ;   in Loop: Header=BB60_52 Depth=1
	s_or_b32 exec_lo, exec_lo, s75
	s_and_saveexec_b32 s75, s30
	s_cbranch_execnz .LBB60_115
.LBB60_83:                              ;   in Loop: Header=BB60_52 Depth=1
	s_or_b32 exec_lo, exec_lo, s75
	s_and_saveexec_b32 s75, s31
	s_cbranch_execnz .LBB60_116
.LBB60_84:                              ;   in Loop: Header=BB60_52 Depth=1
	s_or_b32 exec_lo, exec_lo, s75
	s_and_saveexec_b32 s31, vcc_lo
	s_cbranch_execz .LBB60_51
	s_branch .LBB60_117
.LBB60_85:                              ;   in Loop: Header=BB60_52 Depth=1
	v_mov_b32_e32 v12, s37
	ds_load_b32 v12, v12
	s_waitcnt lgkmcnt(0)
	v_add_nc_u32_e32 v11, v12, v11
	s_or_b32 exec_lo, exec_lo, s75
	s_and_saveexec_b32 s75, s1
	s_cbranch_execz .LBB60_54
.LBB60_86:                              ;   in Loop: Header=BB60_52 Depth=1
	v_mov_b32_e32 v12, s38
	ds_load_b32 v12, v12
	s_waitcnt lgkmcnt(0)
	v_add_nc_u32_e32 v11, v12, v11
	s_or_b32 exec_lo, exec_lo, s75
	s_and_saveexec_b32 s75, s2
	s_cbranch_execz .LBB60_55
.LBB60_87:                              ;   in Loop: Header=BB60_52 Depth=1
	v_mov_b32_e32 v12, s39
	ds_load_b32 v12, v12
	s_waitcnt lgkmcnt(0)
	v_add_nc_u32_e32 v11, v12, v11
	s_or_b32 exec_lo, exec_lo, s75
	s_and_saveexec_b32 s75, s3
	s_cbranch_execz .LBB60_56
.LBB60_88:                              ;   in Loop: Header=BB60_52 Depth=1
	v_mov_b32_e32 v12, s44
	ds_load_b32 v12, v12
	s_waitcnt lgkmcnt(0)
	v_add_nc_u32_e32 v11, v12, v11
	s_or_b32 exec_lo, exec_lo, s75
	s_and_saveexec_b32 s75, s4
	s_cbranch_execz .LBB60_57
.LBB60_89:                              ;   in Loop: Header=BB60_52 Depth=1
	v_mov_b32_e32 v12, s45
	ds_load_b32 v12, v12
	s_waitcnt lgkmcnt(0)
	v_add_nc_u32_e32 v11, v12, v11
	s_or_b32 exec_lo, exec_lo, s75
	s_and_saveexec_b32 s75, s5
	s_cbranch_execz .LBB60_58
.LBB60_90:                              ;   in Loop: Header=BB60_52 Depth=1
	v_mov_b32_e32 v12, s47
	ds_load_b32 v12, v12
	s_waitcnt lgkmcnt(0)
	v_add_nc_u32_e32 v11, v12, v11
	s_or_b32 exec_lo, exec_lo, s75
	s_and_saveexec_b32 s75, s6
	s_cbranch_execz .LBB60_59
.LBB60_91:                              ;   in Loop: Header=BB60_52 Depth=1
	v_mov_b32_e32 v12, s49
	ds_load_b32 v12, v12
	s_waitcnt lgkmcnt(0)
	v_add_nc_u32_e32 v11, v12, v11
	s_or_b32 exec_lo, exec_lo, s75
	s_and_saveexec_b32 s75, s7
	s_cbranch_execz .LBB60_60
.LBB60_92:                              ;   in Loop: Header=BB60_52 Depth=1
	v_mov_b32_e32 v12, s50
	ds_load_b32 v12, v12
	s_waitcnt lgkmcnt(0)
	v_add_nc_u32_e32 v11, v12, v11
	s_or_b32 exec_lo, exec_lo, s75
	s_and_saveexec_b32 s75, s8
	s_cbranch_execz .LBB60_61
.LBB60_93:                              ;   in Loop: Header=BB60_52 Depth=1
	v_mov_b32_e32 v12, s51
	ds_load_b32 v12, v12
	s_waitcnt lgkmcnt(0)
	v_add_nc_u32_e32 v11, v12, v11
	s_or_b32 exec_lo, exec_lo, s75
	s_and_saveexec_b32 s75, s9
	s_cbranch_execz .LBB60_62
.LBB60_94:                              ;   in Loop: Header=BB60_52 Depth=1
	v_mov_b32_e32 v12, s52
	ds_load_b32 v12, v12
	s_waitcnt lgkmcnt(0)
	v_add_nc_u32_e32 v11, v12, v11
	s_or_b32 exec_lo, exec_lo, s75
	s_and_saveexec_b32 s75, s10
	s_cbranch_execz .LBB60_63
.LBB60_95:                              ;   in Loop: Header=BB60_52 Depth=1
	v_mov_b32_e32 v12, s53
	ds_load_b32 v12, v12
	s_waitcnt lgkmcnt(0)
	v_add_nc_u32_e32 v11, v12, v11
	s_or_b32 exec_lo, exec_lo, s75
	s_and_saveexec_b32 s75, s11
	s_cbranch_execz .LBB60_64
.LBB60_96:                              ;   in Loop: Header=BB60_52 Depth=1
	v_mov_b32_e32 v12, s54
	ds_load_b32 v12, v12
	s_waitcnt lgkmcnt(0)
	v_add_nc_u32_e32 v11, v12, v11
	s_or_b32 exec_lo, exec_lo, s75
	s_and_saveexec_b32 s75, s12
	s_cbranch_execz .LBB60_65
.LBB60_97:                              ;   in Loop: Header=BB60_52 Depth=1
	v_mov_b32_e32 v12, s55
	ds_load_b32 v12, v12
	s_waitcnt lgkmcnt(0)
	v_add_nc_u32_e32 v11, v12, v11
	s_or_b32 exec_lo, exec_lo, s75
	s_and_saveexec_b32 s75, s13
	s_cbranch_execz .LBB60_66
.LBB60_98:                              ;   in Loop: Header=BB60_52 Depth=1
	v_mov_b32_e32 v12, s56
	ds_load_b32 v12, v12
	s_waitcnt lgkmcnt(0)
	v_add_nc_u32_e32 v11, v12, v11
	s_or_b32 exec_lo, exec_lo, s75
	s_and_saveexec_b32 s75, s14
	s_cbranch_execz .LBB60_67
.LBB60_99:                              ;   in Loop: Header=BB60_52 Depth=1
	v_mov_b32_e32 v12, s57
	ds_load_b32 v12, v12
	s_waitcnt lgkmcnt(0)
	v_add_nc_u32_e32 v11, v12, v11
	s_or_b32 exec_lo, exec_lo, s75
	s_and_saveexec_b32 s75, s15
	s_cbranch_execz .LBB60_68
.LBB60_100:                             ;   in Loop: Header=BB60_52 Depth=1
	v_mov_b32_e32 v12, s58
	ds_load_b32 v12, v12
	s_waitcnt lgkmcnt(0)
	v_add_nc_u32_e32 v11, v12, v11
	s_or_b32 exec_lo, exec_lo, s75
	s_and_saveexec_b32 s75, s16
	s_cbranch_execz .LBB60_69
.LBB60_101:                             ;   in Loop: Header=BB60_52 Depth=1
	v_mov_b32_e32 v12, s59
	ds_load_b32 v12, v12
	s_waitcnt lgkmcnt(0)
	v_add_nc_u32_e32 v11, v12, v11
	s_or_b32 exec_lo, exec_lo, s75
	s_and_saveexec_b32 s75, s17
	s_cbranch_execz .LBB60_70
.LBB60_102:                             ;   in Loop: Header=BB60_52 Depth=1
	v_mov_b32_e32 v12, s60
	ds_load_b32 v12, v12
	s_waitcnt lgkmcnt(0)
	v_add_nc_u32_e32 v11, v12, v11
	s_or_b32 exec_lo, exec_lo, s75
	s_and_saveexec_b32 s75, s18
	s_cbranch_execz .LBB60_71
.LBB60_103:                             ;   in Loop: Header=BB60_52 Depth=1
	v_mov_b32_e32 v12, s61
	ds_load_b32 v12, v12
	s_waitcnt lgkmcnt(0)
	v_add_nc_u32_e32 v11, v12, v11
	s_or_b32 exec_lo, exec_lo, s75
	s_and_saveexec_b32 s75, s19
	s_cbranch_execz .LBB60_72
.LBB60_104:                             ;   in Loop: Header=BB60_52 Depth=1
	v_mov_b32_e32 v12, s62
	ds_load_b32 v12, v12
	s_waitcnt lgkmcnt(0)
	v_add_nc_u32_e32 v11, v12, v11
	s_or_b32 exec_lo, exec_lo, s75
	s_and_saveexec_b32 s75, s20
	s_cbranch_execz .LBB60_73
.LBB60_105:                             ;   in Loop: Header=BB60_52 Depth=1
	v_mov_b32_e32 v12, s63
	ds_load_b32 v12, v12
	s_waitcnt lgkmcnt(0)
	v_add_nc_u32_e32 v11, v12, v11
	s_or_b32 exec_lo, exec_lo, s75
	s_and_saveexec_b32 s75, s21
	s_cbranch_execz .LBB60_74
.LBB60_106:                             ;   in Loop: Header=BB60_52 Depth=1
	v_mov_b32_e32 v12, s64
	ds_load_b32 v12, v12
	s_waitcnt lgkmcnt(0)
	v_add_nc_u32_e32 v11, v12, v11
	s_or_b32 exec_lo, exec_lo, s75
	s_and_saveexec_b32 s75, s22
	s_cbranch_execz .LBB60_75
.LBB60_107:                             ;   in Loop: Header=BB60_52 Depth=1
	v_mov_b32_e32 v12, s65
	ds_load_b32 v12, v12
	s_waitcnt lgkmcnt(0)
	v_add_nc_u32_e32 v11, v12, v11
	s_or_b32 exec_lo, exec_lo, s75
	s_and_saveexec_b32 s75, s23
	s_cbranch_execz .LBB60_76
.LBB60_108:                             ;   in Loop: Header=BB60_52 Depth=1
	v_mov_b32_e32 v12, s66
	ds_load_b32 v12, v12
	s_waitcnt lgkmcnt(0)
	v_add_nc_u32_e32 v11, v12, v11
	s_or_b32 exec_lo, exec_lo, s75
	s_and_saveexec_b32 s75, s24
	s_cbranch_execz .LBB60_77
.LBB60_109:                             ;   in Loop: Header=BB60_52 Depth=1
	v_mov_b32_e32 v12, s67
	ds_load_b32 v12, v12
	s_waitcnt lgkmcnt(0)
	v_add_nc_u32_e32 v11, v12, v11
	s_or_b32 exec_lo, exec_lo, s75
	s_and_saveexec_b32 s75, s25
	s_cbranch_execz .LBB60_78
.LBB60_110:                             ;   in Loop: Header=BB60_52 Depth=1
	v_mov_b32_e32 v12, s68
	ds_load_b32 v12, v12
	s_waitcnt lgkmcnt(0)
	v_add_nc_u32_e32 v11, v12, v11
	s_or_b32 exec_lo, exec_lo, s75
	s_and_saveexec_b32 s75, s26
	s_cbranch_execz .LBB60_79
.LBB60_111:                             ;   in Loop: Header=BB60_52 Depth=1
	v_mov_b32_e32 v12, s69
	ds_load_b32 v12, v12
	s_waitcnt lgkmcnt(0)
	v_add_nc_u32_e32 v11, v12, v11
	s_or_b32 exec_lo, exec_lo, s75
	s_and_saveexec_b32 s75, s27
	s_cbranch_execz .LBB60_80
.LBB60_112:                             ;   in Loop: Header=BB60_52 Depth=1
	v_mov_b32_e32 v12, s71
	ds_load_b32 v12, v12
	s_waitcnt lgkmcnt(0)
	v_add_nc_u32_e32 v11, v12, v11
	s_or_b32 exec_lo, exec_lo, s75
	s_and_saveexec_b32 s75, s28
	s_cbranch_execz .LBB60_81
.LBB60_113:                             ;   in Loop: Header=BB60_52 Depth=1
	v_mov_b32_e32 v12, s72
	ds_load_b32 v12, v12
	s_waitcnt lgkmcnt(0)
	v_add_nc_u32_e32 v11, v12, v11
	s_or_b32 exec_lo, exec_lo, s75
	s_and_saveexec_b32 s75, s29
	s_cbranch_execz .LBB60_82
.LBB60_114:                             ;   in Loop: Header=BB60_52 Depth=1
	v_mov_b32_e32 v12, s73
	ds_load_b32 v12, v12
	s_waitcnt lgkmcnt(0)
	v_add_nc_u32_e32 v11, v12, v11
	s_or_b32 exec_lo, exec_lo, s75
	s_and_saveexec_b32 s75, s30
	s_cbranch_execz .LBB60_83
.LBB60_115:                             ;   in Loop: Header=BB60_52 Depth=1
	v_mov_b32_e32 v12, s74
	ds_load_b32 v12, v12
	s_waitcnt lgkmcnt(0)
	v_add_nc_u32_e32 v11, v12, v11
	s_or_b32 exec_lo, exec_lo, s75
	s_and_saveexec_b32 s75, s31
	s_cbranch_execz .LBB60_84
.LBB60_116:                             ;   in Loop: Header=BB60_52 Depth=1
	s_delay_alu instid0(VALU_DEP_1) | instskip(NEXT) | instid1(VALU_DEP_1)
	v_add3_u32 v12, v8, -1, v11
	v_lshlrev_b32_e32 v13, 3, v12
	v_lshl_add_u32 v12, v12, 2, 0
	s_delay_alu instid0(VALU_DEP_2)
	v_add3_u32 v13, 0, v13, 0x10000
	ds_store_b32 v12, v10
	ds_store_2addr_b32 v13, v2, v3 offset1:1
	s_or_b32 exec_lo, exec_lo, s75
	s_and_saveexec_b32 s31, vcc_lo
	s_cbranch_execz .LBB60_51
.LBB60_117:                             ;   in Loop: Header=BB60_52 Depth=1
	v_mov_b32_e32 v2, s70
	ds_store_b32 v2, v11
	s_branch .LBB60_51
.LBB60_118:
	s_or_b32 exec_lo, exec_lo, s36
	s_ashr_i32 s49, s48, 31
	s_mov_b32 s3, exec_lo
	s_lshl_b64 s[0:1], s[48:49], 2
	s_delay_alu instid0(SALU_CYCLE_1) | instskip(SKIP_4) | instid1(SALU_CYCLE_1)
	s_add_u32 s0, s40, s0
	s_addc_u32 s1, s41, s1
	s_load_b64 s[0:1], s[0:1], 0x0
	s_waitcnt lgkmcnt(0)
	s_sub_i32 s2, s1, s0
	v_cmpx_gt_i32_e64 s2, v0
	s_cbranch_execz .LBB60_128
; %bb.119:
	s_sub_i32 s3, s0, s46
	s_sub_i32 s0, s0, s1
	s_and_b32 s1, s2, 7
	s_cmp_lt_u32 s0, -7
	s_mov_b32 s7, 0
	s_cselect_b32 s4, -1, 0
	s_and_b32 s5, s2, -8
	s_cmp_lg_u32 s1, 0
	s_cselect_b32 s6, -1, 0
	s_branch .LBB60_121
.LBB60_120:                             ;   in Loop: Header=BB60_121 Depth=1
	s_delay_alu instid0(VALU_DEP_1) | instskip(SKIP_3) | instid1(VALU_DEP_3)
	v_ashrrev_i32_e32 v4, 31, v3
	v_add_nc_u32_e32 v0, 0x400, v0
	s_waitcnt lgkmcnt(1)
	v_add_nc_u32_e32 v8, s46, v5
	v_lshlrev_b64 v[6:7], 2, v[3:4]
	v_lshlrev_b64 v[3:4], 3, v[3:4]
	v_cmp_le_i32_e32 vcc_lo, s2, v0
	s_delay_alu instid0(VALU_DEP_3) | instskip(NEXT) | instid1(VALU_DEP_1)
	v_add_co_u32 v5, s0, s42, v6
	v_add_co_ci_u32_e64 v6, s0, s43, v7, s0
	s_delay_alu instid0(VALU_DEP_4) | instskip(NEXT) | instid1(VALU_DEP_1)
	v_add_co_u32 v3, s0, s34, v3
	v_add_co_ci_u32_e64 v4, s0, s35, v4, s0
	s_or_b32 s7, vcc_lo, s7
	global_store_b32 v[5:6], v8, off
	s_waitcnt lgkmcnt(0)
	global_store_b64 v[3:4], v[1:2], off
	s_and_not1_b32 exec_lo, exec_lo, s7
	s_cbranch_execz .LBB60_128
.LBB60_121:                             ; =>This Loop Header: Depth=1
                                        ;     Child Loop BB60_123 Depth 2
                                        ;     Child Loop BB60_127 Depth 2
	v_lshlrev_b32_e32 v1, 3, v0
	v_lshl_add_u32 v2, v0, 2, 0
	v_mov_b32_e32 v3, s3
	s_and_not1_b32 vcc_lo, exec_lo, s4
	s_mov_b32 s0, 0
	v_add3_u32 v1, 0, v1, 0x10000
	ds_load_b32 v5, v2
	ds_load_2addr_b32 v[1:2], v1 offset1:1
	s_cbranch_vccnz .LBB60_125
; %bb.122:                              ;   in Loop: Header=BB60_121 Depth=1
	v_mov_b32_e32 v3, s3
	s_mov_b32 s8, 0
	s_set_inst_prefetch_distance 0x1
	.p2align	6
.LBB60_123:                             ;   Parent Loop BB60_121 Depth=1
                                        ; =>  This Inner Loop Header: Depth=2
	v_mov_b32_e32 v4, s8
	s_add_i32 s0, s0, 8
	s_add_i32 s8, s8, 32
	s_cmp_eq_u32 s5, s0
	ds_load_2addr_b32 v[6:7], v4 offset1:1
	ds_load_2addr_b32 v[8:9], v4 offset0:2 offset1:3
	ds_load_2addr_b32 v[10:11], v4 offset0:4 offset1:5
	;; [unrolled: 1-line block ×3, first 2 shown]
	s_waitcnt lgkmcnt(3)
	v_cmp_gt_i32_e32 vcc_lo, v5, v6
	v_cndmask_b32_e64 v4, 0, 1, vcc_lo
	s_waitcnt lgkmcnt(2)
	v_cmp_gt_i32_e32 vcc_lo, v5, v8
	v_cndmask_b32_e64 v6, 0, 1, vcc_lo
	v_cmp_gt_i32_e32 vcc_lo, v5, v7
	v_add_co_ci_u32_e32 v3, vcc_lo, v3, v4, vcc_lo
	s_waitcnt lgkmcnt(1)
	v_cmp_gt_i32_e32 vcc_lo, v5, v10
	v_cndmask_b32_e64 v4, 0, 1, vcc_lo
	v_cmp_gt_i32_e32 vcc_lo, v5, v9
	v_add_co_ci_u32_e32 v3, vcc_lo, v3, v6, vcc_lo
	;; [unrolled: 5-line block ×3, first 2 shown]
	v_cmp_gt_i32_e32 vcc_lo, v5, v13
	s_delay_alu instid0(VALU_DEP_2)
	v_add_co_ci_u32_e32 v3, vcc_lo, v3, v6, vcc_lo
	s_cbranch_scc0 .LBB60_123
; %bb.124:                              ;   in Loop: Header=BB60_121 Depth=1
	s_set_inst_prefetch_distance 0x2
	s_mov_b32 s0, s5
.LBB60_125:                             ;   in Loop: Header=BB60_121 Depth=1
	s_and_not1_b32 vcc_lo, exec_lo, s6
	s_cbranch_vccnz .LBB60_120
; %bb.126:                              ;   in Loop: Header=BB60_121 Depth=1
	s_lshl_b32 s0, s0, 2
	s_mov_b32 s8, s1
	s_add_i32 s0, s0, 0
.LBB60_127:                             ;   Parent Loop BB60_121 Depth=1
                                        ; =>  This Inner Loop Header: Depth=2
	s_delay_alu instid0(SALU_CYCLE_1)
	v_mov_b32_e32 v4, s0
	s_add_i32 s8, s8, -1
	s_add_i32 s0, s0, 4
	s_cmp_lg_u32 s8, 0
	ds_load_b32 v4, v4
	s_waitcnt lgkmcnt(0)
	v_cmp_gt_i32_e32 vcc_lo, v5, v4
	v_add_co_ci_u32_e32 v3, vcc_lo, 0, v3, vcc_lo
	s_cbranch_scc1 .LBB60_127
	s_branch .LBB60_120
.LBB60_128:
	s_nop 0
	s_sendmsg sendmsg(MSG_DEALLOC_VGPRS)
	s_endpgm
	.section	.rodata,"a",@progbits
	.p2align	6, 0x0
	.amdhsa_kernel _ZN9rocsparseL26csrgemm_fill_block_per_rowILj1024ELj64ELj16384ELj137ELj32Eii21rocsparse_complex_numIfEEEvT5_PKS3_S5_NS_24const_host_device_scalarIT6_EEPKT4_S5_PKS7_SB_S5_SD_S8_SB_S5_SD_SB_PS3_PS7_21rocsparse_index_base_SG_SG_SG_bbb
		.amdhsa_group_segment_fixed_size 0
		.amdhsa_private_segment_fixed_size 0
		.amdhsa_kernarg_size 156
		.amdhsa_user_sgpr_count 15
		.amdhsa_user_sgpr_dispatch_ptr 0
		.amdhsa_user_sgpr_queue_ptr 0
		.amdhsa_user_sgpr_kernarg_segment_ptr 1
		.amdhsa_user_sgpr_dispatch_id 0
		.amdhsa_user_sgpr_private_segment_size 0
		.amdhsa_wavefront_size32 1
		.amdhsa_uses_dynamic_stack 0
		.amdhsa_enable_private_segment 0
		.amdhsa_system_sgpr_workgroup_id_x 1
		.amdhsa_system_sgpr_workgroup_id_y 0
		.amdhsa_system_sgpr_workgroup_id_z 0
		.amdhsa_system_sgpr_workgroup_info 0
		.amdhsa_system_vgpr_workitem_id 0
		.amdhsa_next_free_vgpr 16
		.amdhsa_next_free_sgpr 76
		.amdhsa_reserve_vcc 1
		.amdhsa_float_round_mode_32 0
		.amdhsa_float_round_mode_16_64 0
		.amdhsa_float_denorm_mode_32 3
		.amdhsa_float_denorm_mode_16_64 3
		.amdhsa_dx10_clamp 1
		.amdhsa_ieee_mode 1
		.amdhsa_fp16_overflow 0
		.amdhsa_workgroup_processor_mode 1
		.amdhsa_memory_ordered 1
		.amdhsa_forward_progress 0
		.amdhsa_shared_vgpr_count 0
		.amdhsa_exception_fp_ieee_invalid_op 0
		.amdhsa_exception_fp_denorm_src 0
		.amdhsa_exception_fp_ieee_div_zero 0
		.amdhsa_exception_fp_ieee_overflow 0
		.amdhsa_exception_fp_ieee_underflow 0
		.amdhsa_exception_fp_ieee_inexact 0
		.amdhsa_exception_int_div_zero 0
	.end_amdhsa_kernel
	.section	.text._ZN9rocsparseL26csrgemm_fill_block_per_rowILj1024ELj64ELj16384ELj137ELj32Eii21rocsparse_complex_numIfEEEvT5_PKS3_S5_NS_24const_host_device_scalarIT6_EEPKT4_S5_PKS7_SB_S5_SD_S8_SB_S5_SD_SB_PS3_PS7_21rocsparse_index_base_SG_SG_SG_bbb,"axG",@progbits,_ZN9rocsparseL26csrgemm_fill_block_per_rowILj1024ELj64ELj16384ELj137ELj32Eii21rocsparse_complex_numIfEEEvT5_PKS3_S5_NS_24const_host_device_scalarIT6_EEPKT4_S5_PKS7_SB_S5_SD_S8_SB_S5_SD_SB_PS3_PS7_21rocsparse_index_base_SG_SG_SG_bbb,comdat
.Lfunc_end60:
	.size	_ZN9rocsparseL26csrgemm_fill_block_per_rowILj1024ELj64ELj16384ELj137ELj32Eii21rocsparse_complex_numIfEEEvT5_PKS3_S5_NS_24const_host_device_scalarIT6_EEPKT4_S5_PKS7_SB_S5_SD_S8_SB_S5_SD_SB_PS3_PS7_21rocsparse_index_base_SG_SG_SG_bbb, .Lfunc_end60-_ZN9rocsparseL26csrgemm_fill_block_per_rowILj1024ELj64ELj16384ELj137ELj32Eii21rocsparse_complex_numIfEEEvT5_PKS3_S5_NS_24const_host_device_scalarIT6_EEPKT4_S5_PKS7_SB_S5_SD_S8_SB_S5_SD_SB_PS3_PS7_21rocsparse_index_base_SG_SG_SG_bbb
                                        ; -- End function
	.section	.AMDGPU.csdata,"",@progbits
; Kernel info:
; codeLenInByte = 4636
; NumSgprs: 78
; NumVgprs: 16
; ScratchSize: 0
; MemoryBound: 0
; FloatMode: 240
; IeeeMode: 1
; LDSByteSize: 0 bytes/workgroup (compile time only)
; SGPRBlocks: 9
; VGPRBlocks: 1
; NumSGPRsForWavesPerEU: 78
; NumVGPRsForWavesPerEU: 16
; Occupancy: 16
; WaveLimiterHint : 1
; COMPUTE_PGM_RSRC2:SCRATCH_EN: 0
; COMPUTE_PGM_RSRC2:USER_SGPR: 15
; COMPUTE_PGM_RSRC2:TRAP_HANDLER: 0
; COMPUTE_PGM_RSRC2:TGID_X_EN: 1
; COMPUTE_PGM_RSRC2:TGID_Y_EN: 0
; COMPUTE_PGM_RSRC2:TGID_Z_EN: 0
; COMPUTE_PGM_RSRC2:TIDIG_COMP_CNT: 0
	.section	.text._ZN9rocsparseL26csrgemm_fill_block_per_rowILj1024ELj64ELj16384ELj137ELj64Eii21rocsparse_complex_numIfEEEvT5_PKS3_S5_NS_24const_host_device_scalarIT6_EEPKT4_S5_PKS7_SB_S5_SD_S8_SB_S5_SD_SB_PS3_PS7_21rocsparse_index_base_SG_SG_SG_bbb,"axG",@progbits,_ZN9rocsparseL26csrgemm_fill_block_per_rowILj1024ELj64ELj16384ELj137ELj64Eii21rocsparse_complex_numIfEEEvT5_PKS3_S5_NS_24const_host_device_scalarIT6_EEPKT4_S5_PKS7_SB_S5_SD_S8_SB_S5_SD_SB_PS3_PS7_21rocsparse_index_base_SG_SG_SG_bbb,comdat
	.globl	_ZN9rocsparseL26csrgemm_fill_block_per_rowILj1024ELj64ELj16384ELj137ELj64Eii21rocsparse_complex_numIfEEEvT5_PKS3_S5_NS_24const_host_device_scalarIT6_EEPKT4_S5_PKS7_SB_S5_SD_S8_SB_S5_SD_SB_PS3_PS7_21rocsparse_index_base_SG_SG_SG_bbb ; -- Begin function _ZN9rocsparseL26csrgemm_fill_block_per_rowILj1024ELj64ELj16384ELj137ELj64Eii21rocsparse_complex_numIfEEEvT5_PKS3_S5_NS_24const_host_device_scalarIT6_EEPKT4_S5_PKS7_SB_S5_SD_S8_SB_S5_SD_SB_PS3_PS7_21rocsparse_index_base_SG_SG_SG_bbb
	.p2align	8
	.type	_ZN9rocsparseL26csrgemm_fill_block_per_rowILj1024ELj64ELj16384ELj137ELj64Eii21rocsparse_complex_numIfEEEvT5_PKS3_S5_NS_24const_host_device_scalarIT6_EEPKT4_S5_PKS7_SB_S5_SD_S8_SB_S5_SD_SB_PS3_PS7_21rocsparse_index_base_SG_SG_SG_bbb,@function
_ZN9rocsparseL26csrgemm_fill_block_per_rowILj1024ELj64ELj16384ELj137ELj64Eii21rocsparse_complex_numIfEEEvT5_PKS3_S5_NS_24const_host_device_scalarIT6_EEPKT4_S5_PKS7_SB_S5_SD_S8_SB_S5_SD_SB_PS3_PS7_21rocsparse_index_base_SG_SG_SG_bbb: ; @_ZN9rocsparseL26csrgemm_fill_block_per_rowILj1024ELj64ELj16384ELj137ELj64Eii21rocsparse_complex_numIfEEEvT5_PKS3_S5_NS_24const_host_device_scalarIT6_EEPKT4_S5_PKS7_SB_S5_SD_S8_SB_S5_SD_SB_PS3_PS7_21rocsparse_index_base_SG_SG_SG_bbb
; %bb.0:
	s_clause 0x6
	s_load_b32 s12, s[0:1], 0x98
	s_load_b256 s[16:23], s[0:1], 0x60
	s_load_b256 s[4:11], s[0:1], 0x40
	s_load_b128 s[40:43], s[0:1], 0x8
	s_load_b256 s[24:31], s[0:1], 0x20
	s_load_b64 s[34:35], s[0:1], 0x80
	s_load_b128 s[36:39], s[0:1], 0x88
	s_mov_b32 s3, 0
	s_mov_b32 s13, 0
	s_waitcnt lgkmcnt(0)
	s_bitcmp1_b32 s12, 0
	s_cselect_b32 s44, -1, 0
	s_bitcmp1_b32 s12, 16
	s_cselect_b32 s2, -1, 0
	s_delay_alu instid0(SALU_CYCLE_1) | instskip(SKIP_2) | instid1(VALU_DEP_1)
	s_xor_b32 s14, s2, -1
	s_bitcmp0_b32 s12, 0
	v_cndmask_b32_e64 v1, 0, 1, s14
	v_cmp_ne_u32_e32 vcc_lo, 1, v1
	s_cbranch_scc1 .LBB61_5
; %bb.1:
	s_load_b64 s[2:3], s[0:1], 0x18
	s_and_b32 vcc_lo, exec_lo, vcc_lo
	s_waitcnt lgkmcnt(0)
	s_mov_b32 s13, s2
	s_cbranch_vccnz .LBB61_3
; %bb.2:
	s_load_b32 s13, s[2:3], 0x0
.LBB61_3:
	s_and_not1_b32 vcc_lo, exec_lo, s14
	s_cbranch_vccnz .LBB61_5
; %bb.4:
	s_load_b32 s3, s[2:3], 0x4
.LBB61_5:
	s_bitcmp1_b32 s12, 8
	s_cselect_b32 s14, -1, 0
	s_bfe_u32 s2, s12, 0x10008
	s_mov_b32 s12, 0
	s_cmp_eq_u32 s2, 0
	s_mov_b32 s2, 0
	s_cbranch_scc1 .LBB61_11
; %bb.6:
	v_cmp_ne_u32_e32 vcc_lo, 1, v1
	s_mov_b32 s2, s8
	s_cbranch_vccnz .LBB61_8
; %bb.7:
	s_load_b32 s2, s[8:9], 0x0
.LBB61_8:
	v_cmp_ne_u32_e32 vcc_lo, 1, v1
	s_cbranch_vccnz .LBB61_10
; %bb.9:
	s_load_b32 s9, s[8:9], 0x4
.LBB61_10:
	s_waitcnt lgkmcnt(0)
	s_mov_b32 s12, s9
.LBB61_11:
	s_load_b32 s33, s[0:1], 0x0
	v_lshlrev_b32_e32 v7, 3, v0
	v_lshl_add_u32 v5, v0, 2, 0
	v_or_b32_e32 v6, 0xfffffc00, v0
	v_mov_b32_e32 v1, 0
	s_mov_b32 s0, 0
	s_delay_alu instid0(VALU_DEP_2)
	v_dual_mov_b32 v3, v5 :: v_dual_mov_b32 v8, v6
	s_waitcnt lgkmcnt(0)
	v_mov_b32_e32 v4, s33
	v_add3_u32 v2, v7, 0, 0x10004
.LBB61_12:                              ; =>This Inner Loop Header: Depth=1
	s_delay_alu instid0(VALU_DEP_3)
	v_add_nc_u32_e32 v8, 0x400, v8
	ds_store_b32 v3, v4
	v_add_nc_u32_e32 v9, -4, v2
	v_add_nc_u32_e32 v2, 0x2000, v2
	v_add_nc_u32_e32 v3, 0x1000, v3
	v_cmp_lt_u32_e32 vcc_lo, 0x3bff, v8
	ds_store_2addr_b32 v9, v1, v1 offset1:1
	s_or_b32 s0, vcc_lo, s0
	s_delay_alu instid0(SALU_CYCLE_1)
	s_and_not1_b32 exec_lo, exec_lo, s0
	s_cbranch_execnz .LBB61_12
; %bb.13:
	s_or_b32 exec_lo, exec_lo, s0
	s_waitcnt lgkmcnt(0)
	s_barrier
	buffer_gl0_inv
	s_load_b32 s0, s[40:41], 0x0
	s_mov_b32 s1, 0
	v_lshrrev_b32_e32 v8, 6, v0
	s_waitcnt lgkmcnt(0)
	s_add_i32 s0, s0, s15
	s_delay_alu instid0(SALU_CYCLE_1) | instskip(NEXT) | instid1(SALU_CYCLE_1)
	s_lshl_b64 s[0:1], s[0:1], 2
	s_add_u32 s0, s42, s0
	s_addc_u32 s1, s43, s1
	s_and_b32 vcc_lo, exec_lo, s44
	s_load_b32 s40, s[0:1], 0x0
	s_cbranch_vccz .LBB61_33
; %bb.14:
	s_waitcnt lgkmcnt(0)
	s_ashr_i32 s41, s40, 31
	v_subrev_nc_u32_e32 v1, s36, v8
	s_lshl_b64 s[0:1], s[40:41], 2
	s_delay_alu instid0(SALU_CYCLE_1)
	s_add_u32 s0, s24, s0
	s_addc_u32 s1, s25, s1
	s_load_b64 s[0:1], s[0:1], 0x0
	s_waitcnt lgkmcnt(0)
	v_add_nc_u32_e32 v1, s0, v1
	s_sub_i32 s0, s1, s36
	s_mov_b32 s1, exec_lo
	s_delay_alu instid0(VALU_DEP_1)
	v_cmpx_gt_i32_e64 s0, v1
	s_cbranch_execz .LBB61_32
; %bb.15:
	v_and_b32_e32 v2, 63, v0
	s_mov_b32 s8, 0
	s_delay_alu instid0(VALU_DEP_1)
	v_subrev_nc_u32_e32 v9, s37, v2
	s_branch .LBB61_17
.LBB61_16:                              ;   in Loop: Header=BB61_17 Depth=1
	s_or_b32 exec_lo, exec_lo, s9
	v_add_nc_u32_e32 v1, 16, v1
	s_delay_alu instid0(VALU_DEP_1) | instskip(SKIP_1) | instid1(SALU_CYCLE_1)
	v_cmp_le_i32_e32 vcc_lo, s0, v1
	s_or_b32 s8, vcc_lo, s8
	s_and_not1_b32 exec_lo, exec_lo, s8
	s_cbranch_execz .LBB61_32
.LBB61_17:                              ; =>This Loop Header: Depth=1
                                        ;     Child Loop BB61_20 Depth 2
                                        ;       Child Loop BB61_22 Depth 3
	v_ashrrev_i32_e32 v2, 31, v1
	s_mov_b32 s9, exec_lo
	s_delay_alu instid0(VALU_DEP_1) | instskip(NEXT) | instid1(VALU_DEP_1)
	v_lshlrev_b64 v[3:4], 2, v[1:2]
	v_add_co_u32 v3, vcc_lo, s26, v3
	s_delay_alu instid0(VALU_DEP_2) | instskip(SKIP_3) | instid1(VALU_DEP_1)
	v_add_co_ci_u32_e32 v4, vcc_lo, s27, v4, vcc_lo
	global_load_b32 v3, v[3:4], off
	s_waitcnt vmcnt(0)
	v_subrev_nc_u32_e32 v3, s36, v3
	v_ashrrev_i32_e32 v4, 31, v3
	s_delay_alu instid0(VALU_DEP_1) | instskip(NEXT) | instid1(VALU_DEP_1)
	v_lshlrev_b64 v[3:4], 2, v[3:4]
	v_add_co_u32 v3, vcc_lo, s30, v3
	s_delay_alu instid0(VALU_DEP_2) | instskip(SKIP_4) | instid1(VALU_DEP_1)
	v_add_co_ci_u32_e32 v4, vcc_lo, s31, v4, vcc_lo
	global_load_b64 v[3:4], v[3:4], off
	s_waitcnt vmcnt(0)
	v_subrev_nc_u32_e32 v10, s37, v4
	v_add_nc_u32_e32 v3, v3, v9
	v_cmpx_lt_i32_e64 v3, v10
	s_cbranch_execz .LBB61_16
; %bb.18:                               ;   in Loop: Header=BB61_17 Depth=1
	v_lshlrev_b64 v[11:12], 3, v[1:2]
	s_mov_b32 s15, 0
	s_delay_alu instid0(VALU_DEP_1) | instskip(NEXT) | instid1(VALU_DEP_2)
	v_add_co_u32 v11, vcc_lo, s28, v11
	v_add_co_ci_u32_e32 v12, vcc_lo, s29, v12, vcc_lo
	global_load_b64 v[12:13], v[11:12], off
	s_waitcnt vmcnt(0)
	v_mul_f32_e64 v2, v13, -s3
	s_delay_alu instid0(VALU_DEP_1) | instskip(NEXT) | instid1(VALU_DEP_1)
	v_dual_mul_f32 v11, s13, v13 :: v_dual_fmac_f32 v2, s13, v12
	v_fmac_f32_e32 v11, s3, v12
	s_branch .LBB61_20
.LBB61_19:                              ;   in Loop: Header=BB61_20 Depth=2
	s_or_b32 exec_lo, exec_lo, s24
	v_add_nc_u32_e32 v3, 64, v3
	s_delay_alu instid0(VALU_DEP_1) | instskip(SKIP_1) | instid1(SALU_CYCLE_1)
	v_cmp_ge_i32_e32 vcc_lo, v3, v10
	s_or_b32 s15, vcc_lo, s15
	s_and_not1_b32 exec_lo, exec_lo, s15
	s_cbranch_execz .LBB61_16
.LBB61_20:                              ;   Parent Loop BB61_17 Depth=1
                                        ; =>  This Loop Header: Depth=2
                                        ;       Child Loop BB61_22 Depth 3
	v_ashrrev_i32_e32 v4, 31, v3
	s_mov_b32 s24, 0
	s_delay_alu instid0(VALU_DEP_1) | instskip(SKIP_1) | instid1(VALU_DEP_2)
	v_lshlrev_b64 v[12:13], 2, v[3:4]
	v_lshlrev_b64 v[14:15], 3, v[3:4]
	v_add_co_u32 v12, vcc_lo, s4, v12
	s_delay_alu instid0(VALU_DEP_3)
	v_add_co_ci_u32_e32 v13, vcc_lo, s5, v13, vcc_lo
	global_load_b32 v4, v[12:13], off
	v_add_co_u32 v12, vcc_lo, s6, v14
	v_add_co_ci_u32_e32 v13, vcc_lo, s7, v15, vcc_lo
	global_load_b64 v[14:15], v[12:13], off
	s_waitcnt vmcnt(1)
	v_subrev_nc_u32_e32 v4, s37, v4
	s_delay_alu instid0(VALU_DEP_1) | instskip(SKIP_3) | instid1(VALU_DEP_2)
	v_mul_lo_u32 v16, 0x89, v4
	s_waitcnt vmcnt(0)
	v_mul_f32_e64 v12, v15, -v11
	v_mul_f32_e32 v13, v2, v15
	v_fmac_f32_e32 v12, v2, v14
	s_delay_alu instid0(VALU_DEP_2)
	v_dual_fmac_f32 v13, v11, v14 :: v_dual_and_b32 v14, 0x3fff, v16
	s_branch .LBB61_22
.LBB61_21:                              ;   in Loop: Header=BB61_22 Depth=3
	s_or_b32 exec_lo, exec_lo, s25
	s_xor_b32 s25, s41, -1
	s_delay_alu instid0(SALU_CYCLE_1) | instskip(NEXT) | instid1(SALU_CYCLE_1)
	s_and_b32 s25, exec_lo, s25
	s_or_b32 s24, s25, s24
	s_delay_alu instid0(SALU_CYCLE_1)
	s_and_not1_b32 exec_lo, exec_lo, s24
	s_cbranch_execz .LBB61_19
.LBB61_22:                              ;   Parent Loop BB61_17 Depth=1
                                        ;     Parent Loop BB61_20 Depth=2
                                        ; =>    This Inner Loop Header: Depth=3
	s_delay_alu instid0(VALU_DEP_1)
	v_lshl_add_u32 v15, v14, 2, 0
	s_mov_b32 s25, exec_lo
                                        ; implicit-def: $sgpr41
	ds_load_b32 v16, v15
	s_waitcnt lgkmcnt(0)
	v_cmpx_ne_u32_e64 v16, v4
	s_xor_b32 s25, exec_lo, s25
	s_cbranch_execz .LBB61_30
; %bb.23:                               ;   in Loop: Header=BB61_22 Depth=3
	s_mov_b32 s42, exec_lo
                                        ; implicit-def: $sgpr41
	v_cmpx_ne_u32_e64 s33, v16
	s_xor_b32 s42, exec_lo, s42
; %bb.24:                               ;   in Loop: Header=BB61_22 Depth=3
	v_add_nc_u32_e32 v14, 1, v14
	s_mov_b32 s41, -1
                                        ; implicit-def: $vgpr15
	s_delay_alu instid0(VALU_DEP_1)
	v_and_b32_e32 v14, 0x3fff, v14
; %bb.25:                               ;   in Loop: Header=BB61_22 Depth=3
	s_and_not1_saveexec_b32 s42, s42
	s_cbranch_execz .LBB61_29
; %bb.26:                               ;   in Loop: Header=BB61_22 Depth=3
	v_mov_b32_e32 v16, s33
	s_mov_b32 s44, -1
	s_mov_b32 s43, exec_lo
	ds_cmpstore_rtn_b32 v15, v15, v4, v16
	s_waitcnt lgkmcnt(0)
	v_cmpx_eq_u32_e64 s33, v15
	s_cbranch_execz .LBB61_28
; %bb.27:                               ;   in Loop: Header=BB61_22 Depth=3
	v_lshlrev_b32_e32 v15, 3, v14
	s_xor_b32 s44, exec_lo, -1
	s_delay_alu instid0(VALU_DEP_1)
	v_add3_u32 v15, 0, v15, 0x10000
	ds_add_f32 v15, v12
	ds_add_f32 v15, v13 offset:4
.LBB61_28:                              ;   in Loop: Header=BB61_22 Depth=3
	s_or_b32 exec_lo, exec_lo, s43
	s_delay_alu instid0(SALU_CYCLE_1) | instskip(SKIP_1) | instid1(SALU_CYCLE_1)
	s_and_not1_b32 s41, s41, exec_lo
	s_and_b32 s43, s44, exec_lo
	s_or_b32 s41, s41, s43
.LBB61_29:                              ;   in Loop: Header=BB61_22 Depth=3
	s_or_b32 exec_lo, exec_lo, s42
	s_delay_alu instid0(SALU_CYCLE_1)
	s_and_b32 s41, s41, exec_lo
.LBB61_30:                              ;   in Loop: Header=BB61_22 Depth=3
	s_and_not1_saveexec_b32 s25, s25
	s_cbranch_execz .LBB61_21
; %bb.31:                               ;   in Loop: Header=BB61_22 Depth=3
	v_lshlrev_b32_e32 v15, 3, v14
	s_and_not1_b32 s41, s41, exec_lo
	s_delay_alu instid0(VALU_DEP_1)
	v_add3_u32 v15, 0, v15, 0x10000
	ds_add_f32 v15, v12
	ds_add_f32 v15, v13 offset:4
	s_branch .LBB61_21
.LBB61_32:
	s_or_b32 exec_lo, exec_lo, s1
.LBB61_33:
	s_delay_alu instid0(SALU_CYCLE_1)
	s_and_not1_b32 vcc_lo, exec_lo, s14
	s_cbranch_vccnz .LBB61_50
; %bb.34:
	s_waitcnt lgkmcnt(0)
	s_ashr_i32 s41, s40, 31
	v_subrev_nc_u32_e32 v1, s39, v0
	s_lshl_b64 s[0:1], s[40:41], 2
	s_delay_alu instid0(SALU_CYCLE_1)
	s_add_u32 s0, s10, s0
	s_addc_u32 s1, s11, s1
	s_load_b64 s[0:1], s[0:1], 0x0
	s_waitcnt lgkmcnt(0)
	v_add_nc_u32_e32 v1, s0, v1
	s_sub_i32 s0, s1, s39
	s_mov_b32 s1, exec_lo
	s_delay_alu instid0(VALU_DEP_1)
	v_cmpx_gt_i32_e64 s0, v1
	s_cbranch_execz .LBB61_49
; %bb.35:
	s_mov_b32 s3, 0
	s_branch .LBB61_37
.LBB61_36:                              ;   in Loop: Header=BB61_37 Depth=1
	s_or_b32 exec_lo, exec_lo, s4
	v_add_nc_u32_e32 v1, 0x400, v1
	s_delay_alu instid0(VALU_DEP_1) | instskip(SKIP_1) | instid1(SALU_CYCLE_1)
	v_cmp_le_i32_e32 vcc_lo, s0, v1
	s_or_b32 s3, vcc_lo, s3
	s_and_not1_b32 exec_lo, exec_lo, s3
	s_cbranch_execz .LBB61_49
.LBB61_37:                              ; =>This Loop Header: Depth=1
                                        ;     Child Loop BB61_39 Depth 2
	v_ashrrev_i32_e32 v2, 31, v1
	s_mov_b32 s4, 0
	s_delay_alu instid0(VALU_DEP_1) | instskip(SKIP_1) | instid1(VALU_DEP_2)
	v_lshlrev_b64 v[3:4], 2, v[1:2]
	v_lshlrev_b64 v[9:10], 3, v[1:2]
	v_add_co_u32 v3, vcc_lo, s16, v3
	s_delay_alu instid0(VALU_DEP_3) | instskip(NEXT) | instid1(VALU_DEP_3)
	v_add_co_ci_u32_e32 v4, vcc_lo, s17, v4, vcc_lo
	v_add_co_u32 v2, vcc_lo, s18, v9
	global_load_b32 v4, v[3:4], off
	v_add_co_ci_u32_e32 v3, vcc_lo, s19, v10, vcc_lo
	global_load_b64 v[9:10], v[2:3], off
	s_waitcnt vmcnt(1)
	v_subrev_nc_u32_e32 v2, s39, v4
	s_delay_alu instid0(VALU_DEP_1) | instskip(SKIP_2) | instid1(VALU_DEP_1)
	v_mul_lo_u32 v11, 0x89, v2
	s_waitcnt vmcnt(0)
	v_mul_f32_e64 v3, v10, -s12
	v_dual_mul_f32 v4, s2, v10 :: v_dual_fmac_f32 v3, s2, v9
	s_delay_alu instid0(VALU_DEP_1)
	v_dual_fmac_f32 v4, s12, v9 :: v_dual_and_b32 v9, 0x3fff, v11
	s_branch .LBB61_39
.LBB61_38:                              ;   in Loop: Header=BB61_39 Depth=2
	s_or_b32 exec_lo, exec_lo, s5
	s_xor_b32 s5, s6, -1
	s_delay_alu instid0(SALU_CYCLE_1) | instskip(NEXT) | instid1(SALU_CYCLE_1)
	s_and_b32 s5, exec_lo, s5
	s_or_b32 s4, s5, s4
	s_delay_alu instid0(SALU_CYCLE_1)
	s_and_not1_b32 exec_lo, exec_lo, s4
	s_cbranch_execz .LBB61_36
.LBB61_39:                              ;   Parent Loop BB61_37 Depth=1
                                        ; =>  This Inner Loop Header: Depth=2
	s_delay_alu instid0(VALU_DEP_1)
	v_lshl_add_u32 v10, v9, 2, 0
	s_mov_b32 s5, exec_lo
                                        ; implicit-def: $sgpr6
	ds_load_b32 v11, v10
	s_waitcnt lgkmcnt(0)
	v_cmpx_ne_u32_e64 v11, v2
	s_xor_b32 s5, exec_lo, s5
	s_cbranch_execz .LBB61_47
; %bb.40:                               ;   in Loop: Header=BB61_39 Depth=2
	s_mov_b32 s7, exec_lo
                                        ; implicit-def: $sgpr6
	v_cmpx_ne_u32_e64 s33, v11
	s_xor_b32 s7, exec_lo, s7
; %bb.41:                               ;   in Loop: Header=BB61_39 Depth=2
	v_add_nc_u32_e32 v9, 1, v9
	s_mov_b32 s6, -1
                                        ; implicit-def: $vgpr10
	s_delay_alu instid0(VALU_DEP_1)
	v_and_b32_e32 v9, 0x3fff, v9
; %bb.42:                               ;   in Loop: Header=BB61_39 Depth=2
	s_and_not1_saveexec_b32 s7, s7
	s_cbranch_execz .LBB61_46
; %bb.43:                               ;   in Loop: Header=BB61_39 Depth=2
	v_mov_b32_e32 v11, s33
	s_mov_b32 s9, -1
	s_mov_b32 s8, exec_lo
	ds_cmpstore_rtn_b32 v10, v10, v2, v11
	s_waitcnt lgkmcnt(0)
	v_cmpx_eq_u32_e64 s33, v10
	s_cbranch_execz .LBB61_45
; %bb.44:                               ;   in Loop: Header=BB61_39 Depth=2
	v_lshlrev_b32_e32 v10, 3, v9
	s_xor_b32 s9, exec_lo, -1
	s_delay_alu instid0(VALU_DEP_1)
	v_add3_u32 v10, 0, v10, 0x10000
	ds_add_f32 v10, v3
	ds_add_f32 v10, v4 offset:4
.LBB61_45:                              ;   in Loop: Header=BB61_39 Depth=2
	s_or_b32 exec_lo, exec_lo, s8
	s_delay_alu instid0(SALU_CYCLE_1) | instskip(SKIP_1) | instid1(SALU_CYCLE_1)
	s_and_not1_b32 s6, s6, exec_lo
	s_and_b32 s8, s9, exec_lo
	s_or_b32 s6, s6, s8
.LBB61_46:                              ;   in Loop: Header=BB61_39 Depth=2
	s_or_b32 exec_lo, exec_lo, s7
	s_delay_alu instid0(SALU_CYCLE_1)
	s_and_b32 s6, s6, exec_lo
.LBB61_47:                              ;   in Loop: Header=BB61_39 Depth=2
	s_and_not1_saveexec_b32 s5, s5
	s_cbranch_execz .LBB61_38
; %bb.48:                               ;   in Loop: Header=BB61_39 Depth=2
	v_lshlrev_b32_e32 v10, 3, v9
	s_and_not1_b32 s6, s6, exec_lo
	s_delay_alu instid0(VALU_DEP_1)
	v_add3_u32 v10, 0, v10, 0x10000
	ds_add_f32 v10, v3
	ds_add_f32 v10, v4 offset:4
	s_branch .LBB61_38
.LBB61_49:
	s_or_b32 exec_lo, exec_lo, s1
.LBB61_50:
	v_mbcnt_lo_u32_b32 v1, -1, 0
	s_add_i32 s36, 0, 0x3003c
	s_delay_alu instid0(SALU_CYCLE_1) | instskip(SKIP_1) | instid1(VALU_DEP_3)
	v_dual_mov_b32 v9, s36 :: v_dual_lshlrev_b32 v2, 2, v8
	v_cmp_eq_u32_e32 vcc_lo, 0x3ff, v0
	v_xor_b32_e32 v1, 63, v1
	v_cmp_lt_u32_e64 s0, 63, v0
	s_delay_alu instid0(VALU_DEP_4)
	v_add3_u32 v4, 0, 0x30000, v2
	v_cmp_lt_u32_e64 s1, 0x7f, v0
	v_cmp_lt_u32_e64 s2, 0xbf, v0
	v_lshrrev_b64 v[1:2], v1, -1
	v_cmp_lt_u32_e64 s3, 0xff, v0
	v_cmp_lt_u32_e64 s4, 0x13f, v0
	v_cmp_lt_u32_e64 s5, 0x17f, v0
	v_cmp_lt_u32_e64 s6, 0x1bf, v0
	v_cmp_lt_u32_e64 s7, 0x1ff, v0
	v_cmp_lt_u32_e64 s8, 0x23f, v0
	v_cmp_lt_u32_e64 s9, 0x27f, v0
	v_cmp_lt_u32_e64 s10, 0x2bf, v0
	v_cmp_lt_u32_e64 s11, 0x2ff, v0
	v_cmp_lt_u32_e64 s12, 0x33f, v0
	v_cmp_lt_u32_e64 s13, 0x37f, v0
	v_cmp_lt_u32_e64 s14, 0x3bf, v0
	v_add3_u32 v7, v7, 0, 0x10000
	v_mov_b32_e32 v8, 0
	s_mov_b32 s16, 0
	s_add_i32 s17, 0, 0x30000
	s_add_i32 s18, 0, 0x30004
	s_add_i32 s19, 0, 0x30008
	s_add_i32 s24, 0, 0x3000c
	s_add_i32 s25, 0, 0x30010
	s_add_i32 s26, 0, 0x30014
	s_add_i32 s27, 0, 0x30018
	s_add_i32 s28, 0, 0x3001c
	s_add_i32 s29, 0, 0x30020
	s_add_i32 s30, 0, 0x30024
	s_add_i32 s31, 0, 0x30028
	s_add_i32 s37, 0, 0x3002c
	s_add_i32 s39, 0, 0x30030
	s_add_i32 s41, 0, 0x30034
	s_add_i32 s42, 0, 0x30038
	s_waitcnt lgkmcnt(0)
	s_barrier
	buffer_gl0_inv
	s_branch .LBB61_52
.LBB61_51:                              ;   in Loop: Header=BB61_52 Depth=1
	s_or_b32 exec_lo, exec_lo, s15
	s_waitcnt lgkmcnt(0)
	s_barrier
	buffer_gl0_inv
	ds_load_b32 v2, v9
	v_add_nc_u32_e32 v6, 0x400, v6
	v_add_nc_u32_e32 v7, 0x2000, v7
	;; [unrolled: 1-line block ×3, first 2 shown]
	s_delay_alu instid0(VALU_DEP_3) | instskip(NEXT) | instid1(VALU_DEP_1)
	v_cmp_lt_u32_e64 s15, 0x3bff, v6
	s_or_b32 s16, s15, s16
	s_waitcnt lgkmcnt(0)
	v_add_nc_u32_e32 v8, v2, v8
	s_and_not1_b32 exec_lo, exec_lo, s16
	s_cbranch_execz .LBB61_86
.LBB61_52:                              ; =>This Inner Loop Header: Depth=1
	ds_load_b32 v10, v5
	ds_load_2addr_b32 v[2:3], v7 offset1:1
	s_waitcnt lgkmcnt(0)
	s_barrier
	buffer_gl0_inv
	v_cmp_gt_i32_e64 s15, s33, v10
	s_delay_alu instid0(VALU_DEP_1) | instskip(NEXT) | instid1(SALU_CYCLE_1)
	s_bcnt1_i32_b32 s43, s15
	v_dual_mov_b32 v12, s43 :: v_dual_and_b32 v11, s15, v1
	s_delay_alu instid0(VALU_DEP_1)
	v_bcnt_u32_b32 v11, v11, 0
	ds_store_b32 v4, v12
	s_waitcnt lgkmcnt(0)
	s_barrier
	buffer_gl0_inv
	s_and_saveexec_b32 s43, s0
	s_cbranch_execnz .LBB61_69
; %bb.53:                               ;   in Loop: Header=BB61_52 Depth=1
	s_or_b32 exec_lo, exec_lo, s43
	s_and_saveexec_b32 s43, s1
	s_cbranch_execnz .LBB61_70
.LBB61_54:                              ;   in Loop: Header=BB61_52 Depth=1
	s_or_b32 exec_lo, exec_lo, s43
	s_and_saveexec_b32 s43, s2
	s_cbranch_execnz .LBB61_71
.LBB61_55:                              ;   in Loop: Header=BB61_52 Depth=1
	s_or_b32 exec_lo, exec_lo, s43
	s_and_saveexec_b32 s43, s3
	s_cbranch_execnz .LBB61_72
.LBB61_56:                              ;   in Loop: Header=BB61_52 Depth=1
	s_or_b32 exec_lo, exec_lo, s43
	s_and_saveexec_b32 s43, s4
	s_cbranch_execnz .LBB61_73
.LBB61_57:                              ;   in Loop: Header=BB61_52 Depth=1
	s_or_b32 exec_lo, exec_lo, s43
	s_and_saveexec_b32 s43, s5
	s_cbranch_execnz .LBB61_74
.LBB61_58:                              ;   in Loop: Header=BB61_52 Depth=1
	s_or_b32 exec_lo, exec_lo, s43
	s_and_saveexec_b32 s43, s6
	s_cbranch_execnz .LBB61_75
.LBB61_59:                              ;   in Loop: Header=BB61_52 Depth=1
	s_or_b32 exec_lo, exec_lo, s43
	s_and_saveexec_b32 s43, s7
	s_cbranch_execnz .LBB61_76
.LBB61_60:                              ;   in Loop: Header=BB61_52 Depth=1
	s_or_b32 exec_lo, exec_lo, s43
	s_and_saveexec_b32 s43, s8
	s_cbranch_execnz .LBB61_77
.LBB61_61:                              ;   in Loop: Header=BB61_52 Depth=1
	s_or_b32 exec_lo, exec_lo, s43
	s_and_saveexec_b32 s43, s9
	s_cbranch_execnz .LBB61_78
.LBB61_62:                              ;   in Loop: Header=BB61_52 Depth=1
	s_or_b32 exec_lo, exec_lo, s43
	s_and_saveexec_b32 s43, s10
	s_cbranch_execnz .LBB61_79
.LBB61_63:                              ;   in Loop: Header=BB61_52 Depth=1
	s_or_b32 exec_lo, exec_lo, s43
	s_and_saveexec_b32 s43, s11
	s_cbranch_execnz .LBB61_80
.LBB61_64:                              ;   in Loop: Header=BB61_52 Depth=1
	s_or_b32 exec_lo, exec_lo, s43
	s_and_saveexec_b32 s43, s12
	s_cbranch_execnz .LBB61_81
.LBB61_65:                              ;   in Loop: Header=BB61_52 Depth=1
	s_or_b32 exec_lo, exec_lo, s43
	s_and_saveexec_b32 s43, s13
	s_cbranch_execnz .LBB61_82
.LBB61_66:                              ;   in Loop: Header=BB61_52 Depth=1
	s_or_b32 exec_lo, exec_lo, s43
	s_and_saveexec_b32 s43, s14
	s_cbranch_execnz .LBB61_83
.LBB61_67:                              ;   in Loop: Header=BB61_52 Depth=1
	s_or_b32 exec_lo, exec_lo, s43
	s_and_saveexec_b32 s43, s15
	s_cbranch_execnz .LBB61_84
.LBB61_68:                              ;   in Loop: Header=BB61_52 Depth=1
	s_or_b32 exec_lo, exec_lo, s43
	s_and_saveexec_b32 s15, vcc_lo
	s_cbranch_execz .LBB61_51
	s_branch .LBB61_85
.LBB61_69:                              ;   in Loop: Header=BB61_52 Depth=1
	v_mov_b32_e32 v12, s17
	ds_load_b32 v12, v12
	s_waitcnt lgkmcnt(0)
	v_add_nc_u32_e32 v11, v12, v11
	s_or_b32 exec_lo, exec_lo, s43
	s_and_saveexec_b32 s43, s1
	s_cbranch_execz .LBB61_54
.LBB61_70:                              ;   in Loop: Header=BB61_52 Depth=1
	v_mov_b32_e32 v12, s18
	ds_load_b32 v12, v12
	s_waitcnt lgkmcnt(0)
	v_add_nc_u32_e32 v11, v12, v11
	s_or_b32 exec_lo, exec_lo, s43
	s_and_saveexec_b32 s43, s2
	s_cbranch_execz .LBB61_55
.LBB61_71:                              ;   in Loop: Header=BB61_52 Depth=1
	v_mov_b32_e32 v12, s19
	ds_load_b32 v12, v12
	s_waitcnt lgkmcnt(0)
	v_add_nc_u32_e32 v11, v12, v11
	s_or_b32 exec_lo, exec_lo, s43
	s_and_saveexec_b32 s43, s3
	s_cbranch_execz .LBB61_56
.LBB61_72:                              ;   in Loop: Header=BB61_52 Depth=1
	v_mov_b32_e32 v12, s24
	ds_load_b32 v12, v12
	s_waitcnt lgkmcnt(0)
	v_add_nc_u32_e32 v11, v12, v11
	s_or_b32 exec_lo, exec_lo, s43
	s_and_saveexec_b32 s43, s4
	s_cbranch_execz .LBB61_57
.LBB61_73:                              ;   in Loop: Header=BB61_52 Depth=1
	v_mov_b32_e32 v12, s25
	ds_load_b32 v12, v12
	s_waitcnt lgkmcnt(0)
	v_add_nc_u32_e32 v11, v12, v11
	s_or_b32 exec_lo, exec_lo, s43
	s_and_saveexec_b32 s43, s5
	s_cbranch_execz .LBB61_58
.LBB61_74:                              ;   in Loop: Header=BB61_52 Depth=1
	v_mov_b32_e32 v12, s26
	ds_load_b32 v12, v12
	s_waitcnt lgkmcnt(0)
	v_add_nc_u32_e32 v11, v12, v11
	s_or_b32 exec_lo, exec_lo, s43
	s_and_saveexec_b32 s43, s6
	s_cbranch_execz .LBB61_59
.LBB61_75:                              ;   in Loop: Header=BB61_52 Depth=1
	v_mov_b32_e32 v12, s27
	ds_load_b32 v12, v12
	s_waitcnt lgkmcnt(0)
	v_add_nc_u32_e32 v11, v12, v11
	s_or_b32 exec_lo, exec_lo, s43
	s_and_saveexec_b32 s43, s7
	s_cbranch_execz .LBB61_60
.LBB61_76:                              ;   in Loop: Header=BB61_52 Depth=1
	v_mov_b32_e32 v12, s28
	ds_load_b32 v12, v12
	s_waitcnt lgkmcnt(0)
	v_add_nc_u32_e32 v11, v12, v11
	s_or_b32 exec_lo, exec_lo, s43
	s_and_saveexec_b32 s43, s8
	s_cbranch_execz .LBB61_61
.LBB61_77:                              ;   in Loop: Header=BB61_52 Depth=1
	v_mov_b32_e32 v12, s29
	ds_load_b32 v12, v12
	s_waitcnt lgkmcnt(0)
	v_add_nc_u32_e32 v11, v12, v11
	s_or_b32 exec_lo, exec_lo, s43
	s_and_saveexec_b32 s43, s9
	s_cbranch_execz .LBB61_62
.LBB61_78:                              ;   in Loop: Header=BB61_52 Depth=1
	v_mov_b32_e32 v12, s30
	ds_load_b32 v12, v12
	s_waitcnt lgkmcnt(0)
	v_add_nc_u32_e32 v11, v12, v11
	s_or_b32 exec_lo, exec_lo, s43
	s_and_saveexec_b32 s43, s10
	s_cbranch_execz .LBB61_63
.LBB61_79:                              ;   in Loop: Header=BB61_52 Depth=1
	v_mov_b32_e32 v12, s31
	ds_load_b32 v12, v12
	s_waitcnt lgkmcnt(0)
	v_add_nc_u32_e32 v11, v12, v11
	s_or_b32 exec_lo, exec_lo, s43
	s_and_saveexec_b32 s43, s11
	s_cbranch_execz .LBB61_64
.LBB61_80:                              ;   in Loop: Header=BB61_52 Depth=1
	v_mov_b32_e32 v12, s37
	ds_load_b32 v12, v12
	s_waitcnt lgkmcnt(0)
	v_add_nc_u32_e32 v11, v12, v11
	s_or_b32 exec_lo, exec_lo, s43
	s_and_saveexec_b32 s43, s12
	s_cbranch_execz .LBB61_65
.LBB61_81:                              ;   in Loop: Header=BB61_52 Depth=1
	v_mov_b32_e32 v12, s39
	ds_load_b32 v12, v12
	s_waitcnt lgkmcnt(0)
	v_add_nc_u32_e32 v11, v12, v11
	s_or_b32 exec_lo, exec_lo, s43
	s_and_saveexec_b32 s43, s13
	s_cbranch_execz .LBB61_66
.LBB61_82:                              ;   in Loop: Header=BB61_52 Depth=1
	v_mov_b32_e32 v12, s41
	ds_load_b32 v12, v12
	s_waitcnt lgkmcnt(0)
	v_add_nc_u32_e32 v11, v12, v11
	s_or_b32 exec_lo, exec_lo, s43
	s_and_saveexec_b32 s43, s14
	s_cbranch_execz .LBB61_67
.LBB61_83:                              ;   in Loop: Header=BB61_52 Depth=1
	v_mov_b32_e32 v12, s42
	ds_load_b32 v12, v12
	s_waitcnt lgkmcnt(0)
	v_add_nc_u32_e32 v11, v12, v11
	s_or_b32 exec_lo, exec_lo, s43
	s_and_saveexec_b32 s43, s15
	s_cbranch_execz .LBB61_68
.LBB61_84:                              ;   in Loop: Header=BB61_52 Depth=1
	s_delay_alu instid0(VALU_DEP_1) | instskip(NEXT) | instid1(VALU_DEP_1)
	v_add3_u32 v12, v8, -1, v11
	v_lshlrev_b32_e32 v13, 3, v12
	v_lshl_add_u32 v12, v12, 2, 0
	s_delay_alu instid0(VALU_DEP_2)
	v_add3_u32 v13, 0, v13, 0x10000
	ds_store_b32 v12, v10
	ds_store_2addr_b32 v13, v2, v3 offset1:1
	s_or_b32 exec_lo, exec_lo, s43
	s_and_saveexec_b32 s15, vcc_lo
	s_cbranch_execz .LBB61_51
.LBB61_85:                              ;   in Loop: Header=BB61_52 Depth=1
	v_mov_b32_e32 v2, s36
	ds_store_b32 v2, v11
	s_branch .LBB61_51
.LBB61_86:
	s_or_b32 exec_lo, exec_lo, s16
	s_ashr_i32 s41, s40, 31
	s_mov_b32 s3, exec_lo
	s_lshl_b64 s[0:1], s[40:41], 2
	s_delay_alu instid0(SALU_CYCLE_1) | instskip(SKIP_4) | instid1(SALU_CYCLE_1)
	s_add_u32 s0, s20, s0
	s_addc_u32 s1, s21, s1
	s_load_b64 s[0:1], s[0:1], 0x0
	s_waitcnt lgkmcnt(0)
	s_sub_i32 s2, s1, s0
	v_cmpx_gt_i32_e64 s2, v0
	s_cbranch_execz .LBB61_96
; %bb.87:
	s_sub_i32 s3, s0, s38
	s_sub_i32 s0, s0, s1
	s_and_b32 s1, s2, 7
	s_cmp_lt_u32 s0, -7
	s_mov_b32 s7, 0
	s_cselect_b32 s4, -1, 0
	s_and_b32 s5, s2, -8
	s_cmp_lg_u32 s1, 0
	s_cselect_b32 s6, -1, 0
	s_branch .LBB61_89
.LBB61_88:                              ;   in Loop: Header=BB61_89 Depth=1
	s_delay_alu instid0(VALU_DEP_1) | instskip(SKIP_3) | instid1(VALU_DEP_3)
	v_ashrrev_i32_e32 v4, 31, v3
	v_add_nc_u32_e32 v0, 0x400, v0
	s_waitcnt lgkmcnt(1)
	v_add_nc_u32_e32 v8, s38, v5
	v_lshlrev_b64 v[6:7], 2, v[3:4]
	v_lshlrev_b64 v[3:4], 3, v[3:4]
	v_cmp_le_i32_e32 vcc_lo, s2, v0
	s_delay_alu instid0(VALU_DEP_3) | instskip(NEXT) | instid1(VALU_DEP_1)
	v_add_co_u32 v5, s0, s22, v6
	v_add_co_ci_u32_e64 v6, s0, s23, v7, s0
	s_delay_alu instid0(VALU_DEP_4) | instskip(NEXT) | instid1(VALU_DEP_1)
	v_add_co_u32 v3, s0, s34, v3
	v_add_co_ci_u32_e64 v4, s0, s35, v4, s0
	s_or_b32 s7, vcc_lo, s7
	global_store_b32 v[5:6], v8, off
	s_waitcnt lgkmcnt(0)
	global_store_b64 v[3:4], v[1:2], off
	s_and_not1_b32 exec_lo, exec_lo, s7
	s_cbranch_execz .LBB61_96
.LBB61_89:                              ; =>This Loop Header: Depth=1
                                        ;     Child Loop BB61_91 Depth 2
                                        ;     Child Loop BB61_95 Depth 2
	v_lshlrev_b32_e32 v1, 3, v0
	v_lshl_add_u32 v2, v0, 2, 0
	v_mov_b32_e32 v3, s3
	s_and_not1_b32 vcc_lo, exec_lo, s4
	s_mov_b32 s0, 0
	v_add3_u32 v1, 0, v1, 0x10000
	ds_load_b32 v5, v2
	ds_load_2addr_b32 v[1:2], v1 offset1:1
	s_cbranch_vccnz .LBB61_93
; %bb.90:                               ;   in Loop: Header=BB61_89 Depth=1
	v_mov_b32_e32 v3, s3
	s_mov_b32 s8, 0
	s_set_inst_prefetch_distance 0x1
	.p2align	6
.LBB61_91:                              ;   Parent Loop BB61_89 Depth=1
                                        ; =>  This Inner Loop Header: Depth=2
	v_mov_b32_e32 v4, s8
	s_add_i32 s0, s0, 8
	s_add_i32 s8, s8, 32
	s_cmp_eq_u32 s5, s0
	ds_load_2addr_b32 v[6:7], v4 offset1:1
	ds_load_2addr_b32 v[8:9], v4 offset0:2 offset1:3
	ds_load_2addr_b32 v[10:11], v4 offset0:4 offset1:5
	;; [unrolled: 1-line block ×3, first 2 shown]
	s_waitcnt lgkmcnt(3)
	v_cmp_gt_i32_e32 vcc_lo, v5, v6
	v_cndmask_b32_e64 v4, 0, 1, vcc_lo
	s_waitcnt lgkmcnt(2)
	v_cmp_gt_i32_e32 vcc_lo, v5, v8
	v_cndmask_b32_e64 v6, 0, 1, vcc_lo
	v_cmp_gt_i32_e32 vcc_lo, v5, v7
	v_add_co_ci_u32_e32 v3, vcc_lo, v3, v4, vcc_lo
	s_waitcnt lgkmcnt(1)
	v_cmp_gt_i32_e32 vcc_lo, v5, v10
	v_cndmask_b32_e64 v4, 0, 1, vcc_lo
	v_cmp_gt_i32_e32 vcc_lo, v5, v9
	v_add_co_ci_u32_e32 v3, vcc_lo, v3, v6, vcc_lo
	;; [unrolled: 5-line block ×3, first 2 shown]
	v_cmp_gt_i32_e32 vcc_lo, v5, v13
	s_delay_alu instid0(VALU_DEP_2)
	v_add_co_ci_u32_e32 v3, vcc_lo, v3, v6, vcc_lo
	s_cbranch_scc0 .LBB61_91
; %bb.92:                               ;   in Loop: Header=BB61_89 Depth=1
	s_set_inst_prefetch_distance 0x2
	s_mov_b32 s0, s5
.LBB61_93:                              ;   in Loop: Header=BB61_89 Depth=1
	s_and_not1_b32 vcc_lo, exec_lo, s6
	s_cbranch_vccnz .LBB61_88
; %bb.94:                               ;   in Loop: Header=BB61_89 Depth=1
	s_lshl_b32 s0, s0, 2
	s_mov_b32 s8, s1
	s_add_i32 s0, s0, 0
.LBB61_95:                              ;   Parent Loop BB61_89 Depth=1
                                        ; =>  This Inner Loop Header: Depth=2
	s_delay_alu instid0(SALU_CYCLE_1)
	v_mov_b32_e32 v4, s0
	s_add_i32 s8, s8, -1
	s_add_i32 s0, s0, 4
	s_cmp_lg_u32 s8, 0
	ds_load_b32 v4, v4
	s_waitcnt lgkmcnt(0)
	v_cmp_gt_i32_e32 vcc_lo, v5, v4
	v_add_co_ci_u32_e32 v3, vcc_lo, 0, v3, vcc_lo
	s_cbranch_scc1 .LBB61_95
	s_branch .LBB61_88
.LBB61_96:
	s_nop 0
	s_sendmsg sendmsg(MSG_DEALLOC_VGPRS)
	s_endpgm
	.section	.rodata,"a",@progbits
	.p2align	6, 0x0
	.amdhsa_kernel _ZN9rocsparseL26csrgemm_fill_block_per_rowILj1024ELj64ELj16384ELj137ELj64Eii21rocsparse_complex_numIfEEEvT5_PKS3_S5_NS_24const_host_device_scalarIT6_EEPKT4_S5_PKS7_SB_S5_SD_S8_SB_S5_SD_SB_PS3_PS7_21rocsparse_index_base_SG_SG_SG_bbb
		.amdhsa_group_segment_fixed_size 0
		.amdhsa_private_segment_fixed_size 0
		.amdhsa_kernarg_size 156
		.amdhsa_user_sgpr_count 15
		.amdhsa_user_sgpr_dispatch_ptr 0
		.amdhsa_user_sgpr_queue_ptr 0
		.amdhsa_user_sgpr_kernarg_segment_ptr 1
		.amdhsa_user_sgpr_dispatch_id 0
		.amdhsa_user_sgpr_private_segment_size 0
		.amdhsa_wavefront_size32 1
		.amdhsa_uses_dynamic_stack 0
		.amdhsa_enable_private_segment 0
		.amdhsa_system_sgpr_workgroup_id_x 1
		.amdhsa_system_sgpr_workgroup_id_y 0
		.amdhsa_system_sgpr_workgroup_id_z 0
		.amdhsa_system_sgpr_workgroup_info 0
		.amdhsa_system_vgpr_workitem_id 0
		.amdhsa_next_free_vgpr 17
		.amdhsa_next_free_sgpr 45
		.amdhsa_reserve_vcc 1
		.amdhsa_float_round_mode_32 0
		.amdhsa_float_round_mode_16_64 0
		.amdhsa_float_denorm_mode_32 3
		.amdhsa_float_denorm_mode_16_64 3
		.amdhsa_dx10_clamp 1
		.amdhsa_ieee_mode 1
		.amdhsa_fp16_overflow 0
		.amdhsa_workgroup_processor_mode 1
		.amdhsa_memory_ordered 1
		.amdhsa_forward_progress 0
		.amdhsa_shared_vgpr_count 0
		.amdhsa_exception_fp_ieee_invalid_op 0
		.amdhsa_exception_fp_denorm_src 0
		.amdhsa_exception_fp_ieee_div_zero 0
		.amdhsa_exception_fp_ieee_overflow 0
		.amdhsa_exception_fp_ieee_underflow 0
		.amdhsa_exception_fp_ieee_inexact 0
		.amdhsa_exception_int_div_zero 0
	.end_amdhsa_kernel
	.section	.text._ZN9rocsparseL26csrgemm_fill_block_per_rowILj1024ELj64ELj16384ELj137ELj64Eii21rocsparse_complex_numIfEEEvT5_PKS3_S5_NS_24const_host_device_scalarIT6_EEPKT4_S5_PKS7_SB_S5_SD_S8_SB_S5_SD_SB_PS3_PS7_21rocsparse_index_base_SG_SG_SG_bbb,"axG",@progbits,_ZN9rocsparseL26csrgemm_fill_block_per_rowILj1024ELj64ELj16384ELj137ELj64Eii21rocsparse_complex_numIfEEEvT5_PKS3_S5_NS_24const_host_device_scalarIT6_EEPKT4_S5_PKS7_SB_S5_SD_S8_SB_S5_SD_SB_PS3_PS7_21rocsparse_index_base_SG_SG_SG_bbb,comdat
.Lfunc_end61:
	.size	_ZN9rocsparseL26csrgemm_fill_block_per_rowILj1024ELj64ELj16384ELj137ELj64Eii21rocsparse_complex_numIfEEEvT5_PKS3_S5_NS_24const_host_device_scalarIT6_EEPKT4_S5_PKS7_SB_S5_SD_S8_SB_S5_SD_SB_PS3_PS7_21rocsparse_index_base_SG_SG_SG_bbb, .Lfunc_end61-_ZN9rocsparseL26csrgemm_fill_block_per_rowILj1024ELj64ELj16384ELj137ELj64Eii21rocsparse_complex_numIfEEEvT5_PKS3_S5_NS_24const_host_device_scalarIT6_EEPKT4_S5_PKS7_SB_S5_SD_S8_SB_S5_SD_SB_PS3_PS7_21rocsparse_index_base_SG_SG_SG_bbb
                                        ; -- End function
	.section	.AMDGPU.csdata,"",@progbits
; Kernel info:
; codeLenInByte = 3612
; NumSgprs: 47
; NumVgprs: 17
; ScratchSize: 0
; MemoryBound: 0
; FloatMode: 240
; IeeeMode: 1
; LDSByteSize: 0 bytes/workgroup (compile time only)
; SGPRBlocks: 5
; VGPRBlocks: 2
; NumSGPRsForWavesPerEU: 47
; NumVGPRsForWavesPerEU: 17
; Occupancy: 16
; WaveLimiterHint : 1
; COMPUTE_PGM_RSRC2:SCRATCH_EN: 0
; COMPUTE_PGM_RSRC2:USER_SGPR: 15
; COMPUTE_PGM_RSRC2:TRAP_HANDLER: 0
; COMPUTE_PGM_RSRC2:TGID_X_EN: 1
; COMPUTE_PGM_RSRC2:TGID_Y_EN: 0
; COMPUTE_PGM_RSRC2:TGID_Z_EN: 0
; COMPUTE_PGM_RSRC2:TIDIG_COMP_CNT: 0
	.section	.text._ZN9rocsparseL26csrgemm_fill_block_per_rowILj1024ELj64ELj32768ELj137ELj32Eii21rocsparse_complex_numIfEEEvT5_PKS3_S5_NS_24const_host_device_scalarIT6_EEPKT4_S5_PKS7_SB_S5_SD_S8_SB_S5_SD_SB_PS3_PS7_21rocsparse_index_base_SG_SG_SG_bbb,"axG",@progbits,_ZN9rocsparseL26csrgemm_fill_block_per_rowILj1024ELj64ELj32768ELj137ELj32Eii21rocsparse_complex_numIfEEEvT5_PKS3_S5_NS_24const_host_device_scalarIT6_EEPKT4_S5_PKS7_SB_S5_SD_S8_SB_S5_SD_SB_PS3_PS7_21rocsparse_index_base_SG_SG_SG_bbb,comdat
	.globl	_ZN9rocsparseL26csrgemm_fill_block_per_rowILj1024ELj64ELj32768ELj137ELj32Eii21rocsparse_complex_numIfEEEvT5_PKS3_S5_NS_24const_host_device_scalarIT6_EEPKT4_S5_PKS7_SB_S5_SD_S8_SB_S5_SD_SB_PS3_PS7_21rocsparse_index_base_SG_SG_SG_bbb ; -- Begin function _ZN9rocsparseL26csrgemm_fill_block_per_rowILj1024ELj64ELj32768ELj137ELj32Eii21rocsparse_complex_numIfEEEvT5_PKS3_S5_NS_24const_host_device_scalarIT6_EEPKT4_S5_PKS7_SB_S5_SD_S8_SB_S5_SD_SB_PS3_PS7_21rocsparse_index_base_SG_SG_SG_bbb
	.p2align	8
	.type	_ZN9rocsparseL26csrgemm_fill_block_per_rowILj1024ELj64ELj32768ELj137ELj32Eii21rocsparse_complex_numIfEEEvT5_PKS3_S5_NS_24const_host_device_scalarIT6_EEPKT4_S5_PKS7_SB_S5_SD_S8_SB_S5_SD_SB_PS3_PS7_21rocsparse_index_base_SG_SG_SG_bbb,@function
_ZN9rocsparseL26csrgemm_fill_block_per_rowILj1024ELj64ELj32768ELj137ELj32Eii21rocsparse_complex_numIfEEEvT5_PKS3_S5_NS_24const_host_device_scalarIT6_EEPKT4_S5_PKS7_SB_S5_SD_S8_SB_S5_SD_SB_PS3_PS7_21rocsparse_index_base_SG_SG_SG_bbb: ; @_ZN9rocsparseL26csrgemm_fill_block_per_rowILj1024ELj64ELj32768ELj137ELj32Eii21rocsparse_complex_numIfEEEvT5_PKS3_S5_NS_24const_host_device_scalarIT6_EEPKT4_S5_PKS7_SB_S5_SD_S8_SB_S5_SD_SB_PS3_PS7_21rocsparse_index_base_SG_SG_SG_bbb
; %bb.0:
	s_clause 0x6
	s_load_b32 s12, s[0:1], 0x98
	s_load_b256 s[36:43], s[0:1], 0x60
	s_load_b256 s[4:11], s[0:1], 0x40
	s_load_b128 s[24:27], s[0:1], 0x8
	s_load_b256 s[16:23], s[0:1], 0x20
	s_load_b64 s[34:35], s[0:1], 0x80
	s_load_b128 s[44:47], s[0:1], 0x88
	s_mov_b32 s3, 0
	s_mov_b32 s13, 0
	s_waitcnt lgkmcnt(0)
	s_bitcmp1_b32 s12, 0
	s_cselect_b32 s28, -1, 0
	s_bitcmp1_b32 s12, 16
	s_cselect_b32 s2, -1, 0
	s_delay_alu instid0(SALU_CYCLE_1) | instskip(SKIP_2) | instid1(VALU_DEP_1)
	s_xor_b32 s14, s2, -1
	s_bitcmp0_b32 s12, 0
	v_cndmask_b32_e64 v1, 0, 1, s14
	v_cmp_ne_u32_e32 vcc_lo, 1, v1
	s_cbranch_scc1 .LBB62_5
; %bb.1:
	s_load_b64 s[2:3], s[0:1], 0x18
	s_and_b32 vcc_lo, exec_lo, vcc_lo
	s_waitcnt lgkmcnt(0)
	s_mov_b32 s13, s2
	s_cbranch_vccnz .LBB62_3
; %bb.2:
	s_load_b32 s13, s[2:3], 0x0
.LBB62_3:
	s_and_not1_b32 vcc_lo, exec_lo, s14
	s_cbranch_vccnz .LBB62_5
; %bb.4:
	s_load_b32 s3, s[2:3], 0x4
.LBB62_5:
	s_bitcmp1_b32 s12, 8
	s_cselect_b32 s14, -1, 0
	s_bfe_u32 s2, s12, 0x10008
	s_mov_b32 s12, 0
	s_cmp_eq_u32 s2, 0
	s_mov_b32 s2, 0
	s_cbranch_scc1 .LBB62_11
; %bb.6:
	v_cmp_ne_u32_e32 vcc_lo, 1, v1
	s_mov_b32 s2, s8
	s_cbranch_vccnz .LBB62_8
; %bb.7:
	s_load_b32 s2, s[8:9], 0x0
.LBB62_8:
	v_cmp_ne_u32_e32 vcc_lo, 1, v1
	s_cbranch_vccnz .LBB62_10
; %bb.9:
	s_load_b32 s9, s[8:9], 0x4
.LBB62_10:
	s_waitcnt lgkmcnt(0)
	s_mov_b32 s12, s9
.LBB62_11:
	s_load_b32 s33, s[0:1], 0x0
	v_lshlrev_b32_e32 v7, 3, v0
	v_lshl_add_u32 v5, v0, 2, 0
	v_or_b32_e32 v6, 0xfffffc00, v0
	v_mov_b32_e32 v1, 0
	s_mov_b32 s0, 0
	s_delay_alu instid0(VALU_DEP_2)
	v_dual_mov_b32 v3, v5 :: v_dual_mov_b32 v8, v6
	s_waitcnt lgkmcnt(0)
	v_mov_b32_e32 v4, s33
	v_add3_u32 v2, v7, 0, 0x20004
.LBB62_12:                              ; =>This Inner Loop Header: Depth=1
	s_delay_alu instid0(VALU_DEP_3)
	v_add_nc_u32_e32 v8, 0x400, v8
	ds_store_b32 v3, v4
	v_add_nc_u32_e32 v9, -4, v2
	v_add_nc_u32_e32 v2, 0x2000, v2
	v_add_nc_u32_e32 v3, 0x1000, v3
	v_cmp_lt_u32_e32 vcc_lo, 0x7bff, v8
	ds_store_2addr_b32 v9, v1, v1 offset1:1
	s_or_b32 s0, vcc_lo, s0
	s_delay_alu instid0(SALU_CYCLE_1)
	s_and_not1_b32 exec_lo, exec_lo, s0
	s_cbranch_execnz .LBB62_12
; %bb.13:
	s_or_b32 exec_lo, exec_lo, s0
	s_waitcnt lgkmcnt(0)
	s_barrier
	buffer_gl0_inv
	s_load_b32 s0, s[24:25], 0x0
	s_mov_b32 s1, 0
	s_waitcnt lgkmcnt(0)
	s_add_i32 s0, s0, s15
	s_delay_alu instid0(SALU_CYCLE_1) | instskip(NEXT) | instid1(SALU_CYCLE_1)
	s_lshl_b64 s[0:1], s[0:1], 2
	s_add_u32 s0, s26, s0
	s_addc_u32 s1, s27, s1
	s_and_b32 vcc_lo, exec_lo, s28
	s_load_b32 s48, s[0:1], 0x0
	s_cbranch_vccz .LBB62_33
; %bb.14:
	s_waitcnt lgkmcnt(0)
	s_ashr_i32 s49, s48, 31
	v_lshrrev_b32_e32 v1, 6, v0
	s_lshl_b64 s[0:1], s[48:49], 2
	s_delay_alu instid0(SALU_CYCLE_1) | instskip(SKIP_1) | instid1(VALU_DEP_1)
	s_add_u32 s0, s16, s0
	s_addc_u32 s1, s17, s1
	v_subrev_nc_u32_e32 v1, s44, v1
	s_load_b64 s[0:1], s[0:1], 0x0
	s_waitcnt lgkmcnt(0)
	s_delay_alu instid0(VALU_DEP_1) | instskip(SKIP_2) | instid1(VALU_DEP_1)
	v_add_nc_u32_e32 v1, s0, v1
	s_sub_i32 s0, s1, s44
	s_mov_b32 s1, exec_lo
	v_cmpx_gt_i32_e64 s0, v1
	s_cbranch_execz .LBB62_32
; %bb.15:
	v_and_b32_e32 v2, 63, v0
	s_mov_b32 s8, 0
	s_delay_alu instid0(VALU_DEP_1)
	v_subrev_nc_u32_e32 v8, s45, v2
	s_branch .LBB62_17
.LBB62_16:                              ;   in Loop: Header=BB62_17 Depth=1
	s_or_b32 exec_lo, exec_lo, s9
	v_add_nc_u32_e32 v1, 16, v1
	s_delay_alu instid0(VALU_DEP_1) | instskip(SKIP_1) | instid1(SALU_CYCLE_1)
	v_cmp_le_i32_e32 vcc_lo, s0, v1
	s_or_b32 s8, vcc_lo, s8
	s_and_not1_b32 exec_lo, exec_lo, s8
	s_cbranch_execz .LBB62_32
.LBB62_17:                              ; =>This Loop Header: Depth=1
                                        ;     Child Loop BB62_20 Depth 2
                                        ;       Child Loop BB62_22 Depth 3
	v_ashrrev_i32_e32 v2, 31, v1
	s_mov_b32 s9, exec_lo
	s_delay_alu instid0(VALU_DEP_1) | instskip(NEXT) | instid1(VALU_DEP_1)
	v_lshlrev_b64 v[3:4], 2, v[1:2]
	v_add_co_u32 v3, vcc_lo, s18, v3
	s_delay_alu instid0(VALU_DEP_2) | instskip(SKIP_3) | instid1(VALU_DEP_1)
	v_add_co_ci_u32_e32 v4, vcc_lo, s19, v4, vcc_lo
	global_load_b32 v3, v[3:4], off
	s_waitcnt vmcnt(0)
	v_subrev_nc_u32_e32 v3, s44, v3
	v_ashrrev_i32_e32 v4, 31, v3
	s_delay_alu instid0(VALU_DEP_1) | instskip(NEXT) | instid1(VALU_DEP_1)
	v_lshlrev_b64 v[3:4], 2, v[3:4]
	v_add_co_u32 v3, vcc_lo, s22, v3
	s_delay_alu instid0(VALU_DEP_2) | instskip(SKIP_4) | instid1(VALU_DEP_1)
	v_add_co_ci_u32_e32 v4, vcc_lo, s23, v4, vcc_lo
	global_load_b64 v[3:4], v[3:4], off
	s_waitcnt vmcnt(0)
	v_subrev_nc_u32_e32 v9, s45, v4
	v_add_nc_u32_e32 v3, v3, v8
	v_cmpx_lt_i32_e64 v3, v9
	s_cbranch_execz .LBB62_16
; %bb.18:                               ;   in Loop: Header=BB62_17 Depth=1
	v_lshlrev_b64 v[10:11], 3, v[1:2]
	s_mov_b32 s15, 0
	s_delay_alu instid0(VALU_DEP_1) | instskip(NEXT) | instid1(VALU_DEP_2)
	v_add_co_u32 v10, vcc_lo, s20, v10
	v_add_co_ci_u32_e32 v11, vcc_lo, s21, v11, vcc_lo
	global_load_b64 v[11:12], v[10:11], off
	s_waitcnt vmcnt(0)
	v_mul_f32_e64 v2, v12, -s3
	v_mul_f32_e32 v10, s13, v12
	s_delay_alu instid0(VALU_DEP_2) | instskip(NEXT) | instid1(VALU_DEP_2)
	v_fmac_f32_e32 v2, s13, v11
	v_fmac_f32_e32 v10, s3, v11
	s_branch .LBB62_20
.LBB62_19:                              ;   in Loop: Header=BB62_20 Depth=2
	s_or_b32 exec_lo, exec_lo, s16
	v_add_nc_u32_e32 v3, 64, v3
	s_delay_alu instid0(VALU_DEP_1) | instskip(SKIP_1) | instid1(SALU_CYCLE_1)
	v_cmp_ge_i32_e32 vcc_lo, v3, v9
	s_or_b32 s15, vcc_lo, s15
	s_and_not1_b32 exec_lo, exec_lo, s15
	s_cbranch_execz .LBB62_16
.LBB62_20:                              ;   Parent Loop BB62_17 Depth=1
                                        ; =>  This Loop Header: Depth=2
                                        ;       Child Loop BB62_22 Depth 3
	v_ashrrev_i32_e32 v4, 31, v3
	s_mov_b32 s16, 0
	s_delay_alu instid0(VALU_DEP_1) | instskip(SKIP_1) | instid1(VALU_DEP_2)
	v_lshlrev_b64 v[11:12], 2, v[3:4]
	v_lshlrev_b64 v[13:14], 3, v[3:4]
	v_add_co_u32 v11, vcc_lo, s4, v11
	s_delay_alu instid0(VALU_DEP_3)
	v_add_co_ci_u32_e32 v12, vcc_lo, s5, v12, vcc_lo
	global_load_b32 v4, v[11:12], off
	v_add_co_u32 v11, vcc_lo, s6, v13
	v_add_co_ci_u32_e32 v12, vcc_lo, s7, v14, vcc_lo
	global_load_b64 v[13:14], v[11:12], off
	s_waitcnt vmcnt(1)
	v_subrev_nc_u32_e32 v4, s45, v4
	s_delay_alu instid0(VALU_DEP_1) | instskip(SKIP_3) | instid1(VALU_DEP_2)
	v_mul_lo_u32 v15, 0x89, v4
	s_waitcnt vmcnt(0)
	v_mul_f32_e64 v11, v14, -v10
	v_mul_f32_e32 v12, v2, v14
	v_fmac_f32_e32 v11, v2, v13
	s_delay_alu instid0(VALU_DEP_2)
	v_dual_fmac_f32 v12, v10, v13 :: v_dual_and_b32 v13, 0x7fff, v15
	s_branch .LBB62_22
.LBB62_21:                              ;   in Loop: Header=BB62_22 Depth=3
	s_or_b32 exec_lo, exec_lo, s17
	s_xor_b32 s17, s24, -1
	s_delay_alu instid0(SALU_CYCLE_1) | instskip(NEXT) | instid1(SALU_CYCLE_1)
	s_and_b32 s17, exec_lo, s17
	s_or_b32 s16, s17, s16
	s_delay_alu instid0(SALU_CYCLE_1)
	s_and_not1_b32 exec_lo, exec_lo, s16
	s_cbranch_execz .LBB62_19
.LBB62_22:                              ;   Parent Loop BB62_17 Depth=1
                                        ;     Parent Loop BB62_20 Depth=2
                                        ; =>    This Inner Loop Header: Depth=3
	s_delay_alu instid0(VALU_DEP_1)
	v_lshl_add_u32 v14, v13, 2, 0
	s_mov_b32 s17, exec_lo
                                        ; implicit-def: $sgpr24
	ds_load_b32 v15, v14
	s_waitcnt lgkmcnt(0)
	v_cmpx_ne_u32_e64 v15, v4
	s_xor_b32 s17, exec_lo, s17
	s_cbranch_execz .LBB62_30
; %bb.23:                               ;   in Loop: Header=BB62_22 Depth=3
	s_mov_b32 s25, exec_lo
                                        ; implicit-def: $sgpr24
	v_cmpx_ne_u32_e64 s33, v15
	s_xor_b32 s25, exec_lo, s25
; %bb.24:                               ;   in Loop: Header=BB62_22 Depth=3
	v_add_nc_u32_e32 v13, 1, v13
	s_mov_b32 s24, -1
                                        ; implicit-def: $vgpr14
	s_delay_alu instid0(VALU_DEP_1)
	v_and_b32_e32 v13, 0x7fff, v13
; %bb.25:                               ;   in Loop: Header=BB62_22 Depth=3
	s_and_not1_saveexec_b32 s25, s25
	s_cbranch_execz .LBB62_29
; %bb.26:                               ;   in Loop: Header=BB62_22 Depth=3
	v_mov_b32_e32 v15, s33
	s_mov_b32 s27, -1
	s_mov_b32 s26, exec_lo
	ds_cmpstore_rtn_b32 v14, v14, v4, v15
	s_waitcnt lgkmcnt(0)
	v_cmpx_eq_u32_e64 s33, v14
	s_cbranch_execz .LBB62_28
; %bb.27:                               ;   in Loop: Header=BB62_22 Depth=3
	v_lshlrev_b32_e32 v14, 3, v13
	s_xor_b32 s27, exec_lo, -1
	s_delay_alu instid0(VALU_DEP_1)
	v_add3_u32 v14, 0, v14, 0x20000
	ds_add_f32 v14, v11
	ds_add_f32 v14, v12 offset:4
.LBB62_28:                              ;   in Loop: Header=BB62_22 Depth=3
	s_or_b32 exec_lo, exec_lo, s26
	s_delay_alu instid0(SALU_CYCLE_1) | instskip(SKIP_1) | instid1(SALU_CYCLE_1)
	s_and_not1_b32 s24, s24, exec_lo
	s_and_b32 s26, s27, exec_lo
	s_or_b32 s24, s24, s26
.LBB62_29:                              ;   in Loop: Header=BB62_22 Depth=3
	s_or_b32 exec_lo, exec_lo, s25
	s_delay_alu instid0(SALU_CYCLE_1)
	s_and_b32 s24, s24, exec_lo
.LBB62_30:                              ;   in Loop: Header=BB62_22 Depth=3
	s_and_not1_saveexec_b32 s17, s17
	s_cbranch_execz .LBB62_21
; %bb.31:                               ;   in Loop: Header=BB62_22 Depth=3
	v_lshlrev_b32_e32 v14, 3, v13
	s_and_not1_b32 s24, s24, exec_lo
	s_delay_alu instid0(VALU_DEP_1)
	v_add3_u32 v14, 0, v14, 0x20000
	ds_add_f32 v14, v11
	ds_add_f32 v14, v12 offset:4
	s_branch .LBB62_21
.LBB62_32:
	s_or_b32 exec_lo, exec_lo, s1
.LBB62_33:
	s_delay_alu instid0(SALU_CYCLE_1)
	s_and_not1_b32 vcc_lo, exec_lo, s14
	s_cbranch_vccnz .LBB62_50
; %bb.34:
	s_waitcnt lgkmcnt(0)
	s_ashr_i32 s49, s48, 31
	v_subrev_nc_u32_e32 v1, s47, v0
	s_lshl_b64 s[0:1], s[48:49], 2
	s_delay_alu instid0(SALU_CYCLE_1)
	s_add_u32 s0, s10, s0
	s_addc_u32 s1, s11, s1
	s_load_b64 s[0:1], s[0:1], 0x0
	s_waitcnt lgkmcnt(0)
	v_add_nc_u32_e32 v1, s0, v1
	s_sub_i32 s0, s1, s47
	s_mov_b32 s1, exec_lo
	s_delay_alu instid0(VALU_DEP_1)
	v_cmpx_gt_i32_e64 s0, v1
	s_cbranch_execz .LBB62_49
; %bb.35:
	s_mov_b32 s3, 0
	s_branch .LBB62_37
.LBB62_36:                              ;   in Loop: Header=BB62_37 Depth=1
	s_or_b32 exec_lo, exec_lo, s4
	v_add_nc_u32_e32 v1, 0x400, v1
	s_delay_alu instid0(VALU_DEP_1) | instskip(SKIP_1) | instid1(SALU_CYCLE_1)
	v_cmp_le_i32_e32 vcc_lo, s0, v1
	s_or_b32 s3, vcc_lo, s3
	s_and_not1_b32 exec_lo, exec_lo, s3
	s_cbranch_execz .LBB62_49
.LBB62_37:                              ; =>This Loop Header: Depth=1
                                        ;     Child Loop BB62_39 Depth 2
	v_ashrrev_i32_e32 v2, 31, v1
	s_mov_b32 s4, 0
	s_delay_alu instid0(VALU_DEP_1) | instskip(SKIP_1) | instid1(VALU_DEP_2)
	v_lshlrev_b64 v[3:4], 2, v[1:2]
	v_lshlrev_b64 v[8:9], 3, v[1:2]
	v_add_co_u32 v3, vcc_lo, s36, v3
	s_delay_alu instid0(VALU_DEP_3) | instskip(NEXT) | instid1(VALU_DEP_3)
	v_add_co_ci_u32_e32 v4, vcc_lo, s37, v4, vcc_lo
	v_add_co_u32 v2, vcc_lo, s38, v8
	global_load_b32 v4, v[3:4], off
	v_add_co_ci_u32_e32 v3, vcc_lo, s39, v9, vcc_lo
	global_load_b64 v[8:9], v[2:3], off
	s_waitcnt vmcnt(1)
	v_subrev_nc_u32_e32 v2, s47, v4
	s_delay_alu instid0(VALU_DEP_1) | instskip(SKIP_2) | instid1(VALU_DEP_1)
	v_mul_lo_u32 v10, 0x89, v2
	s_waitcnt vmcnt(0)
	v_mul_f32_e64 v3, v9, -s12
	v_dual_mul_f32 v4, s2, v9 :: v_dual_fmac_f32 v3, s2, v8
	s_delay_alu instid0(VALU_DEP_1) | instskip(NEXT) | instid1(VALU_DEP_4)
	v_fmac_f32_e32 v4, s12, v8
	v_and_b32_e32 v8, 0x7fff, v10
	s_branch .LBB62_39
.LBB62_38:                              ;   in Loop: Header=BB62_39 Depth=2
	s_or_b32 exec_lo, exec_lo, s5
	s_xor_b32 s5, s6, -1
	s_delay_alu instid0(SALU_CYCLE_1) | instskip(NEXT) | instid1(SALU_CYCLE_1)
	s_and_b32 s5, exec_lo, s5
	s_or_b32 s4, s5, s4
	s_delay_alu instid0(SALU_CYCLE_1)
	s_and_not1_b32 exec_lo, exec_lo, s4
	s_cbranch_execz .LBB62_36
.LBB62_39:                              ;   Parent Loop BB62_37 Depth=1
                                        ; =>  This Inner Loop Header: Depth=2
	s_delay_alu instid0(VALU_DEP_1)
	v_lshl_add_u32 v9, v8, 2, 0
	s_mov_b32 s5, exec_lo
                                        ; implicit-def: $sgpr6
	ds_load_b32 v10, v9
	s_waitcnt lgkmcnt(0)
	v_cmpx_ne_u32_e64 v10, v2
	s_xor_b32 s5, exec_lo, s5
	s_cbranch_execz .LBB62_47
; %bb.40:                               ;   in Loop: Header=BB62_39 Depth=2
	s_mov_b32 s7, exec_lo
                                        ; implicit-def: $sgpr6
	v_cmpx_ne_u32_e64 s33, v10
	s_xor_b32 s7, exec_lo, s7
; %bb.41:                               ;   in Loop: Header=BB62_39 Depth=2
	v_add_nc_u32_e32 v8, 1, v8
	s_mov_b32 s6, -1
                                        ; implicit-def: $vgpr9
	s_delay_alu instid0(VALU_DEP_1)
	v_and_b32_e32 v8, 0x7fff, v8
; %bb.42:                               ;   in Loop: Header=BB62_39 Depth=2
	s_and_not1_saveexec_b32 s7, s7
	s_cbranch_execz .LBB62_46
; %bb.43:                               ;   in Loop: Header=BB62_39 Depth=2
	v_mov_b32_e32 v10, s33
	s_mov_b32 s9, -1
	s_mov_b32 s8, exec_lo
	ds_cmpstore_rtn_b32 v9, v9, v2, v10
	s_waitcnt lgkmcnt(0)
	v_cmpx_eq_u32_e64 s33, v9
	s_cbranch_execz .LBB62_45
; %bb.44:                               ;   in Loop: Header=BB62_39 Depth=2
	v_lshlrev_b32_e32 v9, 3, v8
	s_xor_b32 s9, exec_lo, -1
	s_delay_alu instid0(VALU_DEP_1)
	v_add3_u32 v9, 0, v9, 0x20000
	ds_add_f32 v9, v3
	ds_add_f32 v9, v4 offset:4
.LBB62_45:                              ;   in Loop: Header=BB62_39 Depth=2
	s_or_b32 exec_lo, exec_lo, s8
	s_delay_alu instid0(SALU_CYCLE_1) | instskip(SKIP_1) | instid1(SALU_CYCLE_1)
	s_and_not1_b32 s6, s6, exec_lo
	s_and_b32 s8, s9, exec_lo
	s_or_b32 s6, s6, s8
.LBB62_46:                              ;   in Loop: Header=BB62_39 Depth=2
	s_or_b32 exec_lo, exec_lo, s7
	s_delay_alu instid0(SALU_CYCLE_1)
	s_and_b32 s6, s6, exec_lo
.LBB62_47:                              ;   in Loop: Header=BB62_39 Depth=2
	s_and_not1_saveexec_b32 s5, s5
	s_cbranch_execz .LBB62_38
; %bb.48:                               ;   in Loop: Header=BB62_39 Depth=2
	v_lshlrev_b32_e32 v9, 3, v8
	s_and_not1_b32 s6, s6, exec_lo
	s_delay_alu instid0(VALU_DEP_1)
	v_add3_u32 v9, 0, v9, 0x20000
	ds_add_f32 v9, v3
	ds_add_f32 v9, v4 offset:4
	s_branch .LBB62_38
.LBB62_49:
	s_or_b32 exec_lo, exec_lo, s1
.LBB62_50:
	v_mbcnt_lo_u32_b32 v1, -1, 0
	v_lshrrev_b32_e32 v2, 3, v0
	s_add_i32 s70, 0, 0x6007c
	v_cmp_eq_u32_e32 vcc_lo, 0x3ff, v0
	v_cmp_lt_u32_e64 s0, 31, v0
	v_xor_b32_e32 v1, 63, v1
	v_dual_mov_b32 v8, 0 :: v_dual_and_b32 v3, 0x7c, v2
	v_cmp_lt_u32_e64 s1, 63, v0
	v_cmp_lt_u32_e64 s2, 0x5f, v0
	s_delay_alu instid0(VALU_DEP_4) | instskip(NEXT) | instid1(VALU_DEP_4)
	v_lshrrev_b64 v[1:2], v1, -1
	v_add3_u32 v4, 0, 0x60000, v3
	v_cmp_lt_u32_e64 s3, 0x7f, v0
	v_cmp_lt_u32_e64 s4, 0x9f, v0
	;; [unrolled: 1-line block ×28, first 2 shown]
	v_add3_u32 v7, v7, 0, 0x20000
	v_mov_b32_e32 v9, s70
	s_mov_b32 s36, 0
	s_add_i32 s37, 0, 0x60000
	s_add_i32 s38, 0, 0x60004
	;; [unrolled: 1-line block ×31, first 2 shown]
	s_waitcnt lgkmcnt(0)
	s_barrier
	buffer_gl0_inv
	s_branch .LBB62_52
.LBB62_51:                              ;   in Loop: Header=BB62_52 Depth=1
	s_or_b32 exec_lo, exec_lo, s31
	s_waitcnt lgkmcnt(0)
	s_barrier
	buffer_gl0_inv
	ds_load_b32 v2, v9
	v_add_nc_u32_e32 v6, 0x400, v6
	v_add_nc_u32_e32 v7, 0x2000, v7
	v_add_nc_u32_e32 v5, 0x1000, v5
	s_delay_alu instid0(VALU_DEP_3) | instskip(NEXT) | instid1(VALU_DEP_1)
	v_cmp_lt_u32_e64 s31, 0x7bff, v6
	s_or_b32 s36, s31, s36
	s_waitcnt lgkmcnt(0)
	v_add_nc_u32_e32 v8, v2, v8
	s_and_not1_b32 exec_lo, exec_lo, s36
	s_cbranch_execz .LBB62_118
.LBB62_52:                              ; =>This Inner Loop Header: Depth=1
	ds_load_b32 v10, v5
	ds_load_2addr_b32 v[2:3], v7 offset1:1
	s_waitcnt lgkmcnt(0)
	s_barrier
	buffer_gl0_inv
	v_cmp_gt_i32_e64 s31, s33, v10
	s_delay_alu instid0(VALU_DEP_1) | instskip(NEXT) | instid1(SALU_CYCLE_1)
	s_bcnt1_i32_b32 s75, s31
	v_dual_mov_b32 v12, s75 :: v_dual_and_b32 v11, s31, v1
	s_delay_alu instid0(VALU_DEP_1)
	v_bcnt_u32_b32 v11, v11, 0
	ds_store_b32 v4, v12
	s_waitcnt lgkmcnt(0)
	s_barrier
	buffer_gl0_inv
	s_and_saveexec_b32 s75, s0
	s_cbranch_execnz .LBB62_85
; %bb.53:                               ;   in Loop: Header=BB62_52 Depth=1
	s_or_b32 exec_lo, exec_lo, s75
	s_and_saveexec_b32 s75, s1
	s_cbranch_execnz .LBB62_86
.LBB62_54:                              ;   in Loop: Header=BB62_52 Depth=1
	s_or_b32 exec_lo, exec_lo, s75
	s_and_saveexec_b32 s75, s2
	s_cbranch_execnz .LBB62_87
.LBB62_55:                              ;   in Loop: Header=BB62_52 Depth=1
	s_or_b32 exec_lo, exec_lo, s75
	s_and_saveexec_b32 s75, s3
	s_cbranch_execnz .LBB62_88
.LBB62_56:                              ;   in Loop: Header=BB62_52 Depth=1
	s_or_b32 exec_lo, exec_lo, s75
	s_and_saveexec_b32 s75, s4
	s_cbranch_execnz .LBB62_89
.LBB62_57:                              ;   in Loop: Header=BB62_52 Depth=1
	s_or_b32 exec_lo, exec_lo, s75
	s_and_saveexec_b32 s75, s5
	s_cbranch_execnz .LBB62_90
.LBB62_58:                              ;   in Loop: Header=BB62_52 Depth=1
	s_or_b32 exec_lo, exec_lo, s75
	s_and_saveexec_b32 s75, s6
	s_cbranch_execnz .LBB62_91
.LBB62_59:                              ;   in Loop: Header=BB62_52 Depth=1
	s_or_b32 exec_lo, exec_lo, s75
	s_and_saveexec_b32 s75, s7
	s_cbranch_execnz .LBB62_92
.LBB62_60:                              ;   in Loop: Header=BB62_52 Depth=1
	s_or_b32 exec_lo, exec_lo, s75
	s_and_saveexec_b32 s75, s8
	s_cbranch_execnz .LBB62_93
.LBB62_61:                              ;   in Loop: Header=BB62_52 Depth=1
	s_or_b32 exec_lo, exec_lo, s75
	s_and_saveexec_b32 s75, s9
	s_cbranch_execnz .LBB62_94
.LBB62_62:                              ;   in Loop: Header=BB62_52 Depth=1
	s_or_b32 exec_lo, exec_lo, s75
	s_and_saveexec_b32 s75, s10
	s_cbranch_execnz .LBB62_95
.LBB62_63:                              ;   in Loop: Header=BB62_52 Depth=1
	s_or_b32 exec_lo, exec_lo, s75
	s_and_saveexec_b32 s75, s11
	s_cbranch_execnz .LBB62_96
.LBB62_64:                              ;   in Loop: Header=BB62_52 Depth=1
	s_or_b32 exec_lo, exec_lo, s75
	s_and_saveexec_b32 s75, s12
	s_cbranch_execnz .LBB62_97
.LBB62_65:                              ;   in Loop: Header=BB62_52 Depth=1
	s_or_b32 exec_lo, exec_lo, s75
	s_and_saveexec_b32 s75, s13
	s_cbranch_execnz .LBB62_98
.LBB62_66:                              ;   in Loop: Header=BB62_52 Depth=1
	s_or_b32 exec_lo, exec_lo, s75
	s_and_saveexec_b32 s75, s14
	s_cbranch_execnz .LBB62_99
.LBB62_67:                              ;   in Loop: Header=BB62_52 Depth=1
	s_or_b32 exec_lo, exec_lo, s75
	s_and_saveexec_b32 s75, s15
	s_cbranch_execnz .LBB62_100
.LBB62_68:                              ;   in Loop: Header=BB62_52 Depth=1
	s_or_b32 exec_lo, exec_lo, s75
	s_and_saveexec_b32 s75, s16
	s_cbranch_execnz .LBB62_101
.LBB62_69:                              ;   in Loop: Header=BB62_52 Depth=1
	s_or_b32 exec_lo, exec_lo, s75
	s_and_saveexec_b32 s75, s17
	s_cbranch_execnz .LBB62_102
.LBB62_70:                              ;   in Loop: Header=BB62_52 Depth=1
	s_or_b32 exec_lo, exec_lo, s75
	s_and_saveexec_b32 s75, s18
	s_cbranch_execnz .LBB62_103
.LBB62_71:                              ;   in Loop: Header=BB62_52 Depth=1
	s_or_b32 exec_lo, exec_lo, s75
	s_and_saveexec_b32 s75, s19
	s_cbranch_execnz .LBB62_104
.LBB62_72:                              ;   in Loop: Header=BB62_52 Depth=1
	s_or_b32 exec_lo, exec_lo, s75
	s_and_saveexec_b32 s75, s20
	s_cbranch_execnz .LBB62_105
.LBB62_73:                              ;   in Loop: Header=BB62_52 Depth=1
	s_or_b32 exec_lo, exec_lo, s75
	s_and_saveexec_b32 s75, s21
	s_cbranch_execnz .LBB62_106
.LBB62_74:                              ;   in Loop: Header=BB62_52 Depth=1
	s_or_b32 exec_lo, exec_lo, s75
	s_and_saveexec_b32 s75, s22
	s_cbranch_execnz .LBB62_107
.LBB62_75:                              ;   in Loop: Header=BB62_52 Depth=1
	s_or_b32 exec_lo, exec_lo, s75
	s_and_saveexec_b32 s75, s23
	s_cbranch_execnz .LBB62_108
.LBB62_76:                              ;   in Loop: Header=BB62_52 Depth=1
	s_or_b32 exec_lo, exec_lo, s75
	s_and_saveexec_b32 s75, s24
	s_cbranch_execnz .LBB62_109
.LBB62_77:                              ;   in Loop: Header=BB62_52 Depth=1
	s_or_b32 exec_lo, exec_lo, s75
	s_and_saveexec_b32 s75, s25
	s_cbranch_execnz .LBB62_110
.LBB62_78:                              ;   in Loop: Header=BB62_52 Depth=1
	s_or_b32 exec_lo, exec_lo, s75
	s_and_saveexec_b32 s75, s26
	s_cbranch_execnz .LBB62_111
.LBB62_79:                              ;   in Loop: Header=BB62_52 Depth=1
	s_or_b32 exec_lo, exec_lo, s75
	s_and_saveexec_b32 s75, s27
	s_cbranch_execnz .LBB62_112
.LBB62_80:                              ;   in Loop: Header=BB62_52 Depth=1
	s_or_b32 exec_lo, exec_lo, s75
	s_and_saveexec_b32 s75, s28
	s_cbranch_execnz .LBB62_113
.LBB62_81:                              ;   in Loop: Header=BB62_52 Depth=1
	s_or_b32 exec_lo, exec_lo, s75
	s_and_saveexec_b32 s75, s29
	s_cbranch_execnz .LBB62_114
.LBB62_82:                              ;   in Loop: Header=BB62_52 Depth=1
	s_or_b32 exec_lo, exec_lo, s75
	s_and_saveexec_b32 s75, s30
	s_cbranch_execnz .LBB62_115
.LBB62_83:                              ;   in Loop: Header=BB62_52 Depth=1
	s_or_b32 exec_lo, exec_lo, s75
	s_and_saveexec_b32 s75, s31
	s_cbranch_execnz .LBB62_116
.LBB62_84:                              ;   in Loop: Header=BB62_52 Depth=1
	s_or_b32 exec_lo, exec_lo, s75
	s_and_saveexec_b32 s31, vcc_lo
	s_cbranch_execz .LBB62_51
	s_branch .LBB62_117
.LBB62_85:                              ;   in Loop: Header=BB62_52 Depth=1
	v_mov_b32_e32 v12, s37
	ds_load_b32 v12, v12
	s_waitcnt lgkmcnt(0)
	v_add_nc_u32_e32 v11, v12, v11
	s_or_b32 exec_lo, exec_lo, s75
	s_and_saveexec_b32 s75, s1
	s_cbranch_execz .LBB62_54
.LBB62_86:                              ;   in Loop: Header=BB62_52 Depth=1
	v_mov_b32_e32 v12, s38
	ds_load_b32 v12, v12
	s_waitcnt lgkmcnt(0)
	v_add_nc_u32_e32 v11, v12, v11
	s_or_b32 exec_lo, exec_lo, s75
	s_and_saveexec_b32 s75, s2
	s_cbranch_execz .LBB62_55
.LBB62_87:                              ;   in Loop: Header=BB62_52 Depth=1
	v_mov_b32_e32 v12, s39
	ds_load_b32 v12, v12
	s_waitcnt lgkmcnt(0)
	v_add_nc_u32_e32 v11, v12, v11
	s_or_b32 exec_lo, exec_lo, s75
	s_and_saveexec_b32 s75, s3
	s_cbranch_execz .LBB62_56
.LBB62_88:                              ;   in Loop: Header=BB62_52 Depth=1
	v_mov_b32_e32 v12, s44
	ds_load_b32 v12, v12
	s_waitcnt lgkmcnt(0)
	v_add_nc_u32_e32 v11, v12, v11
	s_or_b32 exec_lo, exec_lo, s75
	s_and_saveexec_b32 s75, s4
	s_cbranch_execz .LBB62_57
.LBB62_89:                              ;   in Loop: Header=BB62_52 Depth=1
	v_mov_b32_e32 v12, s45
	ds_load_b32 v12, v12
	s_waitcnt lgkmcnt(0)
	v_add_nc_u32_e32 v11, v12, v11
	s_or_b32 exec_lo, exec_lo, s75
	s_and_saveexec_b32 s75, s5
	s_cbranch_execz .LBB62_58
.LBB62_90:                              ;   in Loop: Header=BB62_52 Depth=1
	v_mov_b32_e32 v12, s47
	ds_load_b32 v12, v12
	s_waitcnt lgkmcnt(0)
	v_add_nc_u32_e32 v11, v12, v11
	s_or_b32 exec_lo, exec_lo, s75
	s_and_saveexec_b32 s75, s6
	s_cbranch_execz .LBB62_59
.LBB62_91:                              ;   in Loop: Header=BB62_52 Depth=1
	v_mov_b32_e32 v12, s49
	ds_load_b32 v12, v12
	s_waitcnt lgkmcnt(0)
	v_add_nc_u32_e32 v11, v12, v11
	s_or_b32 exec_lo, exec_lo, s75
	s_and_saveexec_b32 s75, s7
	s_cbranch_execz .LBB62_60
.LBB62_92:                              ;   in Loop: Header=BB62_52 Depth=1
	v_mov_b32_e32 v12, s50
	ds_load_b32 v12, v12
	s_waitcnt lgkmcnt(0)
	v_add_nc_u32_e32 v11, v12, v11
	s_or_b32 exec_lo, exec_lo, s75
	s_and_saveexec_b32 s75, s8
	s_cbranch_execz .LBB62_61
.LBB62_93:                              ;   in Loop: Header=BB62_52 Depth=1
	v_mov_b32_e32 v12, s51
	ds_load_b32 v12, v12
	s_waitcnt lgkmcnt(0)
	v_add_nc_u32_e32 v11, v12, v11
	s_or_b32 exec_lo, exec_lo, s75
	s_and_saveexec_b32 s75, s9
	s_cbranch_execz .LBB62_62
.LBB62_94:                              ;   in Loop: Header=BB62_52 Depth=1
	v_mov_b32_e32 v12, s52
	ds_load_b32 v12, v12
	s_waitcnt lgkmcnt(0)
	v_add_nc_u32_e32 v11, v12, v11
	s_or_b32 exec_lo, exec_lo, s75
	s_and_saveexec_b32 s75, s10
	s_cbranch_execz .LBB62_63
.LBB62_95:                              ;   in Loop: Header=BB62_52 Depth=1
	v_mov_b32_e32 v12, s53
	ds_load_b32 v12, v12
	s_waitcnt lgkmcnt(0)
	v_add_nc_u32_e32 v11, v12, v11
	s_or_b32 exec_lo, exec_lo, s75
	s_and_saveexec_b32 s75, s11
	s_cbranch_execz .LBB62_64
.LBB62_96:                              ;   in Loop: Header=BB62_52 Depth=1
	v_mov_b32_e32 v12, s54
	ds_load_b32 v12, v12
	s_waitcnt lgkmcnt(0)
	v_add_nc_u32_e32 v11, v12, v11
	s_or_b32 exec_lo, exec_lo, s75
	s_and_saveexec_b32 s75, s12
	s_cbranch_execz .LBB62_65
.LBB62_97:                              ;   in Loop: Header=BB62_52 Depth=1
	v_mov_b32_e32 v12, s55
	ds_load_b32 v12, v12
	s_waitcnt lgkmcnt(0)
	v_add_nc_u32_e32 v11, v12, v11
	s_or_b32 exec_lo, exec_lo, s75
	s_and_saveexec_b32 s75, s13
	s_cbranch_execz .LBB62_66
.LBB62_98:                              ;   in Loop: Header=BB62_52 Depth=1
	v_mov_b32_e32 v12, s56
	ds_load_b32 v12, v12
	s_waitcnt lgkmcnt(0)
	v_add_nc_u32_e32 v11, v12, v11
	s_or_b32 exec_lo, exec_lo, s75
	s_and_saveexec_b32 s75, s14
	s_cbranch_execz .LBB62_67
.LBB62_99:                              ;   in Loop: Header=BB62_52 Depth=1
	v_mov_b32_e32 v12, s57
	ds_load_b32 v12, v12
	s_waitcnt lgkmcnt(0)
	v_add_nc_u32_e32 v11, v12, v11
	s_or_b32 exec_lo, exec_lo, s75
	s_and_saveexec_b32 s75, s15
	s_cbranch_execz .LBB62_68
.LBB62_100:                             ;   in Loop: Header=BB62_52 Depth=1
	v_mov_b32_e32 v12, s58
	ds_load_b32 v12, v12
	s_waitcnt lgkmcnt(0)
	v_add_nc_u32_e32 v11, v12, v11
	s_or_b32 exec_lo, exec_lo, s75
	s_and_saveexec_b32 s75, s16
	s_cbranch_execz .LBB62_69
.LBB62_101:                             ;   in Loop: Header=BB62_52 Depth=1
	v_mov_b32_e32 v12, s59
	ds_load_b32 v12, v12
	s_waitcnt lgkmcnt(0)
	v_add_nc_u32_e32 v11, v12, v11
	s_or_b32 exec_lo, exec_lo, s75
	s_and_saveexec_b32 s75, s17
	s_cbranch_execz .LBB62_70
.LBB62_102:                             ;   in Loop: Header=BB62_52 Depth=1
	v_mov_b32_e32 v12, s60
	ds_load_b32 v12, v12
	s_waitcnt lgkmcnt(0)
	v_add_nc_u32_e32 v11, v12, v11
	s_or_b32 exec_lo, exec_lo, s75
	s_and_saveexec_b32 s75, s18
	s_cbranch_execz .LBB62_71
.LBB62_103:                             ;   in Loop: Header=BB62_52 Depth=1
	v_mov_b32_e32 v12, s61
	ds_load_b32 v12, v12
	s_waitcnt lgkmcnt(0)
	v_add_nc_u32_e32 v11, v12, v11
	s_or_b32 exec_lo, exec_lo, s75
	s_and_saveexec_b32 s75, s19
	s_cbranch_execz .LBB62_72
.LBB62_104:                             ;   in Loop: Header=BB62_52 Depth=1
	v_mov_b32_e32 v12, s62
	ds_load_b32 v12, v12
	s_waitcnt lgkmcnt(0)
	v_add_nc_u32_e32 v11, v12, v11
	s_or_b32 exec_lo, exec_lo, s75
	s_and_saveexec_b32 s75, s20
	s_cbranch_execz .LBB62_73
.LBB62_105:                             ;   in Loop: Header=BB62_52 Depth=1
	v_mov_b32_e32 v12, s63
	ds_load_b32 v12, v12
	s_waitcnt lgkmcnt(0)
	v_add_nc_u32_e32 v11, v12, v11
	s_or_b32 exec_lo, exec_lo, s75
	s_and_saveexec_b32 s75, s21
	s_cbranch_execz .LBB62_74
.LBB62_106:                             ;   in Loop: Header=BB62_52 Depth=1
	v_mov_b32_e32 v12, s64
	ds_load_b32 v12, v12
	s_waitcnt lgkmcnt(0)
	v_add_nc_u32_e32 v11, v12, v11
	s_or_b32 exec_lo, exec_lo, s75
	s_and_saveexec_b32 s75, s22
	s_cbranch_execz .LBB62_75
.LBB62_107:                             ;   in Loop: Header=BB62_52 Depth=1
	v_mov_b32_e32 v12, s65
	ds_load_b32 v12, v12
	s_waitcnt lgkmcnt(0)
	v_add_nc_u32_e32 v11, v12, v11
	s_or_b32 exec_lo, exec_lo, s75
	s_and_saveexec_b32 s75, s23
	s_cbranch_execz .LBB62_76
.LBB62_108:                             ;   in Loop: Header=BB62_52 Depth=1
	v_mov_b32_e32 v12, s66
	ds_load_b32 v12, v12
	s_waitcnt lgkmcnt(0)
	v_add_nc_u32_e32 v11, v12, v11
	s_or_b32 exec_lo, exec_lo, s75
	s_and_saveexec_b32 s75, s24
	s_cbranch_execz .LBB62_77
.LBB62_109:                             ;   in Loop: Header=BB62_52 Depth=1
	v_mov_b32_e32 v12, s67
	ds_load_b32 v12, v12
	s_waitcnt lgkmcnt(0)
	v_add_nc_u32_e32 v11, v12, v11
	s_or_b32 exec_lo, exec_lo, s75
	s_and_saveexec_b32 s75, s25
	s_cbranch_execz .LBB62_78
.LBB62_110:                             ;   in Loop: Header=BB62_52 Depth=1
	v_mov_b32_e32 v12, s68
	ds_load_b32 v12, v12
	s_waitcnt lgkmcnt(0)
	v_add_nc_u32_e32 v11, v12, v11
	s_or_b32 exec_lo, exec_lo, s75
	s_and_saveexec_b32 s75, s26
	s_cbranch_execz .LBB62_79
.LBB62_111:                             ;   in Loop: Header=BB62_52 Depth=1
	v_mov_b32_e32 v12, s69
	ds_load_b32 v12, v12
	s_waitcnt lgkmcnt(0)
	v_add_nc_u32_e32 v11, v12, v11
	s_or_b32 exec_lo, exec_lo, s75
	s_and_saveexec_b32 s75, s27
	s_cbranch_execz .LBB62_80
.LBB62_112:                             ;   in Loop: Header=BB62_52 Depth=1
	v_mov_b32_e32 v12, s71
	ds_load_b32 v12, v12
	s_waitcnt lgkmcnt(0)
	v_add_nc_u32_e32 v11, v12, v11
	s_or_b32 exec_lo, exec_lo, s75
	s_and_saveexec_b32 s75, s28
	s_cbranch_execz .LBB62_81
.LBB62_113:                             ;   in Loop: Header=BB62_52 Depth=1
	v_mov_b32_e32 v12, s72
	ds_load_b32 v12, v12
	s_waitcnt lgkmcnt(0)
	v_add_nc_u32_e32 v11, v12, v11
	s_or_b32 exec_lo, exec_lo, s75
	s_and_saveexec_b32 s75, s29
	s_cbranch_execz .LBB62_82
.LBB62_114:                             ;   in Loop: Header=BB62_52 Depth=1
	v_mov_b32_e32 v12, s73
	ds_load_b32 v12, v12
	s_waitcnt lgkmcnt(0)
	v_add_nc_u32_e32 v11, v12, v11
	s_or_b32 exec_lo, exec_lo, s75
	s_and_saveexec_b32 s75, s30
	s_cbranch_execz .LBB62_83
.LBB62_115:                             ;   in Loop: Header=BB62_52 Depth=1
	v_mov_b32_e32 v12, s74
	ds_load_b32 v12, v12
	s_waitcnt lgkmcnt(0)
	v_add_nc_u32_e32 v11, v12, v11
	s_or_b32 exec_lo, exec_lo, s75
	s_and_saveexec_b32 s75, s31
	s_cbranch_execz .LBB62_84
.LBB62_116:                             ;   in Loop: Header=BB62_52 Depth=1
	s_delay_alu instid0(VALU_DEP_1) | instskip(NEXT) | instid1(VALU_DEP_1)
	v_add3_u32 v12, v8, -1, v11
	v_lshlrev_b32_e32 v13, 3, v12
	v_lshl_add_u32 v12, v12, 2, 0
	s_delay_alu instid0(VALU_DEP_2)
	v_add3_u32 v13, 0, v13, 0x20000
	ds_store_b32 v12, v10
	ds_store_2addr_b32 v13, v2, v3 offset1:1
	s_or_b32 exec_lo, exec_lo, s75
	s_and_saveexec_b32 s31, vcc_lo
	s_cbranch_execz .LBB62_51
.LBB62_117:                             ;   in Loop: Header=BB62_52 Depth=1
	v_mov_b32_e32 v2, s70
	ds_store_b32 v2, v11
	s_branch .LBB62_51
.LBB62_118:
	s_or_b32 exec_lo, exec_lo, s36
	s_ashr_i32 s49, s48, 31
	s_mov_b32 s3, exec_lo
	s_lshl_b64 s[0:1], s[48:49], 2
	s_delay_alu instid0(SALU_CYCLE_1) | instskip(SKIP_4) | instid1(SALU_CYCLE_1)
	s_add_u32 s0, s40, s0
	s_addc_u32 s1, s41, s1
	s_load_b64 s[0:1], s[0:1], 0x0
	s_waitcnt lgkmcnt(0)
	s_sub_i32 s2, s1, s0
	v_cmpx_gt_i32_e64 s2, v0
	s_cbranch_execz .LBB62_128
; %bb.119:
	s_sub_i32 s3, s0, s46
	s_sub_i32 s0, s0, s1
	s_and_b32 s1, s2, 7
	s_cmp_lt_u32 s0, -7
	s_mov_b32 s7, 0
	s_cselect_b32 s4, -1, 0
	s_and_b32 s5, s2, -8
	s_cmp_lg_u32 s1, 0
	s_cselect_b32 s6, -1, 0
	s_branch .LBB62_121
.LBB62_120:                             ;   in Loop: Header=BB62_121 Depth=1
	s_delay_alu instid0(VALU_DEP_1) | instskip(SKIP_3) | instid1(VALU_DEP_3)
	v_ashrrev_i32_e32 v4, 31, v3
	v_add_nc_u32_e32 v0, 0x400, v0
	s_waitcnt lgkmcnt(1)
	v_add_nc_u32_e32 v8, s46, v5
	v_lshlrev_b64 v[6:7], 2, v[3:4]
	v_lshlrev_b64 v[3:4], 3, v[3:4]
	v_cmp_le_i32_e32 vcc_lo, s2, v0
	s_delay_alu instid0(VALU_DEP_3) | instskip(NEXT) | instid1(VALU_DEP_1)
	v_add_co_u32 v5, s0, s42, v6
	v_add_co_ci_u32_e64 v6, s0, s43, v7, s0
	s_delay_alu instid0(VALU_DEP_4) | instskip(NEXT) | instid1(VALU_DEP_1)
	v_add_co_u32 v3, s0, s34, v3
	v_add_co_ci_u32_e64 v4, s0, s35, v4, s0
	s_or_b32 s7, vcc_lo, s7
	global_store_b32 v[5:6], v8, off
	s_waitcnt lgkmcnt(0)
	global_store_b64 v[3:4], v[1:2], off
	s_and_not1_b32 exec_lo, exec_lo, s7
	s_cbranch_execz .LBB62_128
.LBB62_121:                             ; =>This Loop Header: Depth=1
                                        ;     Child Loop BB62_123 Depth 2
                                        ;     Child Loop BB62_127 Depth 2
	v_lshlrev_b32_e32 v1, 3, v0
	v_lshl_add_u32 v2, v0, 2, 0
	v_mov_b32_e32 v3, s3
	s_and_not1_b32 vcc_lo, exec_lo, s4
	s_mov_b32 s0, 0
	v_add3_u32 v1, 0, v1, 0x20000
	ds_load_b32 v5, v2
	ds_load_2addr_b32 v[1:2], v1 offset1:1
	s_cbranch_vccnz .LBB62_125
; %bb.122:                              ;   in Loop: Header=BB62_121 Depth=1
	v_mov_b32_e32 v3, s3
	s_mov_b32 s8, 0
	s_set_inst_prefetch_distance 0x1
	.p2align	6
.LBB62_123:                             ;   Parent Loop BB62_121 Depth=1
                                        ; =>  This Inner Loop Header: Depth=2
	v_mov_b32_e32 v4, s8
	s_add_i32 s0, s0, 8
	s_add_i32 s8, s8, 32
	s_cmp_eq_u32 s5, s0
	ds_load_2addr_b32 v[6:7], v4 offset1:1
	ds_load_2addr_b32 v[8:9], v4 offset0:2 offset1:3
	ds_load_2addr_b32 v[10:11], v4 offset0:4 offset1:5
	;; [unrolled: 1-line block ×3, first 2 shown]
	s_waitcnt lgkmcnt(3)
	v_cmp_gt_i32_e32 vcc_lo, v5, v6
	v_cndmask_b32_e64 v4, 0, 1, vcc_lo
	s_waitcnt lgkmcnt(2)
	v_cmp_gt_i32_e32 vcc_lo, v5, v8
	v_cndmask_b32_e64 v6, 0, 1, vcc_lo
	v_cmp_gt_i32_e32 vcc_lo, v5, v7
	v_add_co_ci_u32_e32 v3, vcc_lo, v3, v4, vcc_lo
	s_waitcnt lgkmcnt(1)
	v_cmp_gt_i32_e32 vcc_lo, v5, v10
	v_cndmask_b32_e64 v4, 0, 1, vcc_lo
	v_cmp_gt_i32_e32 vcc_lo, v5, v9
	v_add_co_ci_u32_e32 v3, vcc_lo, v3, v6, vcc_lo
	;; [unrolled: 5-line block ×3, first 2 shown]
	v_cmp_gt_i32_e32 vcc_lo, v5, v13
	s_delay_alu instid0(VALU_DEP_2)
	v_add_co_ci_u32_e32 v3, vcc_lo, v3, v6, vcc_lo
	s_cbranch_scc0 .LBB62_123
; %bb.124:                              ;   in Loop: Header=BB62_121 Depth=1
	s_set_inst_prefetch_distance 0x2
	s_mov_b32 s0, s5
.LBB62_125:                             ;   in Loop: Header=BB62_121 Depth=1
	s_and_not1_b32 vcc_lo, exec_lo, s6
	s_cbranch_vccnz .LBB62_120
; %bb.126:                              ;   in Loop: Header=BB62_121 Depth=1
	s_lshl_b32 s0, s0, 2
	s_mov_b32 s8, s1
	s_add_i32 s0, s0, 0
.LBB62_127:                             ;   Parent Loop BB62_121 Depth=1
                                        ; =>  This Inner Loop Header: Depth=2
	s_delay_alu instid0(SALU_CYCLE_1)
	v_mov_b32_e32 v4, s0
	s_add_i32 s8, s8, -1
	s_add_i32 s0, s0, 4
	s_cmp_lg_u32 s8, 0
	ds_load_b32 v4, v4
	s_waitcnt lgkmcnt(0)
	v_cmp_gt_i32_e32 vcc_lo, v5, v4
	v_add_co_ci_u32_e32 v3, vcc_lo, 0, v3, vcc_lo
	s_cbranch_scc1 .LBB62_127
	s_branch .LBB62_120
.LBB62_128:
	s_nop 0
	s_sendmsg sendmsg(MSG_DEALLOC_VGPRS)
	s_endpgm
	.section	.rodata,"a",@progbits
	.p2align	6, 0x0
	.amdhsa_kernel _ZN9rocsparseL26csrgemm_fill_block_per_rowILj1024ELj64ELj32768ELj137ELj32Eii21rocsparse_complex_numIfEEEvT5_PKS3_S5_NS_24const_host_device_scalarIT6_EEPKT4_S5_PKS7_SB_S5_SD_S8_SB_S5_SD_SB_PS3_PS7_21rocsparse_index_base_SG_SG_SG_bbb
		.amdhsa_group_segment_fixed_size 0
		.amdhsa_private_segment_fixed_size 0
		.amdhsa_kernarg_size 156
		.amdhsa_user_sgpr_count 15
		.amdhsa_user_sgpr_dispatch_ptr 0
		.amdhsa_user_sgpr_queue_ptr 0
		.amdhsa_user_sgpr_kernarg_segment_ptr 1
		.amdhsa_user_sgpr_dispatch_id 0
		.amdhsa_user_sgpr_private_segment_size 0
		.amdhsa_wavefront_size32 1
		.amdhsa_uses_dynamic_stack 0
		.amdhsa_enable_private_segment 0
		.amdhsa_system_sgpr_workgroup_id_x 1
		.amdhsa_system_sgpr_workgroup_id_y 0
		.amdhsa_system_sgpr_workgroup_id_z 0
		.amdhsa_system_sgpr_workgroup_info 0
		.amdhsa_system_vgpr_workitem_id 0
		.amdhsa_next_free_vgpr 16
		.amdhsa_next_free_sgpr 76
		.amdhsa_reserve_vcc 1
		.amdhsa_float_round_mode_32 0
		.amdhsa_float_round_mode_16_64 0
		.amdhsa_float_denorm_mode_32 3
		.amdhsa_float_denorm_mode_16_64 3
		.amdhsa_dx10_clamp 1
		.amdhsa_ieee_mode 1
		.amdhsa_fp16_overflow 0
		.amdhsa_workgroup_processor_mode 1
		.amdhsa_memory_ordered 1
		.amdhsa_forward_progress 0
		.amdhsa_shared_vgpr_count 0
		.amdhsa_exception_fp_ieee_invalid_op 0
		.amdhsa_exception_fp_denorm_src 0
		.amdhsa_exception_fp_ieee_div_zero 0
		.amdhsa_exception_fp_ieee_overflow 0
		.amdhsa_exception_fp_ieee_underflow 0
		.amdhsa_exception_fp_ieee_inexact 0
		.amdhsa_exception_int_div_zero 0
	.end_amdhsa_kernel
	.section	.text._ZN9rocsparseL26csrgemm_fill_block_per_rowILj1024ELj64ELj32768ELj137ELj32Eii21rocsparse_complex_numIfEEEvT5_PKS3_S5_NS_24const_host_device_scalarIT6_EEPKT4_S5_PKS7_SB_S5_SD_S8_SB_S5_SD_SB_PS3_PS7_21rocsparse_index_base_SG_SG_SG_bbb,"axG",@progbits,_ZN9rocsparseL26csrgemm_fill_block_per_rowILj1024ELj64ELj32768ELj137ELj32Eii21rocsparse_complex_numIfEEEvT5_PKS3_S5_NS_24const_host_device_scalarIT6_EEPKT4_S5_PKS7_SB_S5_SD_S8_SB_S5_SD_SB_PS3_PS7_21rocsparse_index_base_SG_SG_SG_bbb,comdat
.Lfunc_end62:
	.size	_ZN9rocsparseL26csrgemm_fill_block_per_rowILj1024ELj64ELj32768ELj137ELj32Eii21rocsparse_complex_numIfEEEvT5_PKS3_S5_NS_24const_host_device_scalarIT6_EEPKT4_S5_PKS7_SB_S5_SD_S8_SB_S5_SD_SB_PS3_PS7_21rocsparse_index_base_SG_SG_SG_bbb, .Lfunc_end62-_ZN9rocsparseL26csrgemm_fill_block_per_rowILj1024ELj64ELj32768ELj137ELj32Eii21rocsparse_complex_numIfEEEvT5_PKS3_S5_NS_24const_host_device_scalarIT6_EEPKT4_S5_PKS7_SB_S5_SD_S8_SB_S5_SD_SB_PS3_PS7_21rocsparse_index_base_SG_SG_SG_bbb
                                        ; -- End function
	.section	.AMDGPU.csdata,"",@progbits
; Kernel info:
; codeLenInByte = 4636
; NumSgprs: 78
; NumVgprs: 16
; ScratchSize: 0
; MemoryBound: 0
; FloatMode: 240
; IeeeMode: 1
; LDSByteSize: 0 bytes/workgroup (compile time only)
; SGPRBlocks: 9
; VGPRBlocks: 1
; NumSGPRsForWavesPerEU: 78
; NumVGPRsForWavesPerEU: 16
; Occupancy: 16
; WaveLimiterHint : 1
; COMPUTE_PGM_RSRC2:SCRATCH_EN: 0
; COMPUTE_PGM_RSRC2:USER_SGPR: 15
; COMPUTE_PGM_RSRC2:TRAP_HANDLER: 0
; COMPUTE_PGM_RSRC2:TGID_X_EN: 1
; COMPUTE_PGM_RSRC2:TGID_Y_EN: 0
; COMPUTE_PGM_RSRC2:TGID_Z_EN: 0
; COMPUTE_PGM_RSRC2:TIDIG_COMP_CNT: 0
	.section	.text._ZN9rocsparseL26csrgemm_fill_block_per_rowILj1024ELj64ELj32768ELj137ELj64Eii21rocsparse_complex_numIfEEEvT5_PKS3_S5_NS_24const_host_device_scalarIT6_EEPKT4_S5_PKS7_SB_S5_SD_S8_SB_S5_SD_SB_PS3_PS7_21rocsparse_index_base_SG_SG_SG_bbb,"axG",@progbits,_ZN9rocsparseL26csrgemm_fill_block_per_rowILj1024ELj64ELj32768ELj137ELj64Eii21rocsparse_complex_numIfEEEvT5_PKS3_S5_NS_24const_host_device_scalarIT6_EEPKT4_S5_PKS7_SB_S5_SD_S8_SB_S5_SD_SB_PS3_PS7_21rocsparse_index_base_SG_SG_SG_bbb,comdat
	.globl	_ZN9rocsparseL26csrgemm_fill_block_per_rowILj1024ELj64ELj32768ELj137ELj64Eii21rocsparse_complex_numIfEEEvT5_PKS3_S5_NS_24const_host_device_scalarIT6_EEPKT4_S5_PKS7_SB_S5_SD_S8_SB_S5_SD_SB_PS3_PS7_21rocsparse_index_base_SG_SG_SG_bbb ; -- Begin function _ZN9rocsparseL26csrgemm_fill_block_per_rowILj1024ELj64ELj32768ELj137ELj64Eii21rocsparse_complex_numIfEEEvT5_PKS3_S5_NS_24const_host_device_scalarIT6_EEPKT4_S5_PKS7_SB_S5_SD_S8_SB_S5_SD_SB_PS3_PS7_21rocsparse_index_base_SG_SG_SG_bbb
	.p2align	8
	.type	_ZN9rocsparseL26csrgemm_fill_block_per_rowILj1024ELj64ELj32768ELj137ELj64Eii21rocsparse_complex_numIfEEEvT5_PKS3_S5_NS_24const_host_device_scalarIT6_EEPKT4_S5_PKS7_SB_S5_SD_S8_SB_S5_SD_SB_PS3_PS7_21rocsparse_index_base_SG_SG_SG_bbb,@function
_ZN9rocsparseL26csrgemm_fill_block_per_rowILj1024ELj64ELj32768ELj137ELj64Eii21rocsparse_complex_numIfEEEvT5_PKS3_S5_NS_24const_host_device_scalarIT6_EEPKT4_S5_PKS7_SB_S5_SD_S8_SB_S5_SD_SB_PS3_PS7_21rocsparse_index_base_SG_SG_SG_bbb: ; @_ZN9rocsparseL26csrgemm_fill_block_per_rowILj1024ELj64ELj32768ELj137ELj64Eii21rocsparse_complex_numIfEEEvT5_PKS3_S5_NS_24const_host_device_scalarIT6_EEPKT4_S5_PKS7_SB_S5_SD_S8_SB_S5_SD_SB_PS3_PS7_21rocsparse_index_base_SG_SG_SG_bbb
; %bb.0:
	s_clause 0x6
	s_load_b32 s12, s[0:1], 0x98
	s_load_b256 s[16:23], s[0:1], 0x60
	s_load_b256 s[4:11], s[0:1], 0x40
	s_load_b128 s[40:43], s[0:1], 0x8
	s_load_b256 s[24:31], s[0:1], 0x20
	s_load_b64 s[34:35], s[0:1], 0x80
	s_load_b128 s[36:39], s[0:1], 0x88
	s_mov_b32 s3, 0
	s_mov_b32 s13, 0
	s_waitcnt lgkmcnt(0)
	s_bitcmp1_b32 s12, 0
	s_cselect_b32 s44, -1, 0
	s_bitcmp1_b32 s12, 16
	s_cselect_b32 s2, -1, 0
	s_delay_alu instid0(SALU_CYCLE_1) | instskip(SKIP_2) | instid1(VALU_DEP_1)
	s_xor_b32 s14, s2, -1
	s_bitcmp0_b32 s12, 0
	v_cndmask_b32_e64 v1, 0, 1, s14
	v_cmp_ne_u32_e32 vcc_lo, 1, v1
	s_cbranch_scc1 .LBB63_5
; %bb.1:
	s_load_b64 s[2:3], s[0:1], 0x18
	s_and_b32 vcc_lo, exec_lo, vcc_lo
	s_waitcnt lgkmcnt(0)
	s_mov_b32 s13, s2
	s_cbranch_vccnz .LBB63_3
; %bb.2:
	s_load_b32 s13, s[2:3], 0x0
.LBB63_3:
	s_and_not1_b32 vcc_lo, exec_lo, s14
	s_cbranch_vccnz .LBB63_5
; %bb.4:
	s_load_b32 s3, s[2:3], 0x4
.LBB63_5:
	s_bitcmp1_b32 s12, 8
	s_cselect_b32 s14, -1, 0
	s_bfe_u32 s2, s12, 0x10008
	s_mov_b32 s12, 0
	s_cmp_eq_u32 s2, 0
	s_mov_b32 s2, 0
	s_cbranch_scc1 .LBB63_11
; %bb.6:
	v_cmp_ne_u32_e32 vcc_lo, 1, v1
	s_mov_b32 s2, s8
	s_cbranch_vccnz .LBB63_8
; %bb.7:
	s_load_b32 s2, s[8:9], 0x0
.LBB63_8:
	v_cmp_ne_u32_e32 vcc_lo, 1, v1
	s_cbranch_vccnz .LBB63_10
; %bb.9:
	s_load_b32 s9, s[8:9], 0x4
.LBB63_10:
	s_waitcnt lgkmcnt(0)
	s_mov_b32 s12, s9
.LBB63_11:
	s_load_b32 s33, s[0:1], 0x0
	v_lshlrev_b32_e32 v7, 3, v0
	v_lshl_add_u32 v5, v0, 2, 0
	v_or_b32_e32 v6, 0xfffffc00, v0
	v_mov_b32_e32 v1, 0
	s_mov_b32 s0, 0
	s_delay_alu instid0(VALU_DEP_2)
	v_dual_mov_b32 v3, v5 :: v_dual_mov_b32 v8, v6
	s_waitcnt lgkmcnt(0)
	v_mov_b32_e32 v4, s33
	v_add3_u32 v2, v7, 0, 0x20004
.LBB63_12:                              ; =>This Inner Loop Header: Depth=1
	s_delay_alu instid0(VALU_DEP_3)
	v_add_nc_u32_e32 v8, 0x400, v8
	ds_store_b32 v3, v4
	v_add_nc_u32_e32 v9, -4, v2
	v_add_nc_u32_e32 v2, 0x2000, v2
	v_add_nc_u32_e32 v3, 0x1000, v3
	v_cmp_lt_u32_e32 vcc_lo, 0x7bff, v8
	ds_store_2addr_b32 v9, v1, v1 offset1:1
	s_or_b32 s0, vcc_lo, s0
	s_delay_alu instid0(SALU_CYCLE_1)
	s_and_not1_b32 exec_lo, exec_lo, s0
	s_cbranch_execnz .LBB63_12
; %bb.13:
	s_or_b32 exec_lo, exec_lo, s0
	s_waitcnt lgkmcnt(0)
	s_barrier
	buffer_gl0_inv
	s_load_b32 s0, s[40:41], 0x0
	s_mov_b32 s1, 0
	v_lshrrev_b32_e32 v8, 6, v0
	s_waitcnt lgkmcnt(0)
	s_add_i32 s0, s0, s15
	s_delay_alu instid0(SALU_CYCLE_1) | instskip(NEXT) | instid1(SALU_CYCLE_1)
	s_lshl_b64 s[0:1], s[0:1], 2
	s_add_u32 s0, s42, s0
	s_addc_u32 s1, s43, s1
	s_and_b32 vcc_lo, exec_lo, s44
	s_load_b32 s40, s[0:1], 0x0
	s_cbranch_vccz .LBB63_33
; %bb.14:
	s_waitcnt lgkmcnt(0)
	s_ashr_i32 s41, s40, 31
	v_subrev_nc_u32_e32 v1, s36, v8
	s_lshl_b64 s[0:1], s[40:41], 2
	s_delay_alu instid0(SALU_CYCLE_1)
	s_add_u32 s0, s24, s0
	s_addc_u32 s1, s25, s1
	s_load_b64 s[0:1], s[0:1], 0x0
	s_waitcnt lgkmcnt(0)
	v_add_nc_u32_e32 v1, s0, v1
	s_sub_i32 s0, s1, s36
	s_mov_b32 s1, exec_lo
	s_delay_alu instid0(VALU_DEP_1)
	v_cmpx_gt_i32_e64 s0, v1
	s_cbranch_execz .LBB63_32
; %bb.15:
	v_and_b32_e32 v2, 63, v0
	s_mov_b32 s8, 0
	s_delay_alu instid0(VALU_DEP_1)
	v_subrev_nc_u32_e32 v9, s37, v2
	s_branch .LBB63_17
.LBB63_16:                              ;   in Loop: Header=BB63_17 Depth=1
	s_or_b32 exec_lo, exec_lo, s9
	v_add_nc_u32_e32 v1, 16, v1
	s_delay_alu instid0(VALU_DEP_1) | instskip(SKIP_1) | instid1(SALU_CYCLE_1)
	v_cmp_le_i32_e32 vcc_lo, s0, v1
	s_or_b32 s8, vcc_lo, s8
	s_and_not1_b32 exec_lo, exec_lo, s8
	s_cbranch_execz .LBB63_32
.LBB63_17:                              ; =>This Loop Header: Depth=1
                                        ;     Child Loop BB63_20 Depth 2
                                        ;       Child Loop BB63_22 Depth 3
	v_ashrrev_i32_e32 v2, 31, v1
	s_mov_b32 s9, exec_lo
	s_delay_alu instid0(VALU_DEP_1) | instskip(NEXT) | instid1(VALU_DEP_1)
	v_lshlrev_b64 v[3:4], 2, v[1:2]
	v_add_co_u32 v3, vcc_lo, s26, v3
	s_delay_alu instid0(VALU_DEP_2) | instskip(SKIP_3) | instid1(VALU_DEP_1)
	v_add_co_ci_u32_e32 v4, vcc_lo, s27, v4, vcc_lo
	global_load_b32 v3, v[3:4], off
	s_waitcnt vmcnt(0)
	v_subrev_nc_u32_e32 v3, s36, v3
	v_ashrrev_i32_e32 v4, 31, v3
	s_delay_alu instid0(VALU_DEP_1) | instskip(NEXT) | instid1(VALU_DEP_1)
	v_lshlrev_b64 v[3:4], 2, v[3:4]
	v_add_co_u32 v3, vcc_lo, s30, v3
	s_delay_alu instid0(VALU_DEP_2) | instskip(SKIP_4) | instid1(VALU_DEP_1)
	v_add_co_ci_u32_e32 v4, vcc_lo, s31, v4, vcc_lo
	global_load_b64 v[3:4], v[3:4], off
	s_waitcnt vmcnt(0)
	v_subrev_nc_u32_e32 v10, s37, v4
	v_add_nc_u32_e32 v3, v3, v9
	v_cmpx_lt_i32_e64 v3, v10
	s_cbranch_execz .LBB63_16
; %bb.18:                               ;   in Loop: Header=BB63_17 Depth=1
	v_lshlrev_b64 v[11:12], 3, v[1:2]
	s_mov_b32 s15, 0
	s_delay_alu instid0(VALU_DEP_1) | instskip(NEXT) | instid1(VALU_DEP_2)
	v_add_co_u32 v11, vcc_lo, s28, v11
	v_add_co_ci_u32_e32 v12, vcc_lo, s29, v12, vcc_lo
	global_load_b64 v[12:13], v[11:12], off
	s_waitcnt vmcnt(0)
	v_mul_f32_e64 v2, v13, -s3
	s_delay_alu instid0(VALU_DEP_1) | instskip(NEXT) | instid1(VALU_DEP_1)
	v_dual_mul_f32 v11, s13, v13 :: v_dual_fmac_f32 v2, s13, v12
	v_fmac_f32_e32 v11, s3, v12
	s_branch .LBB63_20
.LBB63_19:                              ;   in Loop: Header=BB63_20 Depth=2
	s_or_b32 exec_lo, exec_lo, s24
	v_add_nc_u32_e32 v3, 64, v3
	s_delay_alu instid0(VALU_DEP_1) | instskip(SKIP_1) | instid1(SALU_CYCLE_1)
	v_cmp_ge_i32_e32 vcc_lo, v3, v10
	s_or_b32 s15, vcc_lo, s15
	s_and_not1_b32 exec_lo, exec_lo, s15
	s_cbranch_execz .LBB63_16
.LBB63_20:                              ;   Parent Loop BB63_17 Depth=1
                                        ; =>  This Loop Header: Depth=2
                                        ;       Child Loop BB63_22 Depth 3
	v_ashrrev_i32_e32 v4, 31, v3
	s_mov_b32 s24, 0
	s_delay_alu instid0(VALU_DEP_1) | instskip(SKIP_1) | instid1(VALU_DEP_2)
	v_lshlrev_b64 v[12:13], 2, v[3:4]
	v_lshlrev_b64 v[14:15], 3, v[3:4]
	v_add_co_u32 v12, vcc_lo, s4, v12
	s_delay_alu instid0(VALU_DEP_3)
	v_add_co_ci_u32_e32 v13, vcc_lo, s5, v13, vcc_lo
	global_load_b32 v4, v[12:13], off
	v_add_co_u32 v12, vcc_lo, s6, v14
	v_add_co_ci_u32_e32 v13, vcc_lo, s7, v15, vcc_lo
	global_load_b64 v[14:15], v[12:13], off
	s_waitcnt vmcnt(1)
	v_subrev_nc_u32_e32 v4, s37, v4
	s_delay_alu instid0(VALU_DEP_1) | instskip(SKIP_3) | instid1(VALU_DEP_2)
	v_mul_lo_u32 v16, 0x89, v4
	s_waitcnt vmcnt(0)
	v_mul_f32_e64 v12, v15, -v11
	v_mul_f32_e32 v13, v2, v15
	v_fmac_f32_e32 v12, v2, v14
	s_delay_alu instid0(VALU_DEP_2)
	v_dual_fmac_f32 v13, v11, v14 :: v_dual_and_b32 v14, 0x7fff, v16
	s_branch .LBB63_22
.LBB63_21:                              ;   in Loop: Header=BB63_22 Depth=3
	s_or_b32 exec_lo, exec_lo, s25
	s_xor_b32 s25, s41, -1
	s_delay_alu instid0(SALU_CYCLE_1) | instskip(NEXT) | instid1(SALU_CYCLE_1)
	s_and_b32 s25, exec_lo, s25
	s_or_b32 s24, s25, s24
	s_delay_alu instid0(SALU_CYCLE_1)
	s_and_not1_b32 exec_lo, exec_lo, s24
	s_cbranch_execz .LBB63_19
.LBB63_22:                              ;   Parent Loop BB63_17 Depth=1
                                        ;     Parent Loop BB63_20 Depth=2
                                        ; =>    This Inner Loop Header: Depth=3
	s_delay_alu instid0(VALU_DEP_1)
	v_lshl_add_u32 v15, v14, 2, 0
	s_mov_b32 s25, exec_lo
                                        ; implicit-def: $sgpr41
	ds_load_b32 v16, v15
	s_waitcnt lgkmcnt(0)
	v_cmpx_ne_u32_e64 v16, v4
	s_xor_b32 s25, exec_lo, s25
	s_cbranch_execz .LBB63_30
; %bb.23:                               ;   in Loop: Header=BB63_22 Depth=3
	s_mov_b32 s42, exec_lo
                                        ; implicit-def: $sgpr41
	v_cmpx_ne_u32_e64 s33, v16
	s_xor_b32 s42, exec_lo, s42
; %bb.24:                               ;   in Loop: Header=BB63_22 Depth=3
	v_add_nc_u32_e32 v14, 1, v14
	s_mov_b32 s41, -1
                                        ; implicit-def: $vgpr15
	s_delay_alu instid0(VALU_DEP_1)
	v_and_b32_e32 v14, 0x7fff, v14
; %bb.25:                               ;   in Loop: Header=BB63_22 Depth=3
	s_and_not1_saveexec_b32 s42, s42
	s_cbranch_execz .LBB63_29
; %bb.26:                               ;   in Loop: Header=BB63_22 Depth=3
	v_mov_b32_e32 v16, s33
	s_mov_b32 s44, -1
	s_mov_b32 s43, exec_lo
	ds_cmpstore_rtn_b32 v15, v15, v4, v16
	s_waitcnt lgkmcnt(0)
	v_cmpx_eq_u32_e64 s33, v15
	s_cbranch_execz .LBB63_28
; %bb.27:                               ;   in Loop: Header=BB63_22 Depth=3
	v_lshlrev_b32_e32 v15, 3, v14
	s_xor_b32 s44, exec_lo, -1
	s_delay_alu instid0(VALU_DEP_1)
	v_add3_u32 v15, 0, v15, 0x20000
	ds_add_f32 v15, v12
	ds_add_f32 v15, v13 offset:4
.LBB63_28:                              ;   in Loop: Header=BB63_22 Depth=3
	s_or_b32 exec_lo, exec_lo, s43
	s_delay_alu instid0(SALU_CYCLE_1) | instskip(SKIP_1) | instid1(SALU_CYCLE_1)
	s_and_not1_b32 s41, s41, exec_lo
	s_and_b32 s43, s44, exec_lo
	s_or_b32 s41, s41, s43
.LBB63_29:                              ;   in Loop: Header=BB63_22 Depth=3
	s_or_b32 exec_lo, exec_lo, s42
	s_delay_alu instid0(SALU_CYCLE_1)
	s_and_b32 s41, s41, exec_lo
.LBB63_30:                              ;   in Loop: Header=BB63_22 Depth=3
	s_and_not1_saveexec_b32 s25, s25
	s_cbranch_execz .LBB63_21
; %bb.31:                               ;   in Loop: Header=BB63_22 Depth=3
	v_lshlrev_b32_e32 v15, 3, v14
	s_and_not1_b32 s41, s41, exec_lo
	s_delay_alu instid0(VALU_DEP_1)
	v_add3_u32 v15, 0, v15, 0x20000
	ds_add_f32 v15, v12
	ds_add_f32 v15, v13 offset:4
	s_branch .LBB63_21
.LBB63_32:
	s_or_b32 exec_lo, exec_lo, s1
.LBB63_33:
	s_delay_alu instid0(SALU_CYCLE_1)
	s_and_not1_b32 vcc_lo, exec_lo, s14
	s_cbranch_vccnz .LBB63_50
; %bb.34:
	s_waitcnt lgkmcnt(0)
	s_ashr_i32 s41, s40, 31
	v_subrev_nc_u32_e32 v1, s39, v0
	s_lshl_b64 s[0:1], s[40:41], 2
	s_delay_alu instid0(SALU_CYCLE_1)
	s_add_u32 s0, s10, s0
	s_addc_u32 s1, s11, s1
	s_load_b64 s[0:1], s[0:1], 0x0
	s_waitcnt lgkmcnt(0)
	v_add_nc_u32_e32 v1, s0, v1
	s_sub_i32 s0, s1, s39
	s_mov_b32 s1, exec_lo
	s_delay_alu instid0(VALU_DEP_1)
	v_cmpx_gt_i32_e64 s0, v1
	s_cbranch_execz .LBB63_49
; %bb.35:
	s_mov_b32 s3, 0
	s_branch .LBB63_37
.LBB63_36:                              ;   in Loop: Header=BB63_37 Depth=1
	s_or_b32 exec_lo, exec_lo, s4
	v_add_nc_u32_e32 v1, 0x400, v1
	s_delay_alu instid0(VALU_DEP_1) | instskip(SKIP_1) | instid1(SALU_CYCLE_1)
	v_cmp_le_i32_e32 vcc_lo, s0, v1
	s_or_b32 s3, vcc_lo, s3
	s_and_not1_b32 exec_lo, exec_lo, s3
	s_cbranch_execz .LBB63_49
.LBB63_37:                              ; =>This Loop Header: Depth=1
                                        ;     Child Loop BB63_39 Depth 2
	v_ashrrev_i32_e32 v2, 31, v1
	s_mov_b32 s4, 0
	s_delay_alu instid0(VALU_DEP_1) | instskip(SKIP_1) | instid1(VALU_DEP_2)
	v_lshlrev_b64 v[3:4], 2, v[1:2]
	v_lshlrev_b64 v[9:10], 3, v[1:2]
	v_add_co_u32 v3, vcc_lo, s16, v3
	s_delay_alu instid0(VALU_DEP_3) | instskip(NEXT) | instid1(VALU_DEP_3)
	v_add_co_ci_u32_e32 v4, vcc_lo, s17, v4, vcc_lo
	v_add_co_u32 v2, vcc_lo, s18, v9
	global_load_b32 v4, v[3:4], off
	v_add_co_ci_u32_e32 v3, vcc_lo, s19, v10, vcc_lo
	global_load_b64 v[9:10], v[2:3], off
	s_waitcnt vmcnt(1)
	v_subrev_nc_u32_e32 v2, s39, v4
	s_delay_alu instid0(VALU_DEP_1) | instskip(SKIP_2) | instid1(VALU_DEP_1)
	v_mul_lo_u32 v11, 0x89, v2
	s_waitcnt vmcnt(0)
	v_mul_f32_e64 v3, v10, -s12
	v_dual_mul_f32 v4, s2, v10 :: v_dual_fmac_f32 v3, s2, v9
	s_delay_alu instid0(VALU_DEP_1)
	v_dual_fmac_f32 v4, s12, v9 :: v_dual_and_b32 v9, 0x7fff, v11
	s_branch .LBB63_39
.LBB63_38:                              ;   in Loop: Header=BB63_39 Depth=2
	s_or_b32 exec_lo, exec_lo, s5
	s_xor_b32 s5, s6, -1
	s_delay_alu instid0(SALU_CYCLE_1) | instskip(NEXT) | instid1(SALU_CYCLE_1)
	s_and_b32 s5, exec_lo, s5
	s_or_b32 s4, s5, s4
	s_delay_alu instid0(SALU_CYCLE_1)
	s_and_not1_b32 exec_lo, exec_lo, s4
	s_cbranch_execz .LBB63_36
.LBB63_39:                              ;   Parent Loop BB63_37 Depth=1
                                        ; =>  This Inner Loop Header: Depth=2
	s_delay_alu instid0(VALU_DEP_1)
	v_lshl_add_u32 v10, v9, 2, 0
	s_mov_b32 s5, exec_lo
                                        ; implicit-def: $sgpr6
	ds_load_b32 v11, v10
	s_waitcnt lgkmcnt(0)
	v_cmpx_ne_u32_e64 v11, v2
	s_xor_b32 s5, exec_lo, s5
	s_cbranch_execz .LBB63_47
; %bb.40:                               ;   in Loop: Header=BB63_39 Depth=2
	s_mov_b32 s7, exec_lo
                                        ; implicit-def: $sgpr6
	v_cmpx_ne_u32_e64 s33, v11
	s_xor_b32 s7, exec_lo, s7
; %bb.41:                               ;   in Loop: Header=BB63_39 Depth=2
	v_add_nc_u32_e32 v9, 1, v9
	s_mov_b32 s6, -1
                                        ; implicit-def: $vgpr10
	s_delay_alu instid0(VALU_DEP_1)
	v_and_b32_e32 v9, 0x7fff, v9
; %bb.42:                               ;   in Loop: Header=BB63_39 Depth=2
	s_and_not1_saveexec_b32 s7, s7
	s_cbranch_execz .LBB63_46
; %bb.43:                               ;   in Loop: Header=BB63_39 Depth=2
	v_mov_b32_e32 v11, s33
	s_mov_b32 s9, -1
	s_mov_b32 s8, exec_lo
	ds_cmpstore_rtn_b32 v10, v10, v2, v11
	s_waitcnt lgkmcnt(0)
	v_cmpx_eq_u32_e64 s33, v10
	s_cbranch_execz .LBB63_45
; %bb.44:                               ;   in Loop: Header=BB63_39 Depth=2
	v_lshlrev_b32_e32 v10, 3, v9
	s_xor_b32 s9, exec_lo, -1
	s_delay_alu instid0(VALU_DEP_1)
	v_add3_u32 v10, 0, v10, 0x20000
	ds_add_f32 v10, v3
	ds_add_f32 v10, v4 offset:4
.LBB63_45:                              ;   in Loop: Header=BB63_39 Depth=2
	s_or_b32 exec_lo, exec_lo, s8
	s_delay_alu instid0(SALU_CYCLE_1) | instskip(SKIP_1) | instid1(SALU_CYCLE_1)
	s_and_not1_b32 s6, s6, exec_lo
	s_and_b32 s8, s9, exec_lo
	s_or_b32 s6, s6, s8
.LBB63_46:                              ;   in Loop: Header=BB63_39 Depth=2
	s_or_b32 exec_lo, exec_lo, s7
	s_delay_alu instid0(SALU_CYCLE_1)
	s_and_b32 s6, s6, exec_lo
.LBB63_47:                              ;   in Loop: Header=BB63_39 Depth=2
	s_and_not1_saveexec_b32 s5, s5
	s_cbranch_execz .LBB63_38
; %bb.48:                               ;   in Loop: Header=BB63_39 Depth=2
	v_lshlrev_b32_e32 v10, 3, v9
	s_and_not1_b32 s6, s6, exec_lo
	s_delay_alu instid0(VALU_DEP_1)
	v_add3_u32 v10, 0, v10, 0x20000
	ds_add_f32 v10, v3
	ds_add_f32 v10, v4 offset:4
	s_branch .LBB63_38
.LBB63_49:
	s_or_b32 exec_lo, exec_lo, s1
.LBB63_50:
	v_mbcnt_lo_u32_b32 v1, -1, 0
	s_add_i32 s36, 0, 0x6003c
	s_delay_alu instid0(SALU_CYCLE_1) | instskip(SKIP_1) | instid1(VALU_DEP_3)
	v_dual_mov_b32 v9, s36 :: v_dual_lshlrev_b32 v2, 2, v8
	v_cmp_eq_u32_e32 vcc_lo, 0x3ff, v0
	v_xor_b32_e32 v1, 63, v1
	v_cmp_lt_u32_e64 s0, 63, v0
	s_delay_alu instid0(VALU_DEP_4)
	v_add3_u32 v4, 0, 0x60000, v2
	v_cmp_lt_u32_e64 s1, 0x7f, v0
	v_cmp_lt_u32_e64 s2, 0xbf, v0
	v_lshrrev_b64 v[1:2], v1, -1
	v_cmp_lt_u32_e64 s3, 0xff, v0
	v_cmp_lt_u32_e64 s4, 0x13f, v0
	v_cmp_lt_u32_e64 s5, 0x17f, v0
	v_cmp_lt_u32_e64 s6, 0x1bf, v0
	v_cmp_lt_u32_e64 s7, 0x1ff, v0
	v_cmp_lt_u32_e64 s8, 0x23f, v0
	v_cmp_lt_u32_e64 s9, 0x27f, v0
	v_cmp_lt_u32_e64 s10, 0x2bf, v0
	v_cmp_lt_u32_e64 s11, 0x2ff, v0
	v_cmp_lt_u32_e64 s12, 0x33f, v0
	v_cmp_lt_u32_e64 s13, 0x37f, v0
	v_cmp_lt_u32_e64 s14, 0x3bf, v0
	v_add3_u32 v7, v7, 0, 0x20000
	v_mov_b32_e32 v8, 0
	s_mov_b32 s16, 0
	s_add_i32 s17, 0, 0x60000
	s_add_i32 s18, 0, 0x60004
	;; [unrolled: 1-line block ×15, first 2 shown]
	s_waitcnt lgkmcnt(0)
	s_barrier
	buffer_gl0_inv
	s_branch .LBB63_52
.LBB63_51:                              ;   in Loop: Header=BB63_52 Depth=1
	s_or_b32 exec_lo, exec_lo, s15
	s_waitcnt lgkmcnt(0)
	s_barrier
	buffer_gl0_inv
	ds_load_b32 v2, v9
	v_add_nc_u32_e32 v6, 0x400, v6
	v_add_nc_u32_e32 v7, 0x2000, v7
	;; [unrolled: 1-line block ×3, first 2 shown]
	s_delay_alu instid0(VALU_DEP_3) | instskip(NEXT) | instid1(VALU_DEP_1)
	v_cmp_lt_u32_e64 s15, 0x7bff, v6
	s_or_b32 s16, s15, s16
	s_waitcnt lgkmcnt(0)
	v_add_nc_u32_e32 v8, v2, v8
	s_and_not1_b32 exec_lo, exec_lo, s16
	s_cbranch_execz .LBB63_86
.LBB63_52:                              ; =>This Inner Loop Header: Depth=1
	ds_load_b32 v10, v5
	ds_load_2addr_b32 v[2:3], v7 offset1:1
	s_waitcnt lgkmcnt(0)
	s_barrier
	buffer_gl0_inv
	v_cmp_gt_i32_e64 s15, s33, v10
	s_delay_alu instid0(VALU_DEP_1) | instskip(NEXT) | instid1(SALU_CYCLE_1)
	s_bcnt1_i32_b32 s43, s15
	v_dual_mov_b32 v12, s43 :: v_dual_and_b32 v11, s15, v1
	s_delay_alu instid0(VALU_DEP_1)
	v_bcnt_u32_b32 v11, v11, 0
	ds_store_b32 v4, v12
	s_waitcnt lgkmcnt(0)
	s_barrier
	buffer_gl0_inv
	s_and_saveexec_b32 s43, s0
	s_cbranch_execnz .LBB63_69
; %bb.53:                               ;   in Loop: Header=BB63_52 Depth=1
	s_or_b32 exec_lo, exec_lo, s43
	s_and_saveexec_b32 s43, s1
	s_cbranch_execnz .LBB63_70
.LBB63_54:                              ;   in Loop: Header=BB63_52 Depth=1
	s_or_b32 exec_lo, exec_lo, s43
	s_and_saveexec_b32 s43, s2
	s_cbranch_execnz .LBB63_71
.LBB63_55:                              ;   in Loop: Header=BB63_52 Depth=1
	s_or_b32 exec_lo, exec_lo, s43
	s_and_saveexec_b32 s43, s3
	s_cbranch_execnz .LBB63_72
.LBB63_56:                              ;   in Loop: Header=BB63_52 Depth=1
	s_or_b32 exec_lo, exec_lo, s43
	s_and_saveexec_b32 s43, s4
	s_cbranch_execnz .LBB63_73
.LBB63_57:                              ;   in Loop: Header=BB63_52 Depth=1
	s_or_b32 exec_lo, exec_lo, s43
	s_and_saveexec_b32 s43, s5
	s_cbranch_execnz .LBB63_74
.LBB63_58:                              ;   in Loop: Header=BB63_52 Depth=1
	s_or_b32 exec_lo, exec_lo, s43
	s_and_saveexec_b32 s43, s6
	s_cbranch_execnz .LBB63_75
.LBB63_59:                              ;   in Loop: Header=BB63_52 Depth=1
	s_or_b32 exec_lo, exec_lo, s43
	s_and_saveexec_b32 s43, s7
	s_cbranch_execnz .LBB63_76
.LBB63_60:                              ;   in Loop: Header=BB63_52 Depth=1
	s_or_b32 exec_lo, exec_lo, s43
	s_and_saveexec_b32 s43, s8
	s_cbranch_execnz .LBB63_77
.LBB63_61:                              ;   in Loop: Header=BB63_52 Depth=1
	s_or_b32 exec_lo, exec_lo, s43
	s_and_saveexec_b32 s43, s9
	s_cbranch_execnz .LBB63_78
.LBB63_62:                              ;   in Loop: Header=BB63_52 Depth=1
	s_or_b32 exec_lo, exec_lo, s43
	s_and_saveexec_b32 s43, s10
	s_cbranch_execnz .LBB63_79
.LBB63_63:                              ;   in Loop: Header=BB63_52 Depth=1
	s_or_b32 exec_lo, exec_lo, s43
	s_and_saveexec_b32 s43, s11
	s_cbranch_execnz .LBB63_80
.LBB63_64:                              ;   in Loop: Header=BB63_52 Depth=1
	s_or_b32 exec_lo, exec_lo, s43
	s_and_saveexec_b32 s43, s12
	s_cbranch_execnz .LBB63_81
.LBB63_65:                              ;   in Loop: Header=BB63_52 Depth=1
	s_or_b32 exec_lo, exec_lo, s43
	s_and_saveexec_b32 s43, s13
	s_cbranch_execnz .LBB63_82
.LBB63_66:                              ;   in Loop: Header=BB63_52 Depth=1
	s_or_b32 exec_lo, exec_lo, s43
	s_and_saveexec_b32 s43, s14
	s_cbranch_execnz .LBB63_83
.LBB63_67:                              ;   in Loop: Header=BB63_52 Depth=1
	s_or_b32 exec_lo, exec_lo, s43
	s_and_saveexec_b32 s43, s15
	s_cbranch_execnz .LBB63_84
.LBB63_68:                              ;   in Loop: Header=BB63_52 Depth=1
	s_or_b32 exec_lo, exec_lo, s43
	s_and_saveexec_b32 s15, vcc_lo
	s_cbranch_execz .LBB63_51
	s_branch .LBB63_85
.LBB63_69:                              ;   in Loop: Header=BB63_52 Depth=1
	v_mov_b32_e32 v12, s17
	ds_load_b32 v12, v12
	s_waitcnt lgkmcnt(0)
	v_add_nc_u32_e32 v11, v12, v11
	s_or_b32 exec_lo, exec_lo, s43
	s_and_saveexec_b32 s43, s1
	s_cbranch_execz .LBB63_54
.LBB63_70:                              ;   in Loop: Header=BB63_52 Depth=1
	v_mov_b32_e32 v12, s18
	ds_load_b32 v12, v12
	s_waitcnt lgkmcnt(0)
	v_add_nc_u32_e32 v11, v12, v11
	s_or_b32 exec_lo, exec_lo, s43
	s_and_saveexec_b32 s43, s2
	s_cbranch_execz .LBB63_55
.LBB63_71:                              ;   in Loop: Header=BB63_52 Depth=1
	v_mov_b32_e32 v12, s19
	ds_load_b32 v12, v12
	s_waitcnt lgkmcnt(0)
	v_add_nc_u32_e32 v11, v12, v11
	s_or_b32 exec_lo, exec_lo, s43
	s_and_saveexec_b32 s43, s3
	s_cbranch_execz .LBB63_56
.LBB63_72:                              ;   in Loop: Header=BB63_52 Depth=1
	v_mov_b32_e32 v12, s24
	ds_load_b32 v12, v12
	s_waitcnt lgkmcnt(0)
	v_add_nc_u32_e32 v11, v12, v11
	s_or_b32 exec_lo, exec_lo, s43
	s_and_saveexec_b32 s43, s4
	s_cbranch_execz .LBB63_57
.LBB63_73:                              ;   in Loop: Header=BB63_52 Depth=1
	v_mov_b32_e32 v12, s25
	ds_load_b32 v12, v12
	s_waitcnt lgkmcnt(0)
	v_add_nc_u32_e32 v11, v12, v11
	s_or_b32 exec_lo, exec_lo, s43
	s_and_saveexec_b32 s43, s5
	s_cbranch_execz .LBB63_58
.LBB63_74:                              ;   in Loop: Header=BB63_52 Depth=1
	v_mov_b32_e32 v12, s26
	ds_load_b32 v12, v12
	s_waitcnt lgkmcnt(0)
	v_add_nc_u32_e32 v11, v12, v11
	s_or_b32 exec_lo, exec_lo, s43
	s_and_saveexec_b32 s43, s6
	s_cbranch_execz .LBB63_59
.LBB63_75:                              ;   in Loop: Header=BB63_52 Depth=1
	v_mov_b32_e32 v12, s27
	ds_load_b32 v12, v12
	s_waitcnt lgkmcnt(0)
	v_add_nc_u32_e32 v11, v12, v11
	s_or_b32 exec_lo, exec_lo, s43
	s_and_saveexec_b32 s43, s7
	s_cbranch_execz .LBB63_60
.LBB63_76:                              ;   in Loop: Header=BB63_52 Depth=1
	v_mov_b32_e32 v12, s28
	ds_load_b32 v12, v12
	s_waitcnt lgkmcnt(0)
	v_add_nc_u32_e32 v11, v12, v11
	s_or_b32 exec_lo, exec_lo, s43
	s_and_saveexec_b32 s43, s8
	s_cbranch_execz .LBB63_61
.LBB63_77:                              ;   in Loop: Header=BB63_52 Depth=1
	v_mov_b32_e32 v12, s29
	ds_load_b32 v12, v12
	s_waitcnt lgkmcnt(0)
	v_add_nc_u32_e32 v11, v12, v11
	s_or_b32 exec_lo, exec_lo, s43
	s_and_saveexec_b32 s43, s9
	s_cbranch_execz .LBB63_62
.LBB63_78:                              ;   in Loop: Header=BB63_52 Depth=1
	v_mov_b32_e32 v12, s30
	ds_load_b32 v12, v12
	s_waitcnt lgkmcnt(0)
	v_add_nc_u32_e32 v11, v12, v11
	s_or_b32 exec_lo, exec_lo, s43
	s_and_saveexec_b32 s43, s10
	s_cbranch_execz .LBB63_63
.LBB63_79:                              ;   in Loop: Header=BB63_52 Depth=1
	v_mov_b32_e32 v12, s31
	ds_load_b32 v12, v12
	s_waitcnt lgkmcnt(0)
	v_add_nc_u32_e32 v11, v12, v11
	s_or_b32 exec_lo, exec_lo, s43
	s_and_saveexec_b32 s43, s11
	s_cbranch_execz .LBB63_64
.LBB63_80:                              ;   in Loop: Header=BB63_52 Depth=1
	v_mov_b32_e32 v12, s37
	ds_load_b32 v12, v12
	s_waitcnt lgkmcnt(0)
	v_add_nc_u32_e32 v11, v12, v11
	s_or_b32 exec_lo, exec_lo, s43
	s_and_saveexec_b32 s43, s12
	s_cbranch_execz .LBB63_65
.LBB63_81:                              ;   in Loop: Header=BB63_52 Depth=1
	v_mov_b32_e32 v12, s39
	ds_load_b32 v12, v12
	s_waitcnt lgkmcnt(0)
	v_add_nc_u32_e32 v11, v12, v11
	s_or_b32 exec_lo, exec_lo, s43
	s_and_saveexec_b32 s43, s13
	s_cbranch_execz .LBB63_66
.LBB63_82:                              ;   in Loop: Header=BB63_52 Depth=1
	v_mov_b32_e32 v12, s41
	ds_load_b32 v12, v12
	s_waitcnt lgkmcnt(0)
	v_add_nc_u32_e32 v11, v12, v11
	s_or_b32 exec_lo, exec_lo, s43
	s_and_saveexec_b32 s43, s14
	s_cbranch_execz .LBB63_67
.LBB63_83:                              ;   in Loop: Header=BB63_52 Depth=1
	v_mov_b32_e32 v12, s42
	ds_load_b32 v12, v12
	s_waitcnt lgkmcnt(0)
	v_add_nc_u32_e32 v11, v12, v11
	s_or_b32 exec_lo, exec_lo, s43
	s_and_saveexec_b32 s43, s15
	s_cbranch_execz .LBB63_68
.LBB63_84:                              ;   in Loop: Header=BB63_52 Depth=1
	s_delay_alu instid0(VALU_DEP_1) | instskip(NEXT) | instid1(VALU_DEP_1)
	v_add3_u32 v12, v8, -1, v11
	v_lshlrev_b32_e32 v13, 3, v12
	v_lshl_add_u32 v12, v12, 2, 0
	s_delay_alu instid0(VALU_DEP_2)
	v_add3_u32 v13, 0, v13, 0x20000
	ds_store_b32 v12, v10
	ds_store_2addr_b32 v13, v2, v3 offset1:1
	s_or_b32 exec_lo, exec_lo, s43
	s_and_saveexec_b32 s15, vcc_lo
	s_cbranch_execz .LBB63_51
.LBB63_85:                              ;   in Loop: Header=BB63_52 Depth=1
	v_mov_b32_e32 v2, s36
	ds_store_b32 v2, v11
	s_branch .LBB63_51
.LBB63_86:
	s_or_b32 exec_lo, exec_lo, s16
	s_ashr_i32 s41, s40, 31
	s_mov_b32 s3, exec_lo
	s_lshl_b64 s[0:1], s[40:41], 2
	s_delay_alu instid0(SALU_CYCLE_1) | instskip(SKIP_4) | instid1(SALU_CYCLE_1)
	s_add_u32 s0, s20, s0
	s_addc_u32 s1, s21, s1
	s_load_b64 s[0:1], s[0:1], 0x0
	s_waitcnt lgkmcnt(0)
	s_sub_i32 s2, s1, s0
	v_cmpx_gt_i32_e64 s2, v0
	s_cbranch_execz .LBB63_96
; %bb.87:
	s_sub_i32 s3, s0, s38
	s_sub_i32 s0, s0, s1
	s_and_b32 s1, s2, 7
	s_cmp_lt_u32 s0, -7
	s_mov_b32 s7, 0
	s_cselect_b32 s4, -1, 0
	s_and_b32 s5, s2, -8
	s_cmp_lg_u32 s1, 0
	s_cselect_b32 s6, -1, 0
	s_branch .LBB63_89
.LBB63_88:                              ;   in Loop: Header=BB63_89 Depth=1
	s_delay_alu instid0(VALU_DEP_1) | instskip(SKIP_3) | instid1(VALU_DEP_3)
	v_ashrrev_i32_e32 v4, 31, v3
	v_add_nc_u32_e32 v0, 0x400, v0
	s_waitcnt lgkmcnt(1)
	v_add_nc_u32_e32 v8, s38, v5
	v_lshlrev_b64 v[6:7], 2, v[3:4]
	v_lshlrev_b64 v[3:4], 3, v[3:4]
	v_cmp_le_i32_e32 vcc_lo, s2, v0
	s_delay_alu instid0(VALU_DEP_3) | instskip(NEXT) | instid1(VALU_DEP_1)
	v_add_co_u32 v5, s0, s22, v6
	v_add_co_ci_u32_e64 v6, s0, s23, v7, s0
	s_delay_alu instid0(VALU_DEP_4) | instskip(NEXT) | instid1(VALU_DEP_1)
	v_add_co_u32 v3, s0, s34, v3
	v_add_co_ci_u32_e64 v4, s0, s35, v4, s0
	s_or_b32 s7, vcc_lo, s7
	global_store_b32 v[5:6], v8, off
	s_waitcnt lgkmcnt(0)
	global_store_b64 v[3:4], v[1:2], off
	s_and_not1_b32 exec_lo, exec_lo, s7
	s_cbranch_execz .LBB63_96
.LBB63_89:                              ; =>This Loop Header: Depth=1
                                        ;     Child Loop BB63_91 Depth 2
                                        ;     Child Loop BB63_95 Depth 2
	v_lshlrev_b32_e32 v1, 3, v0
	v_lshl_add_u32 v2, v0, 2, 0
	v_mov_b32_e32 v3, s3
	s_and_not1_b32 vcc_lo, exec_lo, s4
	s_mov_b32 s0, 0
	v_add3_u32 v1, 0, v1, 0x20000
	ds_load_b32 v5, v2
	ds_load_2addr_b32 v[1:2], v1 offset1:1
	s_cbranch_vccnz .LBB63_93
; %bb.90:                               ;   in Loop: Header=BB63_89 Depth=1
	v_mov_b32_e32 v3, s3
	s_mov_b32 s8, 0
	s_set_inst_prefetch_distance 0x1
	.p2align	6
.LBB63_91:                              ;   Parent Loop BB63_89 Depth=1
                                        ; =>  This Inner Loop Header: Depth=2
	v_mov_b32_e32 v4, s8
	s_add_i32 s0, s0, 8
	s_add_i32 s8, s8, 32
	s_cmp_eq_u32 s5, s0
	ds_load_2addr_b32 v[6:7], v4 offset1:1
	ds_load_2addr_b32 v[8:9], v4 offset0:2 offset1:3
	ds_load_2addr_b32 v[10:11], v4 offset0:4 offset1:5
	;; [unrolled: 1-line block ×3, first 2 shown]
	s_waitcnt lgkmcnt(3)
	v_cmp_gt_i32_e32 vcc_lo, v5, v6
	v_cndmask_b32_e64 v4, 0, 1, vcc_lo
	s_waitcnt lgkmcnt(2)
	v_cmp_gt_i32_e32 vcc_lo, v5, v8
	v_cndmask_b32_e64 v6, 0, 1, vcc_lo
	v_cmp_gt_i32_e32 vcc_lo, v5, v7
	v_add_co_ci_u32_e32 v3, vcc_lo, v3, v4, vcc_lo
	s_waitcnt lgkmcnt(1)
	v_cmp_gt_i32_e32 vcc_lo, v5, v10
	v_cndmask_b32_e64 v4, 0, 1, vcc_lo
	v_cmp_gt_i32_e32 vcc_lo, v5, v9
	v_add_co_ci_u32_e32 v3, vcc_lo, v3, v6, vcc_lo
	;; [unrolled: 5-line block ×3, first 2 shown]
	v_cmp_gt_i32_e32 vcc_lo, v5, v13
	s_delay_alu instid0(VALU_DEP_2)
	v_add_co_ci_u32_e32 v3, vcc_lo, v3, v6, vcc_lo
	s_cbranch_scc0 .LBB63_91
; %bb.92:                               ;   in Loop: Header=BB63_89 Depth=1
	s_set_inst_prefetch_distance 0x2
	s_mov_b32 s0, s5
.LBB63_93:                              ;   in Loop: Header=BB63_89 Depth=1
	s_and_not1_b32 vcc_lo, exec_lo, s6
	s_cbranch_vccnz .LBB63_88
; %bb.94:                               ;   in Loop: Header=BB63_89 Depth=1
	s_lshl_b32 s0, s0, 2
	s_mov_b32 s8, s1
	s_add_i32 s0, s0, 0
.LBB63_95:                              ;   Parent Loop BB63_89 Depth=1
                                        ; =>  This Inner Loop Header: Depth=2
	s_delay_alu instid0(SALU_CYCLE_1)
	v_mov_b32_e32 v4, s0
	s_add_i32 s8, s8, -1
	s_add_i32 s0, s0, 4
	s_cmp_lg_u32 s8, 0
	ds_load_b32 v4, v4
	s_waitcnt lgkmcnt(0)
	v_cmp_gt_i32_e32 vcc_lo, v5, v4
	v_add_co_ci_u32_e32 v3, vcc_lo, 0, v3, vcc_lo
	s_cbranch_scc1 .LBB63_95
	s_branch .LBB63_88
.LBB63_96:
	s_nop 0
	s_sendmsg sendmsg(MSG_DEALLOC_VGPRS)
	s_endpgm
	.section	.rodata,"a",@progbits
	.p2align	6, 0x0
	.amdhsa_kernel _ZN9rocsparseL26csrgemm_fill_block_per_rowILj1024ELj64ELj32768ELj137ELj64Eii21rocsparse_complex_numIfEEEvT5_PKS3_S5_NS_24const_host_device_scalarIT6_EEPKT4_S5_PKS7_SB_S5_SD_S8_SB_S5_SD_SB_PS3_PS7_21rocsparse_index_base_SG_SG_SG_bbb
		.amdhsa_group_segment_fixed_size 0
		.amdhsa_private_segment_fixed_size 0
		.amdhsa_kernarg_size 156
		.amdhsa_user_sgpr_count 15
		.amdhsa_user_sgpr_dispatch_ptr 0
		.amdhsa_user_sgpr_queue_ptr 0
		.amdhsa_user_sgpr_kernarg_segment_ptr 1
		.amdhsa_user_sgpr_dispatch_id 0
		.amdhsa_user_sgpr_private_segment_size 0
		.amdhsa_wavefront_size32 1
		.amdhsa_uses_dynamic_stack 0
		.amdhsa_enable_private_segment 0
		.amdhsa_system_sgpr_workgroup_id_x 1
		.amdhsa_system_sgpr_workgroup_id_y 0
		.amdhsa_system_sgpr_workgroup_id_z 0
		.amdhsa_system_sgpr_workgroup_info 0
		.amdhsa_system_vgpr_workitem_id 0
		.amdhsa_next_free_vgpr 17
		.amdhsa_next_free_sgpr 45
		.amdhsa_reserve_vcc 1
		.amdhsa_float_round_mode_32 0
		.amdhsa_float_round_mode_16_64 0
		.amdhsa_float_denorm_mode_32 3
		.amdhsa_float_denorm_mode_16_64 3
		.amdhsa_dx10_clamp 1
		.amdhsa_ieee_mode 1
		.amdhsa_fp16_overflow 0
		.amdhsa_workgroup_processor_mode 1
		.amdhsa_memory_ordered 1
		.amdhsa_forward_progress 0
		.amdhsa_shared_vgpr_count 0
		.amdhsa_exception_fp_ieee_invalid_op 0
		.amdhsa_exception_fp_denorm_src 0
		.amdhsa_exception_fp_ieee_div_zero 0
		.amdhsa_exception_fp_ieee_overflow 0
		.amdhsa_exception_fp_ieee_underflow 0
		.amdhsa_exception_fp_ieee_inexact 0
		.amdhsa_exception_int_div_zero 0
	.end_amdhsa_kernel
	.section	.text._ZN9rocsparseL26csrgemm_fill_block_per_rowILj1024ELj64ELj32768ELj137ELj64Eii21rocsparse_complex_numIfEEEvT5_PKS3_S5_NS_24const_host_device_scalarIT6_EEPKT4_S5_PKS7_SB_S5_SD_S8_SB_S5_SD_SB_PS3_PS7_21rocsparse_index_base_SG_SG_SG_bbb,"axG",@progbits,_ZN9rocsparseL26csrgemm_fill_block_per_rowILj1024ELj64ELj32768ELj137ELj64Eii21rocsparse_complex_numIfEEEvT5_PKS3_S5_NS_24const_host_device_scalarIT6_EEPKT4_S5_PKS7_SB_S5_SD_S8_SB_S5_SD_SB_PS3_PS7_21rocsparse_index_base_SG_SG_SG_bbb,comdat
.Lfunc_end63:
	.size	_ZN9rocsparseL26csrgemm_fill_block_per_rowILj1024ELj64ELj32768ELj137ELj64Eii21rocsparse_complex_numIfEEEvT5_PKS3_S5_NS_24const_host_device_scalarIT6_EEPKT4_S5_PKS7_SB_S5_SD_S8_SB_S5_SD_SB_PS3_PS7_21rocsparse_index_base_SG_SG_SG_bbb, .Lfunc_end63-_ZN9rocsparseL26csrgemm_fill_block_per_rowILj1024ELj64ELj32768ELj137ELj64Eii21rocsparse_complex_numIfEEEvT5_PKS3_S5_NS_24const_host_device_scalarIT6_EEPKT4_S5_PKS7_SB_S5_SD_S8_SB_S5_SD_SB_PS3_PS7_21rocsparse_index_base_SG_SG_SG_bbb
                                        ; -- End function
	.section	.AMDGPU.csdata,"",@progbits
; Kernel info:
; codeLenInByte = 3612
; NumSgprs: 47
; NumVgprs: 17
; ScratchSize: 0
; MemoryBound: 0
; FloatMode: 240
; IeeeMode: 1
; LDSByteSize: 0 bytes/workgroup (compile time only)
; SGPRBlocks: 5
; VGPRBlocks: 2
; NumSGPRsForWavesPerEU: 47
; NumVGPRsForWavesPerEU: 17
; Occupancy: 16
; WaveLimiterHint : 1
; COMPUTE_PGM_RSRC2:SCRATCH_EN: 0
; COMPUTE_PGM_RSRC2:USER_SGPR: 15
; COMPUTE_PGM_RSRC2:TRAP_HANDLER: 0
; COMPUTE_PGM_RSRC2:TGID_X_EN: 1
; COMPUTE_PGM_RSRC2:TGID_Y_EN: 0
; COMPUTE_PGM_RSRC2:TGID_Z_EN: 0
; COMPUTE_PGM_RSRC2:TIDIG_COMP_CNT: 0
	.section	.text._ZN9rocsparseL36csrgemm_fill_block_per_row_multipassILj512ELj16ELj2048ELj32Eii21rocsparse_complex_numIfEEEvT4_PKS3_S5_NS_24const_host_device_scalarIT5_EEPKT3_S5_PKS7_SB_S5_SD_S8_SB_S5_SD_SB_PS3_PS7_PS9_21rocsparse_index_base_SH_SH_SH_bbb,"axG",@progbits,_ZN9rocsparseL36csrgemm_fill_block_per_row_multipassILj512ELj16ELj2048ELj32Eii21rocsparse_complex_numIfEEEvT4_PKS3_S5_NS_24const_host_device_scalarIT5_EEPKT3_S5_PKS7_SB_S5_SD_S8_SB_S5_SD_SB_PS3_PS7_PS9_21rocsparse_index_base_SH_SH_SH_bbb,comdat
	.globl	_ZN9rocsparseL36csrgemm_fill_block_per_row_multipassILj512ELj16ELj2048ELj32Eii21rocsparse_complex_numIfEEEvT4_PKS3_S5_NS_24const_host_device_scalarIT5_EEPKT3_S5_PKS7_SB_S5_SD_S8_SB_S5_SD_SB_PS3_PS7_PS9_21rocsparse_index_base_SH_SH_SH_bbb ; -- Begin function _ZN9rocsparseL36csrgemm_fill_block_per_row_multipassILj512ELj16ELj2048ELj32Eii21rocsparse_complex_numIfEEEvT4_PKS3_S5_NS_24const_host_device_scalarIT5_EEPKT3_S5_PKS7_SB_S5_SD_S8_SB_S5_SD_SB_PS3_PS7_PS9_21rocsparse_index_base_SH_SH_SH_bbb
	.p2align	8
	.type	_ZN9rocsparseL36csrgemm_fill_block_per_row_multipassILj512ELj16ELj2048ELj32Eii21rocsparse_complex_numIfEEEvT4_PKS3_S5_NS_24const_host_device_scalarIT5_EEPKT3_S5_PKS7_SB_S5_SD_S8_SB_S5_SD_SB_PS3_PS7_PS9_21rocsparse_index_base_SH_SH_SH_bbb,@function
_ZN9rocsparseL36csrgemm_fill_block_per_row_multipassILj512ELj16ELj2048ELj32Eii21rocsparse_complex_numIfEEEvT4_PKS3_S5_NS_24const_host_device_scalarIT5_EEPKT3_S5_PKS7_SB_S5_SD_S8_SB_S5_SD_SB_PS3_PS7_PS9_21rocsparse_index_base_SH_SH_SH_bbb: ; @_ZN9rocsparseL36csrgemm_fill_block_per_row_multipassILj512ELj16ELj2048ELj32Eii21rocsparse_complex_numIfEEEvT4_PKS3_S5_NS_24const_host_device_scalarIT5_EEPKT3_S5_PKS7_SB_S5_SD_S8_SB_S5_SD_SB_PS3_PS7_PS9_21rocsparse_index_base_SH_SH_SH_bbb
; %bb.0:
	s_clause 0x5
	s_load_b32 s3, s[0:1], 0xa0
	s_load_b256 s[24:31], s[0:1], 0x80
	s_load_b256 s[36:43], s[0:1], 0x60
	;; [unrolled: 1-line block ×3, first 2 shown]
	s_load_b128 s[4:7], s[0:1], 0x8
	s_load_b256 s[52:59], s[0:1], 0x20
	s_mov_b32 s21, 0
	s_mov_b32 s33, 0
	s_waitcnt lgkmcnt(0)
	s_bitcmp1_b32 s3, 0
	s_cselect_b32 s18, -1, 0
	s_bitcmp1_b32 s3, 16
	s_cselect_b32 s2, -1, 0
	s_delay_alu instid0(SALU_CYCLE_1)
	s_xor_b32 s2, s2, -1
	s_bitcmp0_b32 s3, 0
	s_cbranch_scc1 .LBB64_5
; %bb.1:
	s_load_b64 s[20:21], s[0:1], 0x18
	s_and_not1_b32 vcc_lo, exec_lo, s2
	s_waitcnt lgkmcnt(0)
	s_mov_b32 s33, s20
	s_cbranch_vccnz .LBB64_3
; %bb.2:
	s_load_b32 s33, s[20:21], 0x0
.LBB64_3:
	s_and_not1_b32 vcc_lo, exec_lo, s2
	s_cbranch_vccnz .LBB64_5
; %bb.4:
	s_load_b32 s21, s[20:21], 0x4
.LBB64_5:
	s_bitcmp1_b32 s3, 8
	s_mov_b32 s62, 0
	s_cselect_b32 s60, -1, 0
	s_bfe_u32 s3, s3, 0x10008
	s_mov_b32 s61, 0
	s_cmp_eq_u32 s3, 0
	s_cbranch_scc1 .LBB64_11
; %bb.6:
	v_cndmask_b32_e64 v1, 0, 1, s2
	s_and_not1_b32 vcc_lo, exec_lo, s2
	s_mov_b32 s61, s48
	s_cbranch_vccnz .LBB64_8
; %bb.7:
	s_load_b32 s61, s[48:49], 0x0
.LBB64_8:
	s_delay_alu instid0(VALU_DEP_1)
	v_cmp_ne_u32_e32 vcc_lo, 1, v1
	s_cbranch_vccnz .LBB64_10
; %bb.9:
	s_load_b32 s49, s[48:49], 0x4
.LBB64_10:
	s_waitcnt lgkmcnt(0)
	s_mov_b32 s62, s49
.LBB64_11:
	s_load_b32 s2, s[4:5], 0x0
	s_mov_b32 s23, 0
	s_mov_b32 s4, 0
	s_waitcnt lgkmcnt(0)
	s_add_i32 s22, s2, s15
	s_delay_alu instid0(SALU_CYCLE_1) | instskip(NEXT) | instid1(SALU_CYCLE_1)
	s_lshl_b64 s[2:3], s[22:23], 2
	s_add_u32 s2, s6, s2
	s_addc_u32 s3, s7, s3
	s_and_not1_b32 vcc_lo, exec_lo, s18
	s_load_b32 s2, s[2:3], 0x0
	s_cbranch_vccz .LBB64_14
; %bb.12:
	s_and_not1_b32 vcc_lo, exec_lo, s18
	s_cbranch_vccz .LBB64_15
.LBB64_13:
	s_load_b32 s22, s[0:1], 0x0
	s_waitcnt lgkmcnt(0)
	s_cmp_lt_i32 s22, 1
	s_cbranch_scc0 .LBB64_16
	s_branch .LBB64_69
.LBB64_14:
	s_waitcnt lgkmcnt(0)
	s_ashr_i32 s3, s2, 31
	s_delay_alu instid0(SALU_CYCLE_1) | instskip(NEXT) | instid1(SALU_CYCLE_1)
	s_lshl_b64 s[4:5], s[2:3], 2
	s_add_u32 s4, s52, s4
	s_addc_u32 s5, s53, s5
	s_load_b32 s3, s[4:5], 0x0
	s_waitcnt lgkmcnt(0)
	s_sub_i32 s4, s3, s28
	s_and_not1_b32 vcc_lo, exec_lo, s18
	s_cbranch_vccnz .LBB64_13
.LBB64_15:
	s_waitcnt lgkmcnt(0)
	s_ashr_i32 s3, s2, 31
	s_delay_alu instid0(SALU_CYCLE_1) | instskip(NEXT) | instid1(SALU_CYCLE_1)
	s_lshl_b64 s[6:7], s[2:3], 2
	s_add_u32 s6, s52, s6
	s_addc_u32 s7, s53, s7
	s_load_b32 s3, s[6:7], 0x4
	s_waitcnt lgkmcnt(0)
	s_sub_i32 s23, s3, s28
	s_load_b32 s22, s[0:1], 0x0
	s_waitcnt lgkmcnt(0)
	s_cmp_lt_i32 s22, 1
	s_cbranch_scc1 .LBB64_69
.LBB64_16:
	v_lshrrev_b32_e32 v1, 4, v0
	v_mbcnt_lo_u32_b32 v2, -1, 0
	s_ashr_i32 s3, s2, 31
	v_dual_mov_b32 v25, 0x800 :: v_dual_and_b32 v12, 15, v0
	s_delay_alu instid0(VALU_DEP_3) | instskip(NEXT) | instid1(VALU_DEP_3)
	v_add_nc_u32_e32 v14, s4, v1
	v_xor_b32_e32 v1, 8, v2
	s_lshl_b64 s[6:7], s[2:3], 2
	v_xor_b32_e32 v3, 4, v2
	v_xor_b32_e32 v4, 2, v2
	s_add_u32 s0, s40, s6
	v_cmp_gt_i32_e64 s2, 32, v1
	v_xor_b32_e32 v5, 1, v2
	s_addc_u32 s1, s41, s7
	v_xor_b32_e32 v6, 63, v2
	s_load_b32 s3, s[0:1], 0x0
	v_cndmask_b32_e64 v1, v2, v1, s2
	v_cmp_gt_i32_e64 s2, 32, v3
	v_cmp_eq_u32_e64 s0, 0, v0
	v_subrev_nc_u32_e32 v13, s31, v0
	v_cmp_eq_u32_e64 s1, 15, v12
	v_lshlrev_b32_e32 v15, 2, v1
	v_cndmask_b32_e64 v3, v2, v3, s2
	v_cmp_gt_i32_e64 s2, 32, v4
	v_cmp_gt_u32_e64 s4, 64, v0
	v_cmp_gt_u32_e64 s5, 0x60, v0
	;; [unrolled: 1-line block ×3, first 2 shown]
	v_dual_mov_b32 v23, 1 :: v_dual_lshlrev_b32 v16, 2, v3
	v_cndmask_b32_e64 v4, v2, v4, s2
	v_cmp_gt_i32_e64 s2, 32, v5
	v_cmp_gt_u32_e64 s9, 0xe0, v0
	v_cmp_gt_u32_e64 s10, 0x100, v0
	;; [unrolled: 1-line block ×4, first 2 shown]
	v_cndmask_b32_e64 v2, v2, v5, s2
	v_lshrrev_b32_e32 v5, 3, v0
	s_waitcnt lgkmcnt(0)
	s_sub_i32 s19, s3, s30
	s_add_u32 s34, s50, s6
	s_addc_u32 s35, s51, s7
	v_lshlrev_b32_e32 v18, 2, v2
	v_lshrrev_b64 v[1:2], v6, -1
	v_dual_mov_b32 v2, 0 :: v_dual_lshlrev_b32 v17, 2, v4
	v_dual_mov_b32 v22, s19 :: v_dual_and_b32 v19, 60, v5
	v_cmp_eq_u32_e64 s2, 0x1ff, v0
	s_delay_alu instid0(VALU_DEP_3)
	v_mov_b32_e32 v24, v2
	v_mov_b32_e32 v3, v2
	v_cmp_gt_i32_e32 vcc_lo, s23, v14
	v_cmp_gt_u32_e64 s3, 32, v0
	v_cmp_gt_u32_e64 s6, 0x80, v0
	;; [unrolled: 1-line block ×8, first 2 shown]
	v_or_b32_e32 v20, 0xfffffe00, v0
	v_lshlrev_b32_e32 v21, 3, v0
	s_and_b32 s40, s18, vcc_lo
	s_add_u32 s41, s58, 4
	s_addc_u32 s48, s59, 0
	s_branch .LBB64_18
.LBB64_17:                              ;   in Loop: Header=BB64_18 Depth=1
	s_or_b32 exec_lo, exec_lo, s18
	ds_load_b32 v24, v2 offset:18432
	s_waitcnt lgkmcnt(0)
	s_barrier
	buffer_gl0_inv
	v_cmp_le_i32_e32 vcc_lo, s22, v24
	v_add_nc_u32_e32 v25, 0x800, v24
	s_cbranch_vccnz .LBB64_69
.LBB64_18:                              ; =>This Loop Header: Depth=1
                                        ;     Child Loop BB64_19 Depth 2
                                        ;     Child Loop BB64_25 Depth 2
                                        ;       Child Loop BB64_31 Depth 3
                                        ;     Child Loop BB64_48 Depth 2
                                        ;     Child Loop BB64_60 Depth 2
	;; [unrolled: 1-line block ×3, first 2 shown]
	v_dual_mov_b32 v4, v21 :: v_dual_mov_b32 v5, v20
	s_mov_b32 s18, 0
.LBB64_19:                              ;   Parent Loop BB64_18 Depth=1
                                        ; =>  This Inner Loop Header: Depth=2
	ds_store_b8 v5, v2 offset:16896
	v_add_nc_u32_e32 v5, 0x200, v5
	ds_store_b64 v4, v[2:3]
	v_add_nc_u32_e32 v4, 0x1000, v4
	v_cmp_lt_u32_e32 vcc_lo, 0x5ff, v5
	s_or_b32 s18, vcc_lo, s18
	s_delay_alu instid0(SALU_CYCLE_1)
	s_and_not1_b32 exec_lo, exec_lo, s18
	s_cbranch_execnz .LBB64_19
; %bb.20:                               ;   in Loop: Header=BB64_18 Depth=1
	s_or_b32 exec_lo, exec_lo, s18
	s_and_saveexec_b32 s18, s0
	s_cbranch_execz .LBB64_22
; %bb.21:                               ;   in Loop: Header=BB64_18 Depth=1
	v_mov_b32_e32 v4, s22
	ds_store_b32 v2, v4 offset:18432
.LBB64_22:                              ;   in Loop: Header=BB64_18 Depth=1
	s_or_b32 exec_lo, exec_lo, s18
	v_mov_b32_e32 v26, s22
	s_waitcnt lgkmcnt(0)
	s_barrier
	buffer_gl0_inv
	s_and_saveexec_b32 s49, s40
	s_cbranch_execz .LBB64_44
; %bb.23:                               ;   in Loop: Header=BB64_18 Depth=1
	v_cmp_ne_u32_e64 s18, 0, v24
	v_mov_b32_e32 v26, s22
	v_mov_b32_e32 v4, v14
	s_mov_b32 s50, 0
	s_branch .LBB64_25
.LBB64_24:                              ;   in Loop: Header=BB64_25 Depth=2
	s_or_b32 exec_lo, exec_lo, s19
	v_add_nc_u32_e32 v4, 32, v4
	s_delay_alu instid0(VALU_DEP_1) | instskip(SKIP_1) | instid1(SALU_CYCLE_1)
	v_cmp_le_i32_e32 vcc_lo, s23, v4
	s_or_b32 s50, vcc_lo, s50
	s_and_not1_b32 exec_lo, exec_lo, s50
	s_cbranch_execz .LBB64_43
.LBB64_25:                              ;   Parent Loop BB64_18 Depth=1
                                        ; =>  This Loop Header: Depth=2
                                        ;       Child Loop BB64_31 Depth 3
	s_delay_alu instid0(VALU_DEP_1) | instskip(NEXT) | instid1(VALU_DEP_1)
	v_ashrrev_i32_e32 v5, 31, v4
	v_lshlrev_b64 v[6:7], 2, v[4:5]
	v_lshlrev_b64 v[10:11], 3, v[4:5]
	s_waitcnt lgkmcnt(0)
	s_delay_alu instid0(VALU_DEP_2) | instskip(NEXT) | instid1(VALU_DEP_3)
	v_add_co_u32 v8, vcc_lo, s54, v6
	v_add_co_ci_u32_e32 v9, vcc_lo, s55, v7, vcc_lo
	global_load_b32 v5, v[8:9], off
	v_add_co_u32 v8, vcc_lo, s56, v10
	v_add_co_ci_u32_e32 v9, vcc_lo, s57, v11, vcc_lo
	s_and_b32 vcc_lo, exec_lo, s18
	global_load_b64 v[8:9], v[8:9], off
	s_waitcnt vmcnt(1)
	v_subrev_nc_u32_e32 v10, s28, v5
	s_delay_alu instid0(VALU_DEP_1)
	v_ashrrev_i32_e32 v11, 31, v10
	s_cbranch_vccz .LBB64_42
; %bb.26:                               ;   in Loop: Header=BB64_25 Depth=2
	v_add_co_u32 v27, vcc_lo, s26, v6
	v_add_co_ci_u32_e32 v28, vcc_lo, s27, v7, vcc_lo
	global_load_b32 v5, v[27:28], off
	s_cbranch_execnz .LBB64_28
.LBB64_27:                              ;   in Loop: Header=BB64_25 Depth=2
	s_delay_alu instid0(VALU_DEP_1) | instskip(NEXT) | instid1(VALU_DEP_1)
	v_lshlrev_b64 v[27:28], 2, v[10:11]
	v_add_co_u32 v27, vcc_lo, s58, v27
	s_delay_alu instid0(VALU_DEP_2)
	v_add_co_ci_u32_e32 v28, vcc_lo, s59, v28, vcc_lo
	global_load_b32 v5, v[27:28], off
	s_waitcnt vmcnt(0)
	v_subrev_nc_u32_e32 v5, s29, v5
.LBB64_28:                              ;   in Loop: Header=BB64_25 Depth=2
	v_lshlrev_b64 v[10:11], 2, v[10:11]
	s_waitcnt vmcnt(0)
	s_delay_alu instid0(VALU_DEP_2) | instskip(SKIP_1) | instid1(VALU_DEP_2)
	v_add_nc_u32_e32 v5, v5, v12
	s_mov_b32 s51, exec_lo
	v_add_co_u32 v10, vcc_lo, s41, v10
	s_delay_alu instid0(VALU_DEP_3) | instskip(SKIP_3) | instid1(VALU_DEP_1)
	v_add_co_ci_u32_e32 v11, vcc_lo, s48, v11, vcc_lo
	global_load_b32 v10, v[10:11], off
	s_waitcnt vmcnt(0)
	v_subrev_nc_u32_e32 v10, s29, v10
	v_cmpx_lt_i32_e64 v5, v10
	s_cbranch_execz .LBB64_40
; %bb.29:                               ;   in Loop: Header=BB64_25 Depth=2
	v_mul_f32_e64 v11, v9, -s21
	v_mul_f32_e32 v27, s33, v9
	s_mov_b32 s53, 0
                                        ; implicit-def: $sgpr52
                                        ; implicit-def: $sgpr63
	s_delay_alu instid0(VALU_DEP_2) | instskip(NEXT) | instid1(VALU_DEP_2)
	v_fmac_f32_e32 v11, s33, v8
	v_dual_fmac_f32 v27, s21, v8 :: v_dual_mov_b32 v8, v5
	s_branch .LBB64_31
.LBB64_30:                              ;   in Loop: Header=BB64_31 Depth=3
	s_or_b32 exec_lo, exec_lo, s20
	s_delay_alu instid0(SALU_CYCLE_1) | instskip(SKIP_4) | instid1(SALU_CYCLE_1)
	s_and_b32 s19, exec_lo, s64
	v_mov_b32_e32 v8, v29
	s_or_b32 s53, s19, s53
	s_and_not1_b32 s19, s52, exec_lo
	s_and_b32 s20, s63, exec_lo
	s_or_b32 s52, s19, s20
	s_and_not1_b32 exec_lo, exec_lo, s53
	s_cbranch_execz .LBB64_37
.LBB64_31:                              ;   Parent Loop BB64_18 Depth=1
                                        ;     Parent Loop BB64_25 Depth=2
                                        ; =>    This Inner Loop Header: Depth=3
	s_delay_alu instid0(VALU_DEP_1) | instskip(NEXT) | instid1(VALU_DEP_1)
	v_ashrrev_i32_e32 v9, 31, v8
	v_lshlrev_b64 v[28:29], 2, v[8:9]
	s_delay_alu instid0(VALU_DEP_1) | instskip(NEXT) | instid1(VALU_DEP_2)
	v_add_co_u32 v28, vcc_lo, s44, v28
	v_add_co_ci_u32_e32 v29, vcc_lo, s45, v29, vcc_lo
	global_load_b32 v28, v[28:29], off
	s_waitcnt vmcnt(0)
	v_subrev_nc_u32_e32 v28, s29, v28
	s_delay_alu instid0(VALU_DEP_1) | instskip(SKIP_2) | instid1(VALU_DEP_2)
	v_cmp_lt_i32_e64 s19, v28, v24
	v_cmp_ge_i32_e64 s20, v28, v25
	v_cmp_lt_i32_e32 vcc_lo, v28, v25
	s_or_b32 s64, s19, s20
	s_mov_b32 s19, 0
                                        ; implicit-def: $sgpr20
	s_and_saveexec_b32 s65, s64
	s_delay_alu instid0(SALU_CYCLE_1)
	s_xor_b32 s64, exec_lo, s65
; %bb.32:                               ;   in Loop: Header=BB64_31 Depth=3
	s_mov_b32 s20, -1
	s_and_b32 s19, vcc_lo, exec_lo
; %bb.33:                               ;   in Loop: Header=BB64_31 Depth=3
	s_and_not1_saveexec_b32 s64, s64
	s_cbranch_execz .LBB64_35
; %bb.34:                               ;   in Loop: Header=BB64_31 Depth=3
	v_lshlrev_b64 v[29:30], 3, v[8:9]
	v_sub_nc_u32_e32 v9, v28, v24
	s_or_b32 s19, s19, exec_lo
	s_delay_alu instid0(VALU_DEP_1) | instskip(NEXT) | instid1(VALU_DEP_3)
	v_lshlrev_b32_e32 v32, 3, v9
	v_add_co_u32 v29, vcc_lo, s46, v29
	s_delay_alu instid0(VALU_DEP_4)
	v_add_co_ci_u32_e32 v30, vcc_lo, s47, v30, vcc_lo
	ds_store_b8 v9, v23 offset:16384
	global_load_b64 v[29:30], v[29:30], off
	s_waitcnt vmcnt(0)
	v_mul_f32_e64 v31, v30, -v27
	v_mul_f32_e32 v30, v11, v30
	s_delay_alu instid0(VALU_DEP_2) | instskip(NEXT) | instid1(VALU_DEP_2)
	v_fmac_f32_e32 v31, v11, v29
	v_fmac_f32_e32 v30, v27, v29
	ds_add_f32 v32, v31
	ds_add_f32 v32, v30 offset:4
.LBB64_35:                              ;   in Loop: Header=BB64_31 Depth=3
	s_or_b32 exec_lo, exec_lo, s64
	v_mov_b32_e32 v9, v8
	s_and_not1_b32 s63, s63, exec_lo
	s_and_b32 s20, s20, exec_lo
	s_mov_b32 s64, -1
	s_or_b32 s63, s63, s20
                                        ; implicit-def: $vgpr29
	s_and_saveexec_b32 s20, s19
	s_cbranch_execz .LBB64_30
; %bb.36:                               ;   in Loop: Header=BB64_31 Depth=3
	v_add_nc_u32_e32 v29, 16, v8
	v_mov_b32_e32 v9, v8
	s_and_not1_b32 s63, s63, exec_lo
	s_delay_alu instid0(VALU_DEP_2)
	v_cmp_ge_i32_e32 vcc_lo, v29, v10
	s_or_not1_b32 s64, vcc_lo, exec_lo
	s_branch .LBB64_30
.LBB64_37:                              ;   in Loop: Header=BB64_25 Depth=2
	s_or_b32 exec_lo, exec_lo, s53
	s_and_saveexec_b32 s19, s52
	s_delay_alu instid0(SALU_CYCLE_1)
	s_xor_b32 s19, exec_lo, s19
; %bb.38:                               ;   in Loop: Header=BB64_25 Depth=2
	v_min_i32_e32 v26, v28, v26
	v_mov_b32_e32 v5, v9
; %bb.39:                               ;   in Loop: Header=BB64_25 Depth=2
	s_or_b32 exec_lo, exec_lo, s19
.LBB64_40:                              ;   in Loop: Header=BB64_25 Depth=2
	s_delay_alu instid0(SALU_CYCLE_1)
	s_or_b32 exec_lo, exec_lo, s51
	ds_bpermute_b32 v8, v15, v5
	s_waitcnt lgkmcnt(0)
	v_min_i32_e32 v5, v8, v5
	ds_bpermute_b32 v8, v16, v5
	s_waitcnt lgkmcnt(0)
	v_min_i32_e32 v5, v8, v5
	ds_bpermute_b32 v8, v17, v5
	s_waitcnt lgkmcnt(0)
	v_min_i32_e32 v5, v8, v5
	ds_bpermute_b32 v8, v18, v5
	s_and_saveexec_b32 s19, s1
	s_cbranch_execz .LBB64_24
; %bb.41:                               ;   in Loop: Header=BB64_25 Depth=2
	s_waitcnt lgkmcnt(0)
	v_min_i32_e32 v8, v8, v5
	v_add_co_u32 v5, vcc_lo, s26, v6
	v_add_co_ci_u32_e32 v6, vcc_lo, s27, v7, vcc_lo
	global_store_b32 v[5:6], v8, off
	s_branch .LBB64_24
.LBB64_42:                              ;   in Loop: Header=BB64_25 Depth=2
                                        ; implicit-def: $vgpr5
	s_branch .LBB64_27
.LBB64_43:                              ;   in Loop: Header=BB64_18 Depth=1
	s_or_b32 exec_lo, exec_lo, s50
.LBB64_44:                              ;   in Loop: Header=BB64_18 Depth=1
	s_delay_alu instid0(SALU_CYCLE_1) | instskip(NEXT) | instid1(SALU_CYCLE_1)
	s_or_b32 exec_lo, exec_lo, s49
	s_and_not1_b32 vcc_lo, exec_lo, s60
	s_cbranch_vccnz .LBB64_58
; %bb.45:                               ;   in Loop: Header=BB64_18 Depth=1
	s_load_b64 s[18:19], s[34:35], 0x0
	s_mov_b32 s20, exec_lo
	s_waitcnt lgkmcnt(0)
	v_add_nc_u32_e32 v4, s18, v13
	s_sub_i32 s49, s19, s31
	s_delay_alu instid0(VALU_DEP_1) | instid1(SALU_CYCLE_1)
	v_cmpx_gt_i32_e64 s49, v4
	s_cbranch_execz .LBB64_57
; %bb.46:                               ;   in Loop: Header=BB64_18 Depth=1
	s_mov_b32 s50, 0
                                        ; implicit-def: $sgpr51
                                        ; implicit-def: $sgpr52
	s_branch .LBB64_48
.LBB64_47:                              ;   in Loop: Header=BB64_48 Depth=2
	s_or_b32 exec_lo, exec_lo, s53
	s_delay_alu instid0(SALU_CYCLE_1) | instskip(NEXT) | instid1(SALU_CYCLE_1)
	s_and_b32 s18, exec_lo, s19
	s_or_b32 s50, s18, s50
	s_and_not1_b32 s18, s51, exec_lo
	s_and_b32 s19, s52, exec_lo
	s_delay_alu instid0(SALU_CYCLE_1)
	s_or_b32 s51, s18, s19
	s_and_not1_b32 exec_lo, exec_lo, s50
	s_cbranch_execz .LBB64_54
.LBB64_48:                              ;   Parent Loop BB64_18 Depth=1
                                        ; =>  This Inner Loop Header: Depth=2
	v_ashrrev_i32_e32 v5, 31, v4
	s_delay_alu instid0(VALU_DEP_1) | instskip(NEXT) | instid1(VALU_DEP_1)
	v_lshlrev_b64 v[6:7], 2, v[4:5]
	v_add_co_u32 v6, vcc_lo, s36, v6
	s_delay_alu instid0(VALU_DEP_2) | instskip(SKIP_3) | instid1(VALU_DEP_1)
	v_add_co_ci_u32_e32 v7, vcc_lo, s37, v7, vcc_lo
	global_load_b32 v6, v[6:7], off
	s_waitcnt vmcnt(0)
	v_subrev_nc_u32_e32 v6, s31, v6
	v_cmp_lt_i32_e64 s18, v6, v24
	v_cmp_ge_i32_e64 s19, v6, v25
	v_cmp_lt_i32_e32 vcc_lo, v6, v25
	s_delay_alu instid0(VALU_DEP_2) | instskip(SKIP_2) | instid1(SALU_CYCLE_1)
	s_or_b32 s53, s18, s19
	s_mov_b32 s18, 0
                                        ; implicit-def: $sgpr19
	s_and_saveexec_b32 s63, s53
	s_xor_b32 s53, exec_lo, s63
; %bb.49:                               ;   in Loop: Header=BB64_48 Depth=2
	s_mov_b32 s19, -1
	s_and_b32 s18, vcc_lo, exec_lo
; %bb.50:                               ;   in Loop: Header=BB64_48 Depth=2
	s_and_not1_saveexec_b32 s53, s53
	s_cbranch_execz .LBB64_52
; %bb.51:                               ;   in Loop: Header=BB64_48 Depth=2
	v_lshlrev_b64 v[7:8], 3, v[4:5]
	v_sub_nc_u32_e32 v5, v6, v24
	s_or_b32 s18, s18, exec_lo
	s_delay_alu instid0(VALU_DEP_1) | instskip(NEXT) | instid1(VALU_DEP_3)
	v_lshlrev_b32_e32 v10, 3, v5
	v_add_co_u32 v7, vcc_lo, s38, v7
	s_delay_alu instid0(VALU_DEP_4) | instskip(SKIP_4) | instid1(VALU_DEP_1)
	v_add_co_ci_u32_e32 v8, vcc_lo, s39, v8, vcc_lo
	ds_store_b8 v5, v23 offset:16384
	global_load_b64 v[7:8], v[7:8], off
	s_waitcnt vmcnt(0)
	v_mul_f32_e64 v9, v8, -s62
	v_dual_mul_f32 v8, s61, v8 :: v_dual_fmac_f32 v9, s61, v7
	s_delay_alu instid0(VALU_DEP_1)
	v_fmac_f32_e32 v8, s62, v7
	ds_add_f32 v10, v9
	ds_add_f32 v10, v8 offset:4
.LBB64_52:                              ;   in Loop: Header=BB64_48 Depth=2
	s_or_b32 exec_lo, exec_lo, s53
	s_delay_alu instid0(SALU_CYCLE_1)
	s_and_not1_b32 s52, s52, exec_lo
	s_and_b32 s53, s19, exec_lo
	s_mov_b32 s19, -1
	s_or_b32 s52, s52, s53
	s_and_saveexec_b32 s53, s18
	s_cbranch_execz .LBB64_47
; %bb.53:                               ;   in Loop: Header=BB64_48 Depth=2
	v_add_nc_u32_e32 v4, 0x200, v4
	s_and_not1_b32 s52, s52, exec_lo
	s_delay_alu instid0(VALU_DEP_1)
	v_cmp_le_i32_e32 vcc_lo, s49, v4
	s_or_not1_b32 s19, vcc_lo, exec_lo
	s_branch .LBB64_47
.LBB64_54:                              ;   in Loop: Header=BB64_18 Depth=1
	s_or_b32 exec_lo, exec_lo, s50
	s_and_saveexec_b32 s18, s51
	s_delay_alu instid0(SALU_CYCLE_1)
	s_xor_b32 s18, exec_lo, s18
; %bb.55:                               ;   in Loop: Header=BB64_18 Depth=1
	v_min_i32_e32 v26, v6, v26
; %bb.56:                               ;   in Loop: Header=BB64_18 Depth=1
	s_or_b32 exec_lo, exec_lo, s18
.LBB64_57:                              ;   in Loop: Header=BB64_18 Depth=1
	s_delay_alu instid0(SALU_CYCLE_1)
	s_or_b32 exec_lo, exec_lo, s20
.LBB64_58:                              ;   in Loop: Header=BB64_18 Depth=1
	ds_bpermute_b32 v4, v15, v26
	s_waitcnt lgkmcnt(0)
	v_min_i32_e32 v4, v4, v26
	ds_bpermute_b32 v5, v16, v4
	s_waitcnt lgkmcnt(0)
	v_min_i32_e32 v4, v5, v4
	;; [unrolled: 3-line block ×3, first 2 shown]
	ds_bpermute_b32 v5, v18, v4
	s_and_saveexec_b32 s18, s1
	s_cbranch_execz .LBB64_63
; %bb.59:                               ;   in Loop: Header=BB64_18 Depth=1
	s_waitcnt lgkmcnt(0)
	v_min_i32_e32 v4, v5, v4
	s_mov_b32 s20, exec_lo
	s_brev_b32 s19, -2
.LBB64_60:                              ;   Parent Loop BB64_18 Depth=1
                                        ; =>  This Inner Loop Header: Depth=2
	s_ctz_i32_b32 s49, s20
	s_delay_alu instid0(VALU_DEP_1) | instid1(SALU_CYCLE_1)
	v_readlane_b32 s50, v4, s49
	s_lshl_b32 s49, 1, s49
	s_delay_alu instid0(SALU_CYCLE_1) | instskip(NEXT) | instid1(VALU_DEP_1)
	s_and_not1_b32 s20, s20, s49
	s_min_i32 s19, s19, s50
	s_cmp_lg_u32 s20, 0
	s_cbranch_scc1 .LBB64_60
; %bb.61:                               ;   in Loop: Header=BB64_18 Depth=1
	v_mbcnt_lo_u32_b32 v4, exec_lo, 0
	s_mov_b32 s20, exec_lo
	s_delay_alu instid0(VALU_DEP_1)
	v_cmpx_eq_u32_e32 0, v4
	s_xor_b32 s20, exec_lo, s20
	s_cbranch_execz .LBB64_63
; %bb.62:                               ;   in Loop: Header=BB64_18 Depth=1
	v_mov_b32_e32 v4, s19
	ds_min_i32 v2, v4 offset:18432
.LBB64_63:                              ;   in Loop: Header=BB64_18 Depth=1
	s_or_b32 exec_lo, exec_lo, s18
	v_dual_mov_b32 v7, v21 :: v_dual_add_nc_u32 v6, s30, v24
	v_mov_b32_e32 v8, v0
	s_mov_b32 s18, 0
	s_waitcnt lgkmcnt(0)
	s_waitcnt_vscnt null, 0x0
	s_barrier
	buffer_gl0_inv
	s_branch .LBB64_65
.LBB64_64:                              ;   in Loop: Header=BB64_65 Depth=2
	s_or_b32 exec_lo, exec_lo, s19
	s_waitcnt lgkmcnt(0)
	s_waitcnt_vscnt null, 0x0
	s_barrier
	buffer_gl0_inv
	ds_load_b32 v4, v2 offset:60
	v_add_nc_u32_e32 v5, 0x200, v8
	v_cmp_lt_u32_e32 vcc_lo, 0x5ff, v8
	s_delay_alu instid0(VALU_DEP_2)
	v_dual_mov_b32 v8, v5 :: v_dual_add_nc_u32 v7, 0x1000, v7
	s_or_b32 s18, vcc_lo, s18
	s_waitcnt lgkmcnt(0)
	v_add_nc_u32_e32 v22, v4, v22
	s_and_not1_b32 exec_lo, exec_lo, s18
	s_cbranch_execz .LBB64_17
.LBB64_65:                              ;   Parent Loop BB64_18 Depth=1
                                        ; =>  This Inner Loop Header: Depth=2
	ds_load_u8 v36, v8 offset:16384
	ds_load_b64 v[4:5], v7
	s_waitcnt lgkmcnt(0)
	s_barrier
	buffer_gl0_inv
	v_cmp_ne_u16_e32 vcc_lo, 0, v36
	s_bcnt1_i32_b32 s19, vcc_lo
	s_delay_alu instid0(SALU_CYCLE_1)
	v_mov_b32_e32 v9, s19
	s_mov_b32 s19, exec_lo
	ds_store_b32 v19, v9
	s_waitcnt lgkmcnt(0)
	s_barrier
	buffer_gl0_inv
	ds_load_b128 v[24:27], v2
	ds_load_b128 v[28:31], v2 offset:16
	v_and_b32_e32 v9, vcc_lo, v1
	ds_load_b128 v[32:35], v2 offset:32
	s_waitcnt lgkmcnt(2)
	v_cndmask_b32_e64 v10, v24, 0, s3
	v_cndmask_b32_e64 v24, v25, 0, s4
	;; [unrolled: 1-line block ×4, first 2 shown]
	s_waitcnt lgkmcnt(1)
	v_cndmask_b32_e64 v28, v28, 0, s7
	v_bcnt_u32_b32 v26, v9, v10
	ds_load_b96 v[9:11], v2 offset:48
	v_add3_u32 v24, v26, v24, v25
	v_cndmask_b32_e64 v25, v29, 0, s8
	v_cndmask_b32_e64 v26, v30, 0, s9
	s_delay_alu instid0(VALU_DEP_3) | instskip(SKIP_3) | instid1(VALU_DEP_3)
	v_add3_u32 v24, v24, v27, v28
	v_cndmask_b32_e64 v27, v31, 0, s10
	s_waitcnt lgkmcnt(1)
	v_cndmask_b32_e64 v28, v32, 0, s11
	v_add3_u32 v24, v24, v25, v26
	v_cndmask_b32_e64 v25, v33, 0, s12
	v_cndmask_b32_e64 v26, v34, 0, s13
	s_delay_alu instid0(VALU_DEP_3)
	v_add3_u32 v24, v24, v27, v28
	v_cndmask_b32_e64 v27, v35, 0, s14
	s_waitcnt lgkmcnt(0)
	v_cndmask_b32_e64 v9, v9, 0, s15
	v_cndmask_b32_e64 v10, v10, 0, s16
	;; [unrolled: 1-line block ×3, first 2 shown]
	v_add3_u32 v24, v24, v25, v26
	s_delay_alu instid0(VALU_DEP_1) | instskip(SKIP_1) | instid1(VALU_DEP_2)
	v_add3_u32 v9, v24, v27, v9
	v_and_b32_e32 v24, 1, v36
	v_add3_u32 v9, v9, v10, v11
	s_delay_alu instid0(VALU_DEP_2)
	v_cmpx_eq_u32_e32 1, v24
	s_cbranch_execz .LBB64_67
; %bb.66:                               ;   in Loop: Header=BB64_65 Depth=2
	s_delay_alu instid0(VALU_DEP_2) | instskip(SKIP_1) | instid1(VALU_DEP_2)
	v_add3_u32 v10, v22, v9, -1
	v_add_nc_u32_e32 v26, v6, v8
	v_ashrrev_i32_e32 v11, 31, v10
	s_delay_alu instid0(VALU_DEP_1) | instskip(SKIP_1) | instid1(VALU_DEP_2)
	v_lshlrev_b64 v[24:25], 2, v[10:11]
	v_lshlrev_b64 v[10:11], 3, v[10:11]
	v_add_co_u32 v24, vcc_lo, s42, v24
	s_delay_alu instid0(VALU_DEP_3) | instskip(NEXT) | instid1(VALU_DEP_3)
	v_add_co_ci_u32_e32 v25, vcc_lo, s43, v25, vcc_lo
	v_add_co_u32 v10, vcc_lo, s24, v10
	s_delay_alu instid0(VALU_DEP_4)
	v_add_co_ci_u32_e32 v11, vcc_lo, s25, v11, vcc_lo
	global_store_b32 v[24:25], v26, off
	global_store_b64 v[10:11], v[4:5], off
.LBB64_67:                              ;   in Loop: Header=BB64_65 Depth=2
	s_or_b32 exec_lo, exec_lo, s19
	s_and_saveexec_b32 s19, s2
	s_cbranch_execz .LBB64_64
; %bb.68:                               ;   in Loop: Header=BB64_65 Depth=2
	ds_store_b32 v2, v9 offset:60
	s_branch .LBB64_64
.LBB64_69:
	s_endpgm
	.section	.rodata,"a",@progbits
	.p2align	6, 0x0
	.amdhsa_kernel _ZN9rocsparseL36csrgemm_fill_block_per_row_multipassILj512ELj16ELj2048ELj32Eii21rocsparse_complex_numIfEEEvT4_PKS3_S5_NS_24const_host_device_scalarIT5_EEPKT3_S5_PKS7_SB_S5_SD_S8_SB_S5_SD_SB_PS3_PS7_PS9_21rocsparse_index_base_SH_SH_SH_bbb
		.amdhsa_group_segment_fixed_size 18436
		.amdhsa_private_segment_fixed_size 0
		.amdhsa_kernarg_size 164
		.amdhsa_user_sgpr_count 15
		.amdhsa_user_sgpr_dispatch_ptr 0
		.amdhsa_user_sgpr_queue_ptr 0
		.amdhsa_user_sgpr_kernarg_segment_ptr 1
		.amdhsa_user_sgpr_dispatch_id 0
		.amdhsa_user_sgpr_private_segment_size 0
		.amdhsa_wavefront_size32 1
		.amdhsa_uses_dynamic_stack 0
		.amdhsa_enable_private_segment 0
		.amdhsa_system_sgpr_workgroup_id_x 1
		.amdhsa_system_sgpr_workgroup_id_y 0
		.amdhsa_system_sgpr_workgroup_id_z 0
		.amdhsa_system_sgpr_workgroup_info 0
		.amdhsa_system_vgpr_workitem_id 0
		.amdhsa_next_free_vgpr 37
		.amdhsa_next_free_sgpr 66
		.amdhsa_reserve_vcc 1
		.amdhsa_float_round_mode_32 0
		.amdhsa_float_round_mode_16_64 0
		.amdhsa_float_denorm_mode_32 3
		.amdhsa_float_denorm_mode_16_64 3
		.amdhsa_dx10_clamp 1
		.amdhsa_ieee_mode 1
		.amdhsa_fp16_overflow 0
		.amdhsa_workgroup_processor_mode 1
		.amdhsa_memory_ordered 1
		.amdhsa_forward_progress 0
		.amdhsa_shared_vgpr_count 0
		.amdhsa_exception_fp_ieee_invalid_op 0
		.amdhsa_exception_fp_denorm_src 0
		.amdhsa_exception_fp_ieee_div_zero 0
		.amdhsa_exception_fp_ieee_overflow 0
		.amdhsa_exception_fp_ieee_underflow 0
		.amdhsa_exception_fp_ieee_inexact 0
		.amdhsa_exception_int_div_zero 0
	.end_amdhsa_kernel
	.section	.text._ZN9rocsparseL36csrgemm_fill_block_per_row_multipassILj512ELj16ELj2048ELj32Eii21rocsparse_complex_numIfEEEvT4_PKS3_S5_NS_24const_host_device_scalarIT5_EEPKT3_S5_PKS7_SB_S5_SD_S8_SB_S5_SD_SB_PS3_PS7_PS9_21rocsparse_index_base_SH_SH_SH_bbb,"axG",@progbits,_ZN9rocsparseL36csrgemm_fill_block_per_row_multipassILj512ELj16ELj2048ELj32Eii21rocsparse_complex_numIfEEEvT4_PKS3_S5_NS_24const_host_device_scalarIT5_EEPKT3_S5_PKS7_SB_S5_SD_S8_SB_S5_SD_SB_PS3_PS7_PS9_21rocsparse_index_base_SH_SH_SH_bbb,comdat
.Lfunc_end64:
	.size	_ZN9rocsparseL36csrgemm_fill_block_per_row_multipassILj512ELj16ELj2048ELj32Eii21rocsparse_complex_numIfEEEvT4_PKS3_S5_NS_24const_host_device_scalarIT5_EEPKT3_S5_PKS7_SB_S5_SD_S8_SB_S5_SD_SB_PS3_PS7_PS9_21rocsparse_index_base_SH_SH_SH_bbb, .Lfunc_end64-_ZN9rocsparseL36csrgemm_fill_block_per_row_multipassILj512ELj16ELj2048ELj32Eii21rocsparse_complex_numIfEEEvT4_PKS3_S5_NS_24const_host_device_scalarIT5_EEPKT3_S5_PKS7_SB_S5_SD_S8_SB_S5_SD_SB_PS3_PS7_PS9_21rocsparse_index_base_SH_SH_SH_bbb
                                        ; -- End function
	.section	.AMDGPU.csdata,"",@progbits
; Kernel info:
; codeLenInByte = 2956
; NumSgprs: 68
; NumVgprs: 37
; ScratchSize: 0
; MemoryBound: 0
; FloatMode: 240
; IeeeMode: 1
; LDSByteSize: 18436 bytes/workgroup (compile time only)
; SGPRBlocks: 8
; VGPRBlocks: 4
; NumSGPRsForWavesPerEU: 68
; NumVGPRsForWavesPerEU: 37
; Occupancy: 16
; WaveLimiterHint : 1
; COMPUTE_PGM_RSRC2:SCRATCH_EN: 0
; COMPUTE_PGM_RSRC2:USER_SGPR: 15
; COMPUTE_PGM_RSRC2:TRAP_HANDLER: 0
; COMPUTE_PGM_RSRC2:TGID_X_EN: 1
; COMPUTE_PGM_RSRC2:TGID_Y_EN: 0
; COMPUTE_PGM_RSRC2:TGID_Z_EN: 0
; COMPUTE_PGM_RSRC2:TIDIG_COMP_CNT: 0
	.section	.text._ZN9rocsparseL36csrgemm_fill_block_per_row_multipassILj512ELj16ELj2048ELj64Eii21rocsparse_complex_numIfEEEvT4_PKS3_S5_NS_24const_host_device_scalarIT5_EEPKT3_S5_PKS7_SB_S5_SD_S8_SB_S5_SD_SB_PS3_PS7_PS9_21rocsparse_index_base_SH_SH_SH_bbb,"axG",@progbits,_ZN9rocsparseL36csrgemm_fill_block_per_row_multipassILj512ELj16ELj2048ELj64Eii21rocsparse_complex_numIfEEEvT4_PKS3_S5_NS_24const_host_device_scalarIT5_EEPKT3_S5_PKS7_SB_S5_SD_S8_SB_S5_SD_SB_PS3_PS7_PS9_21rocsparse_index_base_SH_SH_SH_bbb,comdat
	.globl	_ZN9rocsparseL36csrgemm_fill_block_per_row_multipassILj512ELj16ELj2048ELj64Eii21rocsparse_complex_numIfEEEvT4_PKS3_S5_NS_24const_host_device_scalarIT5_EEPKT3_S5_PKS7_SB_S5_SD_S8_SB_S5_SD_SB_PS3_PS7_PS9_21rocsparse_index_base_SH_SH_SH_bbb ; -- Begin function _ZN9rocsparseL36csrgemm_fill_block_per_row_multipassILj512ELj16ELj2048ELj64Eii21rocsparse_complex_numIfEEEvT4_PKS3_S5_NS_24const_host_device_scalarIT5_EEPKT3_S5_PKS7_SB_S5_SD_S8_SB_S5_SD_SB_PS3_PS7_PS9_21rocsparse_index_base_SH_SH_SH_bbb
	.p2align	8
	.type	_ZN9rocsparseL36csrgemm_fill_block_per_row_multipassILj512ELj16ELj2048ELj64Eii21rocsparse_complex_numIfEEEvT4_PKS3_S5_NS_24const_host_device_scalarIT5_EEPKT3_S5_PKS7_SB_S5_SD_S8_SB_S5_SD_SB_PS3_PS7_PS9_21rocsparse_index_base_SH_SH_SH_bbb,@function
_ZN9rocsparseL36csrgemm_fill_block_per_row_multipassILj512ELj16ELj2048ELj64Eii21rocsparse_complex_numIfEEEvT4_PKS3_S5_NS_24const_host_device_scalarIT5_EEPKT3_S5_PKS7_SB_S5_SD_S8_SB_S5_SD_SB_PS3_PS7_PS9_21rocsparse_index_base_SH_SH_SH_bbb: ; @_ZN9rocsparseL36csrgemm_fill_block_per_row_multipassILj512ELj16ELj2048ELj64Eii21rocsparse_complex_numIfEEEvT4_PKS3_S5_NS_24const_host_device_scalarIT5_EEPKT3_S5_PKS7_SB_S5_SD_S8_SB_S5_SD_SB_PS3_PS7_PS9_21rocsparse_index_base_SH_SH_SH_bbb
; %bb.0:
	s_clause 0x5
	s_load_b32 s3, s[0:1], 0xa0
	s_load_b256 s[16:23], s[0:1], 0x80
	s_load_b256 s[24:31], s[0:1], 0x60
	;; [unrolled: 1-line block ×3, first 2 shown]
	s_load_b128 s[4:7], s[0:1], 0x8
	s_load_b256 s[44:51], s[0:1], 0x20
	s_mov_b32 s13, 0
	s_mov_b32 s33, 0
	s_waitcnt lgkmcnt(0)
	s_bitcmp1_b32 s3, 0
	s_cselect_b32 s10, -1, 0
	s_bitcmp1_b32 s3, 16
	s_cselect_b32 s2, -1, 0
	s_delay_alu instid0(SALU_CYCLE_1)
	s_xor_b32 s2, s2, -1
	s_bitcmp0_b32 s3, 0
	s_cbranch_scc1 .LBB65_5
; %bb.1:
	s_load_b64 s[12:13], s[0:1], 0x18
	s_and_not1_b32 vcc_lo, exec_lo, s2
	s_waitcnt lgkmcnt(0)
	s_mov_b32 s33, s12
	s_cbranch_vccnz .LBB65_3
; %bb.2:
	s_load_b32 s33, s[12:13], 0x0
.LBB65_3:
	s_and_not1_b32 vcc_lo, exec_lo, s2
	s_cbranch_vccnz .LBB65_5
; %bb.4:
	s_load_b32 s13, s[12:13], 0x4
.LBB65_5:
	s_bitcmp1_b32 s3, 8
	s_mov_b32 s52, 0
	s_cselect_b32 s34, -1, 0
	s_bfe_u32 s3, s3, 0x10008
	s_mov_b32 s35, 0
	s_cmp_eq_u32 s3, 0
	s_cbranch_scc1 .LBB65_11
; %bb.6:
	v_cndmask_b32_e64 v1, 0, 1, s2
	s_and_not1_b32 vcc_lo, exec_lo, s2
	s_mov_b32 s35, s40
	s_cbranch_vccnz .LBB65_8
; %bb.7:
	s_load_b32 s35, s[40:41], 0x0
.LBB65_8:
	s_delay_alu instid0(VALU_DEP_1)
	v_cmp_ne_u32_e32 vcc_lo, 1, v1
	s_cbranch_vccnz .LBB65_10
; %bb.9:
	s_load_b32 s41, s[40:41], 0x4
.LBB65_10:
	s_waitcnt lgkmcnt(0)
	s_mov_b32 s52, s41
.LBB65_11:
	s_load_b32 s2, s[4:5], 0x0
	s_mov_b32 s4, 0
	s_waitcnt lgkmcnt(0)
	s_add_i32 s14, s2, s15
	s_mov_b32 s15, 0
	s_delay_alu instid0(SALU_CYCLE_1) | instskip(NEXT) | instid1(SALU_CYCLE_1)
	s_lshl_b64 s[2:3], s[14:15], 2
	s_add_u32 s2, s6, s2
	s_addc_u32 s3, s7, s3
	s_and_not1_b32 vcc_lo, exec_lo, s10
	s_load_b32 s2, s[2:3], 0x0
	s_cbranch_vccz .LBB65_14
; %bb.12:
	s_and_not1_b32 vcc_lo, exec_lo, s10
	s_cbranch_vccz .LBB65_15
.LBB65_13:
	s_load_b32 s14, s[0:1], 0x0
	s_waitcnt lgkmcnt(0)
	s_cmp_lt_i32 s14, 1
	s_cbranch_scc0 .LBB65_16
	s_branch .LBB65_69
.LBB65_14:
	s_waitcnt lgkmcnt(0)
	s_ashr_i32 s3, s2, 31
	s_delay_alu instid0(SALU_CYCLE_1) | instskip(NEXT) | instid1(SALU_CYCLE_1)
	s_lshl_b64 s[4:5], s[2:3], 2
	s_add_u32 s4, s44, s4
	s_addc_u32 s5, s45, s5
	s_load_b32 s3, s[4:5], 0x0
	s_waitcnt lgkmcnt(0)
	s_sub_i32 s4, s3, s20
	s_and_not1_b32 vcc_lo, exec_lo, s10
	s_cbranch_vccnz .LBB65_13
.LBB65_15:
	s_waitcnt lgkmcnt(0)
	s_ashr_i32 s3, s2, 31
	s_delay_alu instid0(SALU_CYCLE_1) | instskip(NEXT) | instid1(SALU_CYCLE_1)
	s_lshl_b64 s[6:7], s[2:3], 2
	s_add_u32 s6, s44, s6
	s_addc_u32 s7, s45, s7
	s_load_b32 s3, s[6:7], 0x4
	s_waitcnt lgkmcnt(0)
	s_sub_i32 s15, s3, s20
	s_load_b32 s14, s[0:1], 0x0
	s_waitcnt lgkmcnt(0)
	s_cmp_lt_i32 s14, 1
	s_cbranch_scc1 .LBB65_69
.LBB65_16:
	v_mbcnt_lo_u32_b32 v1, -1, 0
	s_ashr_i32 s3, s2, 31
	v_lshrrev_b32_e32 v3, 4, v0
	s_lshl_b64 s[6:7], s[2:3], 2
	v_dual_mov_b32 v25, 0x800 :: v_dual_and_b32 v12, 15, v0
	v_xor_b32_e32 v2, 8, v1
	v_xor_b32_e32 v4, 4, v1
	;; [unrolled: 1-line block ×3, first 2 shown]
	s_add_u32 s0, s28, s6
	v_xor_b32_e32 v6, 1, v1
	v_cmp_gt_i32_e64 s2, 32, v2
	s_addc_u32 s1, s29, s7
	v_xor_b32_e32 v7, 63, v1
	s_load_b32 s3, s[0:1], 0x0
	v_cmp_eq_u32_e64 s0, 0, v0
	v_cndmask_b32_e64 v2, v1, v2, s2
	v_cmp_gt_i32_e64 s2, 32, v4
	v_subrev_nc_u32_e32 v13, s23, v0
	v_cmp_eq_u32_e64 s1, 15, v12
	v_cmp_gt_u32_e64 s5, 0xc0, v0
	v_lshlrev_b32_e32 v15, 2, v2
	v_cndmask_b32_e64 v4, v1, v4, s2
	v_cmp_gt_i32_e64 s2, 32, v5
	v_cmp_gt_u32_e64 s8, 0x180, v0
	v_cmp_gt_u32_e64 s9, 0x1c0, v0
	v_or_b32_e32 v20, 0xfffffe00, v0
	v_dual_mov_b32 v23, 1 :: v_dual_lshlrev_b32 v16, 2, v4
	v_cndmask_b32_e64 v5, v1, v5, s2
	v_cmp_gt_i32_e64 s2, 32, v6
	v_lshlrev_b32_e32 v21, 3, v0
	s_waitcnt lgkmcnt(0)
	s_sub_i32 s11, s3, s22
	s_delay_alu instid0(VALU_DEP_2) | instskip(SKIP_3) | instid1(VALU_DEP_2)
	v_cndmask_b32_e64 v1, v1, v6, s2
	s_add_u32 s28, s42, s6
	s_addc_u32 s29, s43, s7
	v_dual_mov_b32 v22, s11 :: v_dual_lshlrev_b32 v17, 2, v5
	v_lshlrev_b32_e32 v18, 2, v1
	v_lshrrev_b64 v[1:2], v7, -1
	v_mov_b32_e32 v2, 0
	v_add_nc_u32_e32 v14, s4, v3
	v_and_b32_e32 v19, 28, v3
	v_cmp_eq_u32_e64 s2, 0x1ff, v0
	v_cmp_gt_u32_e64 s3, 64, v0
	v_mov_b32_e32 v24, v2
	v_mov_b32_e32 v3, v2
	v_cmp_gt_i32_e32 vcc_lo, s15, v14
	v_cmp_gt_u32_e64 s4, 0x80, v0
	v_cmp_gt_u32_e64 s6, 0x100, v0
	;; [unrolled: 1-line block ×3, first 2 shown]
	s_and_b32 s40, s10, vcc_lo
	s_add_u32 s41, s50, 4
	s_addc_u32 s42, s51, 0
	s_branch .LBB65_18
.LBB65_17:                              ;   in Loop: Header=BB65_18 Depth=1
	s_or_b32 exec_lo, exec_lo, s10
	ds_load_b32 v24, v2 offset:18432
	s_waitcnt lgkmcnt(0)
	s_barrier
	buffer_gl0_inv
	v_cmp_le_i32_e32 vcc_lo, s14, v24
	v_add_nc_u32_e32 v25, 0x800, v24
	s_cbranch_vccnz .LBB65_69
.LBB65_18:                              ; =>This Loop Header: Depth=1
                                        ;     Child Loop BB65_19 Depth 2
                                        ;     Child Loop BB65_25 Depth 2
                                        ;       Child Loop BB65_31 Depth 3
                                        ;     Child Loop BB65_48 Depth 2
                                        ;     Child Loop BB65_60 Depth 2
	;; [unrolled: 1-line block ×3, first 2 shown]
	v_dual_mov_b32 v4, v21 :: v_dual_mov_b32 v5, v20
	s_mov_b32 s10, 0
.LBB65_19:                              ;   Parent Loop BB65_18 Depth=1
                                        ; =>  This Inner Loop Header: Depth=2
	ds_store_b8 v5, v2 offset:16896
	v_add_nc_u32_e32 v5, 0x200, v5
	ds_store_b64 v4, v[2:3]
	v_add_nc_u32_e32 v4, 0x1000, v4
	v_cmp_lt_u32_e32 vcc_lo, 0x5ff, v5
	s_or_b32 s10, vcc_lo, s10
	s_delay_alu instid0(SALU_CYCLE_1)
	s_and_not1_b32 exec_lo, exec_lo, s10
	s_cbranch_execnz .LBB65_19
; %bb.20:                               ;   in Loop: Header=BB65_18 Depth=1
	s_or_b32 exec_lo, exec_lo, s10
	s_and_saveexec_b32 s10, s0
	s_cbranch_execz .LBB65_22
; %bb.21:                               ;   in Loop: Header=BB65_18 Depth=1
	v_mov_b32_e32 v4, s14
	ds_store_b32 v2, v4 offset:18432
.LBB65_22:                              ;   in Loop: Header=BB65_18 Depth=1
	s_or_b32 exec_lo, exec_lo, s10
	v_mov_b32_e32 v26, s14
	s_waitcnt lgkmcnt(0)
	s_barrier
	buffer_gl0_inv
	s_and_saveexec_b32 s43, s40
	s_cbranch_execz .LBB65_44
; %bb.23:                               ;   in Loop: Header=BB65_18 Depth=1
	v_cmp_ne_u32_e64 s10, 0, v24
	v_mov_b32_e32 v26, s14
	v_mov_b32_e32 v4, v14
	s_mov_b32 s44, 0
	s_branch .LBB65_25
.LBB65_24:                              ;   in Loop: Header=BB65_25 Depth=2
	s_or_b32 exec_lo, exec_lo, s11
	v_add_nc_u32_e32 v4, 32, v4
	s_delay_alu instid0(VALU_DEP_1) | instskip(SKIP_1) | instid1(SALU_CYCLE_1)
	v_cmp_le_i32_e32 vcc_lo, s15, v4
	s_or_b32 s44, vcc_lo, s44
	s_and_not1_b32 exec_lo, exec_lo, s44
	s_cbranch_execz .LBB65_43
.LBB65_25:                              ;   Parent Loop BB65_18 Depth=1
                                        ; =>  This Loop Header: Depth=2
                                        ;       Child Loop BB65_31 Depth 3
	s_delay_alu instid0(VALU_DEP_1) | instskip(NEXT) | instid1(VALU_DEP_1)
	v_ashrrev_i32_e32 v5, 31, v4
	v_lshlrev_b64 v[6:7], 2, v[4:5]
	v_lshlrev_b64 v[10:11], 3, v[4:5]
	s_waitcnt lgkmcnt(0)
	s_delay_alu instid0(VALU_DEP_2) | instskip(NEXT) | instid1(VALU_DEP_3)
	v_add_co_u32 v8, vcc_lo, s46, v6
	v_add_co_ci_u32_e32 v9, vcc_lo, s47, v7, vcc_lo
	global_load_b32 v5, v[8:9], off
	v_add_co_u32 v8, vcc_lo, s48, v10
	v_add_co_ci_u32_e32 v9, vcc_lo, s49, v11, vcc_lo
	s_and_b32 vcc_lo, exec_lo, s10
	global_load_b64 v[8:9], v[8:9], off
	s_waitcnt vmcnt(1)
	v_subrev_nc_u32_e32 v10, s20, v5
	s_delay_alu instid0(VALU_DEP_1)
	v_ashrrev_i32_e32 v11, 31, v10
	s_cbranch_vccz .LBB65_42
; %bb.26:                               ;   in Loop: Header=BB65_25 Depth=2
	v_add_co_u32 v27, vcc_lo, s18, v6
	v_add_co_ci_u32_e32 v28, vcc_lo, s19, v7, vcc_lo
	global_load_b32 v5, v[27:28], off
	s_cbranch_execnz .LBB65_28
.LBB65_27:                              ;   in Loop: Header=BB65_25 Depth=2
	s_delay_alu instid0(VALU_DEP_1) | instskip(NEXT) | instid1(VALU_DEP_1)
	v_lshlrev_b64 v[27:28], 2, v[10:11]
	v_add_co_u32 v27, vcc_lo, s50, v27
	s_delay_alu instid0(VALU_DEP_2)
	v_add_co_ci_u32_e32 v28, vcc_lo, s51, v28, vcc_lo
	global_load_b32 v5, v[27:28], off
	s_waitcnt vmcnt(0)
	v_subrev_nc_u32_e32 v5, s21, v5
.LBB65_28:                              ;   in Loop: Header=BB65_25 Depth=2
	v_lshlrev_b64 v[10:11], 2, v[10:11]
	s_waitcnt vmcnt(0)
	s_delay_alu instid0(VALU_DEP_2) | instskip(SKIP_1) | instid1(VALU_DEP_2)
	v_add_nc_u32_e32 v5, v5, v12
	s_mov_b32 s45, exec_lo
	v_add_co_u32 v10, vcc_lo, s41, v10
	s_delay_alu instid0(VALU_DEP_3) | instskip(SKIP_3) | instid1(VALU_DEP_1)
	v_add_co_ci_u32_e32 v11, vcc_lo, s42, v11, vcc_lo
	global_load_b32 v10, v[10:11], off
	s_waitcnt vmcnt(0)
	v_subrev_nc_u32_e32 v10, s21, v10
	v_cmpx_lt_i32_e64 v5, v10
	s_cbranch_execz .LBB65_40
; %bb.29:                               ;   in Loop: Header=BB65_25 Depth=2
	v_mul_f32_e64 v11, v9, -s13
	v_mul_f32_e32 v27, s33, v9
	s_mov_b32 s54, 0
                                        ; implicit-def: $sgpr53
                                        ; implicit-def: $sgpr55
	s_delay_alu instid0(VALU_DEP_2) | instskip(NEXT) | instid1(VALU_DEP_2)
	v_fmac_f32_e32 v11, s33, v8
	v_dual_fmac_f32 v27, s13, v8 :: v_dual_mov_b32 v8, v5
	s_branch .LBB65_31
.LBB65_30:                              ;   in Loop: Header=BB65_31 Depth=3
	s_or_b32 exec_lo, exec_lo, s12
	s_delay_alu instid0(SALU_CYCLE_1) | instskip(SKIP_4) | instid1(SALU_CYCLE_1)
	s_and_b32 s11, exec_lo, s56
	v_mov_b32_e32 v8, v29
	s_or_b32 s54, s11, s54
	s_and_not1_b32 s11, s53, exec_lo
	s_and_b32 s12, s55, exec_lo
	s_or_b32 s53, s11, s12
	s_and_not1_b32 exec_lo, exec_lo, s54
	s_cbranch_execz .LBB65_37
.LBB65_31:                              ;   Parent Loop BB65_18 Depth=1
                                        ;     Parent Loop BB65_25 Depth=2
                                        ; =>    This Inner Loop Header: Depth=3
	s_delay_alu instid0(VALU_DEP_1) | instskip(NEXT) | instid1(VALU_DEP_1)
	v_ashrrev_i32_e32 v9, 31, v8
	v_lshlrev_b64 v[28:29], 2, v[8:9]
	s_delay_alu instid0(VALU_DEP_1) | instskip(NEXT) | instid1(VALU_DEP_2)
	v_add_co_u32 v28, vcc_lo, s36, v28
	v_add_co_ci_u32_e32 v29, vcc_lo, s37, v29, vcc_lo
	global_load_b32 v28, v[28:29], off
	s_waitcnt vmcnt(0)
	v_subrev_nc_u32_e32 v28, s21, v28
	s_delay_alu instid0(VALU_DEP_1) | instskip(SKIP_2) | instid1(VALU_DEP_2)
	v_cmp_lt_i32_e64 s11, v28, v24
	v_cmp_ge_i32_e64 s12, v28, v25
	v_cmp_lt_i32_e32 vcc_lo, v28, v25
	s_or_b32 s56, s11, s12
	s_mov_b32 s11, 0
                                        ; implicit-def: $sgpr12
	s_and_saveexec_b32 s57, s56
	s_delay_alu instid0(SALU_CYCLE_1)
	s_xor_b32 s56, exec_lo, s57
; %bb.32:                               ;   in Loop: Header=BB65_31 Depth=3
	s_mov_b32 s12, -1
	s_and_b32 s11, vcc_lo, exec_lo
; %bb.33:                               ;   in Loop: Header=BB65_31 Depth=3
	s_and_not1_saveexec_b32 s56, s56
	s_cbranch_execz .LBB65_35
; %bb.34:                               ;   in Loop: Header=BB65_31 Depth=3
	v_lshlrev_b64 v[29:30], 3, v[8:9]
	v_sub_nc_u32_e32 v9, v28, v24
	s_or_b32 s11, s11, exec_lo
	s_delay_alu instid0(VALU_DEP_1) | instskip(NEXT) | instid1(VALU_DEP_3)
	v_lshlrev_b32_e32 v32, 3, v9
	v_add_co_u32 v29, vcc_lo, s38, v29
	s_delay_alu instid0(VALU_DEP_4)
	v_add_co_ci_u32_e32 v30, vcc_lo, s39, v30, vcc_lo
	ds_store_b8 v9, v23 offset:16384
	global_load_b64 v[29:30], v[29:30], off
	s_waitcnt vmcnt(0)
	v_mul_f32_e64 v31, v30, -v27
	v_mul_f32_e32 v30, v11, v30
	s_delay_alu instid0(VALU_DEP_2) | instskip(NEXT) | instid1(VALU_DEP_2)
	v_fmac_f32_e32 v31, v11, v29
	v_fmac_f32_e32 v30, v27, v29
	ds_add_f32 v32, v31
	ds_add_f32 v32, v30 offset:4
.LBB65_35:                              ;   in Loop: Header=BB65_31 Depth=3
	s_or_b32 exec_lo, exec_lo, s56
	v_mov_b32_e32 v9, v8
	s_and_not1_b32 s55, s55, exec_lo
	s_and_b32 s12, s12, exec_lo
	s_mov_b32 s56, -1
	s_or_b32 s55, s55, s12
                                        ; implicit-def: $vgpr29
	s_and_saveexec_b32 s12, s11
	s_cbranch_execz .LBB65_30
; %bb.36:                               ;   in Loop: Header=BB65_31 Depth=3
	v_add_nc_u32_e32 v29, 16, v8
	v_mov_b32_e32 v9, v8
	s_and_not1_b32 s55, s55, exec_lo
	s_delay_alu instid0(VALU_DEP_2)
	v_cmp_ge_i32_e32 vcc_lo, v29, v10
	s_or_not1_b32 s56, vcc_lo, exec_lo
	s_branch .LBB65_30
.LBB65_37:                              ;   in Loop: Header=BB65_25 Depth=2
	s_or_b32 exec_lo, exec_lo, s54
	s_and_saveexec_b32 s11, s53
	s_delay_alu instid0(SALU_CYCLE_1)
	s_xor_b32 s11, exec_lo, s11
; %bb.38:                               ;   in Loop: Header=BB65_25 Depth=2
	v_min_i32_e32 v26, v28, v26
	v_mov_b32_e32 v5, v9
; %bb.39:                               ;   in Loop: Header=BB65_25 Depth=2
	s_or_b32 exec_lo, exec_lo, s11
.LBB65_40:                              ;   in Loop: Header=BB65_25 Depth=2
	s_delay_alu instid0(SALU_CYCLE_1)
	s_or_b32 exec_lo, exec_lo, s45
	ds_bpermute_b32 v8, v15, v5
	s_waitcnt lgkmcnt(0)
	v_min_i32_e32 v5, v8, v5
	ds_bpermute_b32 v8, v16, v5
	s_waitcnt lgkmcnt(0)
	v_min_i32_e32 v5, v8, v5
	;; [unrolled: 3-line block ×3, first 2 shown]
	ds_bpermute_b32 v8, v18, v5
	s_and_saveexec_b32 s11, s1
	s_cbranch_execz .LBB65_24
; %bb.41:                               ;   in Loop: Header=BB65_25 Depth=2
	s_waitcnt lgkmcnt(0)
	v_min_i32_e32 v8, v8, v5
	v_add_co_u32 v5, vcc_lo, s18, v6
	v_add_co_ci_u32_e32 v6, vcc_lo, s19, v7, vcc_lo
	global_store_b32 v[5:6], v8, off
	s_branch .LBB65_24
.LBB65_42:                              ;   in Loop: Header=BB65_25 Depth=2
                                        ; implicit-def: $vgpr5
	s_branch .LBB65_27
.LBB65_43:                              ;   in Loop: Header=BB65_18 Depth=1
	s_or_b32 exec_lo, exec_lo, s44
.LBB65_44:                              ;   in Loop: Header=BB65_18 Depth=1
	s_delay_alu instid0(SALU_CYCLE_1) | instskip(NEXT) | instid1(SALU_CYCLE_1)
	s_or_b32 exec_lo, exec_lo, s43
	s_and_not1_b32 vcc_lo, exec_lo, s34
	s_cbranch_vccnz .LBB65_58
; %bb.45:                               ;   in Loop: Header=BB65_18 Depth=1
	s_load_b64 s[10:11], s[28:29], 0x0
	s_mov_b32 s12, exec_lo
	s_waitcnt lgkmcnt(0)
	v_add_nc_u32_e32 v4, s10, v13
	s_sub_i32 s43, s11, s23
	s_delay_alu instid0(VALU_DEP_1) | instid1(SALU_CYCLE_1)
	v_cmpx_gt_i32_e64 s43, v4
	s_cbranch_execz .LBB65_57
; %bb.46:                               ;   in Loop: Header=BB65_18 Depth=1
	s_mov_b32 s44, 0
                                        ; implicit-def: $sgpr45
                                        ; implicit-def: $sgpr53
	s_branch .LBB65_48
.LBB65_47:                              ;   in Loop: Header=BB65_48 Depth=2
	s_or_b32 exec_lo, exec_lo, s54
	s_delay_alu instid0(SALU_CYCLE_1) | instskip(NEXT) | instid1(SALU_CYCLE_1)
	s_and_b32 s10, exec_lo, s11
	s_or_b32 s44, s10, s44
	s_and_not1_b32 s10, s45, exec_lo
	s_and_b32 s11, s53, exec_lo
	s_delay_alu instid0(SALU_CYCLE_1)
	s_or_b32 s45, s10, s11
	s_and_not1_b32 exec_lo, exec_lo, s44
	s_cbranch_execz .LBB65_54
.LBB65_48:                              ;   Parent Loop BB65_18 Depth=1
                                        ; =>  This Inner Loop Header: Depth=2
	v_ashrrev_i32_e32 v5, 31, v4
	s_delay_alu instid0(VALU_DEP_1) | instskip(NEXT) | instid1(VALU_DEP_1)
	v_lshlrev_b64 v[6:7], 2, v[4:5]
	v_add_co_u32 v6, vcc_lo, s24, v6
	s_delay_alu instid0(VALU_DEP_2) | instskip(SKIP_3) | instid1(VALU_DEP_1)
	v_add_co_ci_u32_e32 v7, vcc_lo, s25, v7, vcc_lo
	global_load_b32 v6, v[6:7], off
	s_waitcnt vmcnt(0)
	v_subrev_nc_u32_e32 v6, s23, v6
	v_cmp_lt_i32_e64 s10, v6, v24
	v_cmp_ge_i32_e64 s11, v6, v25
	v_cmp_lt_i32_e32 vcc_lo, v6, v25
	s_delay_alu instid0(VALU_DEP_2) | instskip(SKIP_2) | instid1(SALU_CYCLE_1)
	s_or_b32 s54, s10, s11
	s_mov_b32 s10, 0
                                        ; implicit-def: $sgpr11
	s_and_saveexec_b32 s55, s54
	s_xor_b32 s54, exec_lo, s55
; %bb.49:                               ;   in Loop: Header=BB65_48 Depth=2
	s_mov_b32 s11, -1
	s_and_b32 s10, vcc_lo, exec_lo
; %bb.50:                               ;   in Loop: Header=BB65_48 Depth=2
	s_and_not1_saveexec_b32 s54, s54
	s_cbranch_execz .LBB65_52
; %bb.51:                               ;   in Loop: Header=BB65_48 Depth=2
	v_lshlrev_b64 v[7:8], 3, v[4:5]
	v_sub_nc_u32_e32 v5, v6, v24
	s_or_b32 s10, s10, exec_lo
	s_delay_alu instid0(VALU_DEP_1) | instskip(NEXT) | instid1(VALU_DEP_3)
	v_lshlrev_b32_e32 v10, 3, v5
	v_add_co_u32 v7, vcc_lo, s26, v7
	s_delay_alu instid0(VALU_DEP_4) | instskip(SKIP_4) | instid1(VALU_DEP_1)
	v_add_co_ci_u32_e32 v8, vcc_lo, s27, v8, vcc_lo
	ds_store_b8 v5, v23 offset:16384
	global_load_b64 v[7:8], v[7:8], off
	s_waitcnt vmcnt(0)
	v_mul_f32_e64 v9, v8, -s52
	v_dual_mul_f32 v8, s35, v8 :: v_dual_fmac_f32 v9, s35, v7
	s_delay_alu instid0(VALU_DEP_1)
	v_fmac_f32_e32 v8, s52, v7
	ds_add_f32 v10, v9
	ds_add_f32 v10, v8 offset:4
.LBB65_52:                              ;   in Loop: Header=BB65_48 Depth=2
	s_or_b32 exec_lo, exec_lo, s54
	s_delay_alu instid0(SALU_CYCLE_1)
	s_and_not1_b32 s53, s53, exec_lo
	s_and_b32 s54, s11, exec_lo
	s_mov_b32 s11, -1
	s_or_b32 s53, s53, s54
	s_and_saveexec_b32 s54, s10
	s_cbranch_execz .LBB65_47
; %bb.53:                               ;   in Loop: Header=BB65_48 Depth=2
	v_add_nc_u32_e32 v4, 0x200, v4
	s_and_not1_b32 s53, s53, exec_lo
	s_delay_alu instid0(VALU_DEP_1)
	v_cmp_le_i32_e32 vcc_lo, s43, v4
	s_or_not1_b32 s11, vcc_lo, exec_lo
	s_branch .LBB65_47
.LBB65_54:                              ;   in Loop: Header=BB65_18 Depth=1
	s_or_b32 exec_lo, exec_lo, s44
	s_and_saveexec_b32 s10, s45
	s_delay_alu instid0(SALU_CYCLE_1)
	s_xor_b32 s10, exec_lo, s10
; %bb.55:                               ;   in Loop: Header=BB65_18 Depth=1
	v_min_i32_e32 v26, v6, v26
; %bb.56:                               ;   in Loop: Header=BB65_18 Depth=1
	s_or_b32 exec_lo, exec_lo, s10
.LBB65_57:                              ;   in Loop: Header=BB65_18 Depth=1
	s_delay_alu instid0(SALU_CYCLE_1)
	s_or_b32 exec_lo, exec_lo, s12
.LBB65_58:                              ;   in Loop: Header=BB65_18 Depth=1
	ds_bpermute_b32 v4, v15, v26
	s_waitcnt lgkmcnt(0)
	v_min_i32_e32 v4, v4, v26
	ds_bpermute_b32 v5, v16, v4
	s_waitcnt lgkmcnt(0)
	v_min_i32_e32 v4, v5, v4
	;; [unrolled: 3-line block ×3, first 2 shown]
	ds_bpermute_b32 v5, v18, v4
	s_and_saveexec_b32 s10, s1
	s_cbranch_execz .LBB65_63
; %bb.59:                               ;   in Loop: Header=BB65_18 Depth=1
	s_waitcnt lgkmcnt(0)
	v_min_i32_e32 v4, v5, v4
	s_mov_b32 s12, exec_lo
	s_brev_b32 s11, -2
.LBB65_60:                              ;   Parent Loop BB65_18 Depth=1
                                        ; =>  This Inner Loop Header: Depth=2
	s_ctz_i32_b32 s43, s12
	s_delay_alu instid0(VALU_DEP_1) | instid1(SALU_CYCLE_1)
	v_readlane_b32 s44, v4, s43
	s_lshl_b32 s43, 1, s43
	s_delay_alu instid0(SALU_CYCLE_1) | instskip(NEXT) | instid1(VALU_DEP_1)
	s_and_not1_b32 s12, s12, s43
	s_min_i32 s11, s11, s44
	s_cmp_lg_u32 s12, 0
	s_cbranch_scc1 .LBB65_60
; %bb.61:                               ;   in Loop: Header=BB65_18 Depth=1
	v_mbcnt_lo_u32_b32 v4, exec_lo, 0
	s_mov_b32 s12, exec_lo
	s_delay_alu instid0(VALU_DEP_1)
	v_cmpx_eq_u32_e32 0, v4
	s_xor_b32 s12, exec_lo, s12
	s_cbranch_execz .LBB65_63
; %bb.62:                               ;   in Loop: Header=BB65_18 Depth=1
	v_mov_b32_e32 v4, s11
	ds_min_i32 v2, v4 offset:18432
.LBB65_63:                              ;   in Loop: Header=BB65_18 Depth=1
	s_or_b32 exec_lo, exec_lo, s10
	v_dual_mov_b32 v7, v21 :: v_dual_add_nc_u32 v6, s22, v24
	v_mov_b32_e32 v8, v0
	s_mov_b32 s10, 0
	s_waitcnt lgkmcnt(0)
	s_waitcnt_vscnt null, 0x0
	s_barrier
	buffer_gl0_inv
	s_branch .LBB65_65
.LBB65_64:                              ;   in Loop: Header=BB65_65 Depth=2
	s_or_b32 exec_lo, exec_lo, s11
	s_waitcnt lgkmcnt(0)
	s_waitcnt_vscnt null, 0x0
	s_barrier
	buffer_gl0_inv
	ds_load_b32 v4, v2 offset:28
	v_add_nc_u32_e32 v5, 0x200, v8
	v_cmp_lt_u32_e32 vcc_lo, 0x5ff, v8
	s_delay_alu instid0(VALU_DEP_2)
	v_dual_mov_b32 v8, v5 :: v_dual_add_nc_u32 v7, 0x1000, v7
	s_or_b32 s10, vcc_lo, s10
	s_waitcnt lgkmcnt(0)
	v_add_nc_u32_e32 v22, v4, v22
	s_and_not1_b32 exec_lo, exec_lo, s10
	s_cbranch_execz .LBB65_17
.LBB65_65:                              ;   Parent Loop BB65_18 Depth=1
                                        ; =>  This Inner Loop Header: Depth=2
	ds_load_u8 v28, v8 offset:16384
	ds_load_b64 v[4:5], v7
	s_waitcnt lgkmcnt(0)
	s_barrier
	buffer_gl0_inv
	v_cmp_ne_u16_e32 vcc_lo, 0, v28
	s_bcnt1_i32_b32 s11, vcc_lo
	v_and_b32_e32 v29, vcc_lo, v1
	v_mov_b32_e32 v9, s11
	s_mov_b32 s11, exec_lo
	ds_store_b32 v19, v9
	s_waitcnt lgkmcnt(0)
	s_barrier
	buffer_gl0_inv
	ds_load_b128 v[24:27], v2
	ds_load_b96 v[9:11], v2 offset:16
	s_waitcnt lgkmcnt(1)
	v_cndmask_b32_e64 v24, v24, 0, s3
	v_cndmask_b32_e64 v25, v25, 0, s4
	;; [unrolled: 1-line block ×4, first 2 shown]
	s_waitcnt lgkmcnt(0)
	v_cndmask_b32_e64 v9, v9, 0, s7
	v_bcnt_u32_b32 v24, v29, v24
	v_cndmask_b32_e64 v10, v10, 0, s8
	v_cndmask_b32_e64 v11, v11, 0, s9
	s_delay_alu instid0(VALU_DEP_3) | instskip(NEXT) | instid1(VALU_DEP_1)
	v_add3_u32 v24, v24, v25, v26
	v_add3_u32 v9, v24, v27, v9
	v_and_b32_e32 v24, 1, v28
	s_delay_alu instid0(VALU_DEP_2) | instskip(NEXT) | instid1(VALU_DEP_2)
	v_add3_u32 v9, v9, v10, v11
	v_cmpx_eq_u32_e32 1, v24
	s_cbranch_execz .LBB65_67
; %bb.66:                               ;   in Loop: Header=BB65_65 Depth=2
	s_delay_alu instid0(VALU_DEP_2) | instskip(SKIP_1) | instid1(VALU_DEP_2)
	v_add3_u32 v10, v22, v9, -1
	v_add_nc_u32_e32 v26, v6, v8
	v_ashrrev_i32_e32 v11, 31, v10
	s_delay_alu instid0(VALU_DEP_1) | instskip(SKIP_1) | instid1(VALU_DEP_2)
	v_lshlrev_b64 v[24:25], 2, v[10:11]
	v_lshlrev_b64 v[10:11], 3, v[10:11]
	v_add_co_u32 v24, vcc_lo, s30, v24
	s_delay_alu instid0(VALU_DEP_3) | instskip(NEXT) | instid1(VALU_DEP_3)
	v_add_co_ci_u32_e32 v25, vcc_lo, s31, v25, vcc_lo
	v_add_co_u32 v10, vcc_lo, s16, v10
	s_delay_alu instid0(VALU_DEP_4)
	v_add_co_ci_u32_e32 v11, vcc_lo, s17, v11, vcc_lo
	global_store_b32 v[24:25], v26, off
	global_store_b64 v[10:11], v[4:5], off
.LBB65_67:                              ;   in Loop: Header=BB65_65 Depth=2
	s_or_b32 exec_lo, exec_lo, s11
	s_and_saveexec_b32 s11, s2
	s_cbranch_execz .LBB65_64
; %bb.68:                               ;   in Loop: Header=BB65_65 Depth=2
	ds_store_b32 v2, v9 offset:28
	s_branch .LBB65_64
.LBB65_69:
	s_endpgm
	.section	.rodata,"a",@progbits
	.p2align	6, 0x0
	.amdhsa_kernel _ZN9rocsparseL36csrgemm_fill_block_per_row_multipassILj512ELj16ELj2048ELj64Eii21rocsparse_complex_numIfEEEvT4_PKS3_S5_NS_24const_host_device_scalarIT5_EEPKT3_S5_PKS7_SB_S5_SD_S8_SB_S5_SD_SB_PS3_PS7_PS9_21rocsparse_index_base_SH_SH_SH_bbb
		.amdhsa_group_segment_fixed_size 18436
		.amdhsa_private_segment_fixed_size 0
		.amdhsa_kernarg_size 164
		.amdhsa_user_sgpr_count 15
		.amdhsa_user_sgpr_dispatch_ptr 0
		.amdhsa_user_sgpr_queue_ptr 0
		.amdhsa_user_sgpr_kernarg_segment_ptr 1
		.amdhsa_user_sgpr_dispatch_id 0
		.amdhsa_user_sgpr_private_segment_size 0
		.amdhsa_wavefront_size32 1
		.amdhsa_uses_dynamic_stack 0
		.amdhsa_enable_private_segment 0
		.amdhsa_system_sgpr_workgroup_id_x 1
		.amdhsa_system_sgpr_workgroup_id_y 0
		.amdhsa_system_sgpr_workgroup_id_z 0
		.amdhsa_system_sgpr_workgroup_info 0
		.amdhsa_system_vgpr_workitem_id 0
		.amdhsa_next_free_vgpr 33
		.amdhsa_next_free_sgpr 58
		.amdhsa_reserve_vcc 1
		.amdhsa_float_round_mode_32 0
		.amdhsa_float_round_mode_16_64 0
		.amdhsa_float_denorm_mode_32 3
		.amdhsa_float_denorm_mode_16_64 3
		.amdhsa_dx10_clamp 1
		.amdhsa_ieee_mode 1
		.amdhsa_fp16_overflow 0
		.amdhsa_workgroup_processor_mode 1
		.amdhsa_memory_ordered 1
		.amdhsa_forward_progress 0
		.amdhsa_shared_vgpr_count 0
		.amdhsa_exception_fp_ieee_invalid_op 0
		.amdhsa_exception_fp_denorm_src 0
		.amdhsa_exception_fp_ieee_div_zero 0
		.amdhsa_exception_fp_ieee_overflow 0
		.amdhsa_exception_fp_ieee_underflow 0
		.amdhsa_exception_fp_ieee_inexact 0
		.amdhsa_exception_int_div_zero 0
	.end_amdhsa_kernel
	.section	.text._ZN9rocsparseL36csrgemm_fill_block_per_row_multipassILj512ELj16ELj2048ELj64Eii21rocsparse_complex_numIfEEEvT4_PKS3_S5_NS_24const_host_device_scalarIT5_EEPKT3_S5_PKS7_SB_S5_SD_S8_SB_S5_SD_SB_PS3_PS7_PS9_21rocsparse_index_base_SH_SH_SH_bbb,"axG",@progbits,_ZN9rocsparseL36csrgemm_fill_block_per_row_multipassILj512ELj16ELj2048ELj64Eii21rocsparse_complex_numIfEEEvT4_PKS3_S5_NS_24const_host_device_scalarIT5_EEPKT3_S5_PKS7_SB_S5_SD_S8_SB_S5_SD_SB_PS3_PS7_PS9_21rocsparse_index_base_SH_SH_SH_bbb,comdat
.Lfunc_end65:
	.size	_ZN9rocsparseL36csrgemm_fill_block_per_row_multipassILj512ELj16ELj2048ELj64Eii21rocsparse_complex_numIfEEEvT4_PKS3_S5_NS_24const_host_device_scalarIT5_EEPKT3_S5_PKS7_SB_S5_SD_S8_SB_S5_SD_SB_PS3_PS7_PS9_21rocsparse_index_base_SH_SH_SH_bbb, .Lfunc_end65-_ZN9rocsparseL36csrgemm_fill_block_per_row_multipassILj512ELj16ELj2048ELj64Eii21rocsparse_complex_numIfEEEvT4_PKS3_S5_NS_24const_host_device_scalarIT5_EEPKT3_S5_PKS7_SB_S5_SD_S8_SB_S5_SD_SB_PS3_PS7_PS9_21rocsparse_index_base_SH_SH_SH_bbb
                                        ; -- End function
	.section	.AMDGPU.csdata,"",@progbits
; Kernel info:
; codeLenInByte = 2724
; NumSgprs: 60
; NumVgprs: 33
; ScratchSize: 0
; MemoryBound: 0
; FloatMode: 240
; IeeeMode: 1
; LDSByteSize: 18436 bytes/workgroup (compile time only)
; SGPRBlocks: 7
; VGPRBlocks: 4
; NumSGPRsForWavesPerEU: 60
; NumVGPRsForWavesPerEU: 33
; Occupancy: 16
; WaveLimiterHint : 1
; COMPUTE_PGM_RSRC2:SCRATCH_EN: 0
; COMPUTE_PGM_RSRC2:USER_SGPR: 15
; COMPUTE_PGM_RSRC2:TRAP_HANDLER: 0
; COMPUTE_PGM_RSRC2:TGID_X_EN: 1
; COMPUTE_PGM_RSRC2:TGID_Y_EN: 0
; COMPUTE_PGM_RSRC2:TGID_Z_EN: 0
; COMPUTE_PGM_RSRC2:TIDIG_COMP_CNT: 0
	.section	.text._ZN9rocsparseL26csrgemm_group_reduce_part2ILj256ELj11E21rocsparse_complex_numIdEiiEEvT3_PKT2_PS3_Pij,"axG",@progbits,_ZN9rocsparseL26csrgemm_group_reduce_part2ILj256ELj11E21rocsparse_complex_numIdEiiEEvT3_PKT2_PS3_Pij,comdat
	.globl	_ZN9rocsparseL26csrgemm_group_reduce_part2ILj256ELj11E21rocsparse_complex_numIdEiiEEvT3_PKT2_PS3_Pij ; -- Begin function _ZN9rocsparseL26csrgemm_group_reduce_part2ILj256ELj11E21rocsparse_complex_numIdEiiEEvT3_PKT2_PS3_Pij
	.p2align	8
	.type	_ZN9rocsparseL26csrgemm_group_reduce_part2ILj256ELj11E21rocsparse_complex_numIdEiiEEvT3_PKT2_PS3_Pij,@function
_ZN9rocsparseL26csrgemm_group_reduce_part2ILj256ELj11E21rocsparse_complex_numIdEiiEEvT3_PKT2_PS3_Pij: ; @_ZN9rocsparseL26csrgemm_group_reduce_part2ILj256ELj11E21rocsparse_complex_numIdEiiEEvT3_PKT2_PS3_Pij
; %bb.0:
	s_clause 0x1
	s_load_b32 s8, s[0:1], 0x0
	s_load_b64 s[2:3], s[0:1], 0x10
	v_mul_u32_u24_e32 v2, 11, v0
	v_mov_b32_e32 v5, 0
	v_lshl_or_b32 v1, s15, 8, v0
	s_mov_b32 s9, 0
	s_mov_b32 s10, exec_lo
	v_lshlrev_b32_e32 v4, 2, v2
	ds_store_2addr_b32 v4, v5, v5 offset1:1
	ds_store_2addr_b32 v4, v5, v5 offset0:2 offset1:3
	ds_store_2addr_b32 v4, v5, v5 offset0:4 offset1:5
	;; [unrolled: 1-line block ×4, first 2 shown]
	ds_store_b32 v4, v5 offset:40
	s_waitcnt lgkmcnt(0)
	buffer_gl0_inv
	v_cmpx_gt_i32_e64 s8, v1
	s_cbranch_execz .LBB66_43
; %bb.1:
	s_clause 0x3
	s_load_b32 s11, s[0:1], 0x20
	s_load_b32 s12, s[0:1], 0x28
	s_load_b64 s[4:5], s[0:1], 0x8
	s_load_b64 s[6:7], s[0:1], 0x18
	v_dual_mov_b32 v6, 6 :: v_dual_mov_b32 v7, 7
	v_dual_mov_b32 v8, 8 :: v_dual_mov_b32 v9, 9
	;; [unrolled: 1-line block ×5, first 2 shown]
	s_waitcnt lgkmcnt(0)
	s_cmp_lt_u32 s11, 0x14084
	s_cselect_b32 s0, -1, 0
	s_cmp_lt_u32 s11, 0x28084
	s_cselect_b32 s13, -1, 0
	;; [unrolled: 2-line block ×4, first 2 shown]
	s_lshl_b32 s1, s12, 8
	s_xor_b32 s11, s0, -1
	s_xor_b32 s12, s13, -1
	;; [unrolled: 1-line block ×4, first 2 shown]
	s_branch .LBB66_3
.LBB66_2:                               ;   in Loop: Header=BB66_3 Depth=1
	s_or_b32 exec_lo, exec_lo, s0
	v_add_nc_u32_e32 v1, s1, v1
	s_delay_alu instid0(VALU_DEP_1) | instskip(SKIP_1) | instid1(SALU_CYCLE_1)
	v_cmp_le_i32_e32 vcc_lo, s8, v1
	s_or_b32 s9, vcc_lo, s9
	s_and_not1_b32 exec_lo, exec_lo, s9
	s_cbranch_execz .LBB66_43
.LBB66_3:                               ; =>This Inner Loop Header: Depth=1
	v_ashrrev_i32_e32 v2, 31, v1
	s_mov_b32 s0, exec_lo
	s_delay_alu instid0(VALU_DEP_1) | instskip(NEXT) | instid1(VALU_DEP_1)
	v_lshlrev_b64 v[2:3], 2, v[1:2]
	v_add_co_u32 v16, vcc_lo, s4, v2
	s_delay_alu instid0(VALU_DEP_2) | instskip(SKIP_3) | instid1(VALU_DEP_1)
	v_add_co_ci_u32_e32 v17, vcc_lo, s5, v3, vcc_lo
	global_load_b64 v[16:17], v[16:17], off
	s_waitcnt vmcnt(0)
	v_sub_nc_u32_e32 v16, v17, v16
	v_cmpx_lt_i32_e32 16, v16
	s_xor_b32 s16, exec_lo, s0
	s_cbranch_execz .LBB66_41
; %bb.4:                                ;   in Loop: Header=BB66_3 Depth=1
	s_mov_b32 s0, exec_lo
	v_cmpx_lt_u32_e32 32, v16
	s_xor_b32 s17, exec_lo, s0
	s_cbranch_execz .LBB66_38
; %bb.5:                                ;   in Loop: Header=BB66_3 Depth=1
	s_mov_b32 s0, exec_lo
	v_cmpx_lt_u32_e32 0x100, v16
	;; [unrolled: 5-line block ×5, first 2 shown]
	s_xor_b32 s21, exec_lo, s0
	s_cbranch_execz .LBB66_26
; %bb.9:                                ;   in Loop: Header=BB66_3 Depth=1
	v_cmp_gt_u32_e32 vcc_lo, 0x1001, v16
	s_and_b32 s0, s11, vcc_lo
	s_delay_alu instid0(SALU_CYCLE_1) | instskip(NEXT) | instid1(SALU_CYCLE_1)
	s_and_saveexec_b32 s22, s0
	s_xor_b32 s0, exec_lo, s22
	s_cbranch_execz .LBB66_11
; %bb.10:                               ;   in Loop: Header=BB66_3 Depth=1
	ds_load_b32 v16, v4 offset:24
	v_add_co_u32 v2, vcc_lo, s6, v2
	v_add_co_ci_u32_e32 v3, vcc_lo, s7, v3, vcc_lo
	global_store_b32 v[2:3], v6, off
                                        ; implicit-def: $vgpr2_vgpr3
	s_waitcnt lgkmcnt(0)
	v_add_nc_u32_e32 v16, 1, v16
	ds_store_b32 v4, v16 offset:24
                                        ; implicit-def: $vgpr16
.LBB66_11:                              ;   in Loop: Header=BB66_3 Depth=1
	s_and_not1_saveexec_b32 s22, s0
	s_cbranch_execz .LBB66_25
; %bb.12:                               ;   in Loop: Header=BB66_3 Depth=1
	v_cmp_gt_u32_e32 vcc_lo, 0x2001, v16
	s_and_b32 s0, s12, vcc_lo
	s_delay_alu instid0(SALU_CYCLE_1) | instskip(NEXT) | instid1(SALU_CYCLE_1)
	s_and_saveexec_b32 s23, s0
	s_xor_b32 s0, exec_lo, s23
	s_cbranch_execz .LBB66_14
; %bb.13:                               ;   in Loop: Header=BB66_3 Depth=1
	ds_load_b32 v16, v4 offset:28
	v_add_co_u32 v2, vcc_lo, s6, v2
	v_add_co_ci_u32_e32 v3, vcc_lo, s7, v3, vcc_lo
	global_store_b32 v[2:3], v7, off
                                        ; implicit-def: $vgpr2_vgpr3
	s_waitcnt lgkmcnt(0)
	v_add_nc_u32_e32 v16, 1, v16
	ds_store_b32 v4, v16 offset:28
                                        ; implicit-def: $vgpr16
.LBB66_14:                              ;   in Loop: Header=BB66_3 Depth=1
	s_and_not1_saveexec_b32 s23, s0
	s_cbranch_execz .LBB66_24
; %bb.15:                               ;   in Loop: Header=BB66_3 Depth=1
	;; [unrolled: 20-line block ×3, first 2 shown]
	v_cmp_gt_u32_e32 vcc_lo, 0x8001, v16
	v_add_co_u32 v2, s0, s6, v2
	s_delay_alu instid0(VALU_DEP_1) | instskip(SKIP_1) | instid1(SALU_CYCLE_1)
	v_add_co_ci_u32_e64 v3, s0, s7, v3, s0
	s_and_b32 s0, s14, vcc_lo
	s_and_saveexec_b32 s25, s0
	s_delay_alu instid0(SALU_CYCLE_1)
	s_xor_b32 s0, exec_lo, s25
	s_cbranch_execz .LBB66_20
; %bb.19:                               ;   in Loop: Header=BB66_3 Depth=1
	ds_load_b32 v16, v4 offset:36
	global_store_b32 v[2:3], v9, off
                                        ; implicit-def: $vgpr2_vgpr3
	s_waitcnt lgkmcnt(0)
	v_add_nc_u32_e32 v16, 1, v16
	ds_store_b32 v4, v16 offset:36
.LBB66_20:                              ;   in Loop: Header=BB66_3 Depth=1
	s_and_not1_saveexec_b32 s0, s0
	s_cbranch_execz .LBB66_22
; %bb.21:                               ;   in Loop: Header=BB66_3 Depth=1
	ds_load_b32 v16, v4 offset:40
	global_store_b32 v[2:3], v10, off
	s_waitcnt lgkmcnt(0)
	v_add_nc_u32_e32 v16, 1, v16
	ds_store_b32 v4, v16 offset:40
.LBB66_22:                              ;   in Loop: Header=BB66_3 Depth=1
	s_or_b32 exec_lo, exec_lo, s0
.LBB66_23:                              ;   in Loop: Header=BB66_3 Depth=1
	s_delay_alu instid0(SALU_CYCLE_1)
	s_or_b32 exec_lo, exec_lo, s24
.LBB66_24:                              ;   in Loop: Header=BB66_3 Depth=1
	s_delay_alu instid0(SALU_CYCLE_1)
	s_or_b32 exec_lo, exec_lo, s23
.LBB66_25:                              ;   in Loop: Header=BB66_3 Depth=1
	s_delay_alu instid0(SALU_CYCLE_1)
	s_or_b32 exec_lo, exec_lo, s22
                                        ; implicit-def: $vgpr2_vgpr3
.LBB66_26:                              ;   in Loop: Header=BB66_3 Depth=1
	s_and_not1_saveexec_b32 s0, s21
	s_cbranch_execz .LBB66_28
; %bb.27:                               ;   in Loop: Header=BB66_3 Depth=1
	ds_load_b32 v16, v4 offset:20
	v_add_co_u32 v2, vcc_lo, s6, v2
	v_add_co_ci_u32_e32 v3, vcc_lo, s7, v3, vcc_lo
	global_store_b32 v[2:3], v11, off
	s_waitcnt lgkmcnt(0)
	v_add_nc_u32_e32 v16, 1, v16
	ds_store_b32 v4, v16 offset:20
.LBB66_28:                              ;   in Loop: Header=BB66_3 Depth=1
	s_or_b32 exec_lo, exec_lo, s0
                                        ; implicit-def: $vgpr2_vgpr3
.LBB66_29:                              ;   in Loop: Header=BB66_3 Depth=1
	s_and_not1_saveexec_b32 s0, s20
	s_cbranch_execz .LBB66_31
; %bb.30:                               ;   in Loop: Header=BB66_3 Depth=1
	ds_load_b32 v16, v4 offset:16
	v_add_co_u32 v2, vcc_lo, s6, v2
	v_add_co_ci_u32_e32 v3, vcc_lo, s7, v3, vcc_lo
	global_store_b32 v[2:3], v12, off
	s_waitcnt lgkmcnt(0)
	v_add_nc_u32_e32 v16, 1, v16
	ds_store_b32 v4, v16 offset:16
.LBB66_31:                              ;   in Loop: Header=BB66_3 Depth=1
	s_or_b32 exec_lo, exec_lo, s0
                                        ; implicit-def: $vgpr2_vgpr3
.LBB66_32:                              ;   in Loop: Header=BB66_3 Depth=1
	s_and_not1_saveexec_b32 s0, s19
	s_cbranch_execz .LBB66_34
; %bb.33:                               ;   in Loop: Header=BB66_3 Depth=1
	ds_load_b32 v16, v4 offset:12
	v_add_co_u32 v2, vcc_lo, s6, v2
	v_add_co_ci_u32_e32 v3, vcc_lo, s7, v3, vcc_lo
	global_store_b32 v[2:3], v13, off
	s_waitcnt lgkmcnt(0)
	v_add_nc_u32_e32 v16, 1, v16
	ds_store_b32 v4, v16 offset:12
.LBB66_34:                              ;   in Loop: Header=BB66_3 Depth=1
	s_or_b32 exec_lo, exec_lo, s0
                                        ; implicit-def: $vgpr2_vgpr3
.LBB66_35:                              ;   in Loop: Header=BB66_3 Depth=1
	s_and_not1_saveexec_b32 s0, s18
	s_cbranch_execz .LBB66_37
; %bb.36:                               ;   in Loop: Header=BB66_3 Depth=1
	ds_load_b32 v16, v4 offset:8
	v_add_co_u32 v2, vcc_lo, s6, v2
	v_add_co_ci_u32_e32 v3, vcc_lo, s7, v3, vcc_lo
	global_store_b32 v[2:3], v14, off
	s_waitcnt lgkmcnt(0)
	v_add_nc_u32_e32 v16, 1, v16
	ds_store_b32 v4, v16 offset:8
.LBB66_37:                              ;   in Loop: Header=BB66_3 Depth=1
	s_or_b32 exec_lo, exec_lo, s0
                                        ; implicit-def: $vgpr2_vgpr3
.LBB66_38:                              ;   in Loop: Header=BB66_3 Depth=1
	s_and_not1_saveexec_b32 s0, s17
	s_cbranch_execz .LBB66_40
; %bb.39:                               ;   in Loop: Header=BB66_3 Depth=1
	ds_load_b32 v16, v4 offset:4
	v_add_co_u32 v2, vcc_lo, s6, v2
	v_add_co_ci_u32_e32 v3, vcc_lo, s7, v3, vcc_lo
	global_store_b32 v[2:3], v15, off
	s_waitcnt lgkmcnt(0)
	v_add_nc_u32_e32 v16, 1, v16
	ds_store_b32 v4, v16 offset:4
.LBB66_40:                              ;   in Loop: Header=BB66_3 Depth=1
	s_or_b32 exec_lo, exec_lo, s0
                                        ; implicit-def: $vgpr2_vgpr3
.LBB66_41:                              ;   in Loop: Header=BB66_3 Depth=1
	s_and_not1_saveexec_b32 s0, s16
	s_cbranch_execz .LBB66_2
; %bb.42:                               ;   in Loop: Header=BB66_3 Depth=1
	ds_load_b32 v16, v4
	v_add_co_u32 v2, vcc_lo, s6, v2
	v_add_co_ci_u32_e32 v3, vcc_lo, s7, v3, vcc_lo
	global_store_b32 v[2:3], v5, off
	s_waitcnt lgkmcnt(0)
	v_add_nc_u32_e32 v16, 1, v16
	ds_store_b32 v4, v16
	s_branch .LBB66_2
.LBB66_43:
	s_or_b32 exec_lo, exec_lo, s10
	s_delay_alu instid0(SALU_CYCLE_1)
	s_mov_b32 s0, exec_lo
	s_waitcnt lgkmcnt(0)
	s_waitcnt_vscnt null, 0x0
	s_barrier
	buffer_gl0_inv
	s_barrier
	buffer_gl0_inv
	s_barrier
	buffer_gl0_inv
	v_cmpx_gt_u32_e32 0x80, v0
	s_cbranch_execz .LBB66_45
; %bb.44:
	v_add_nc_u32_e32 v1, 0x1600, v4
	v_add_nc_u32_e32 v3, 0x1608, v4
	;; [unrolled: 1-line block ×5, first 2 shown]
	ds_load_2addr_b32 v[1:2], v1 offset1:1
	ds_load_2addr_b32 v[5:6], v3 offset1:1
	;; [unrolled: 1-line block ×3, first 2 shown]
	v_add_nc_u32_e32 v3, 0x1618, v4
	ds_load_2addr_b32 v[9:10], v4 offset1:1
	ds_load_2addr_b32 v[11:12], v4 offset0:2 offset1:3
	ds_load_2addr_b32 v[13:14], v4 offset0:4 offset1:5
	ds_load_2addr_b32 v[15:16], v4 offset0:6 offset1:7
	ds_load_2addr_b32 v[17:18], v3 offset1:1
	ds_load_2addr_b32 v[19:20], v19 offset1:1
	ds_load_2addr_b32 v[21:22], v4 offset0:8 offset1:9
	ds_load_2addr_stride64_b32 v[23:24], v23 offset1:22
	s_waitcnt lgkmcnt(6)
	v_add_nc_u32_e32 v3, v11, v5
	v_add_nc_u32_e32 v1, v9, v1
	;; [unrolled: 1-line block ×4, first 2 shown]
	s_waitcnt lgkmcnt(5)
	v_add_nc_u32_e32 v6, v13, v7
	v_add_nc_u32_e32 v7, v14, v8
	s_waitcnt lgkmcnt(3)
	v_add_nc_u32_e32 v8, v15, v17
	v_add_nc_u32_e32 v9, v16, v18
	;; [unrolled: 3-line block ×3, first 2 shown]
	s_waitcnt lgkmcnt(0)
	v_add_nc_u32_e32 v12, v23, v24
	ds_store_2addr_b32 v4, v1, v2 offset1:1
	ds_store_2addr_b32 v4, v3, v5 offset0:2 offset1:3
	ds_store_2addr_b32 v4, v6, v7 offset0:4 offset1:5
	;; [unrolled: 1-line block ×4, first 2 shown]
	ds_store_b32 v4, v12 offset:40
.LBB66_45:
	s_or_b32 exec_lo, exec_lo, s0
	s_delay_alu instid0(SALU_CYCLE_1)
	s_mov_b32 s0, exec_lo
	s_waitcnt lgkmcnt(0)
	s_barrier
	buffer_gl0_inv
	v_cmpx_gt_u32_e32 64, v0
	s_cbranch_execz .LBB66_47
; %bb.46:
	v_add_nc_u32_e32 v1, 0xb00, v4
	v_add_nc_u32_e32 v3, 0xb08, v4
	;; [unrolled: 1-line block ×5, first 2 shown]
	ds_load_2addr_b32 v[1:2], v1 offset1:1
	ds_load_2addr_b32 v[5:6], v3 offset1:1
	;; [unrolled: 1-line block ×3, first 2 shown]
	v_add_nc_u32_e32 v3, 0xb18, v4
	ds_load_2addr_b32 v[9:10], v4 offset1:1
	ds_load_2addr_b32 v[11:12], v4 offset0:2 offset1:3
	ds_load_2addr_b32 v[13:14], v4 offset0:4 offset1:5
	;; [unrolled: 1-line block ×3, first 2 shown]
	ds_load_2addr_b32 v[17:18], v3 offset1:1
	ds_load_2addr_b32 v[19:20], v19 offset1:1
	ds_load_2addr_b32 v[21:22], v4 offset0:8 offset1:9
	ds_load_2addr_stride64_b32 v[23:24], v23 offset1:11
	s_waitcnt lgkmcnt(6)
	v_add_nc_u32_e32 v3, v11, v5
	v_add_nc_u32_e32 v1, v9, v1
	;; [unrolled: 1-line block ×4, first 2 shown]
	s_waitcnt lgkmcnt(5)
	v_add_nc_u32_e32 v6, v13, v7
	v_add_nc_u32_e32 v7, v14, v8
	s_waitcnt lgkmcnt(3)
	v_add_nc_u32_e32 v8, v15, v17
	v_add_nc_u32_e32 v9, v16, v18
	;; [unrolled: 3-line block ×3, first 2 shown]
	s_waitcnt lgkmcnt(0)
	v_add_nc_u32_e32 v12, v23, v24
	ds_store_2addr_b32 v4, v1, v2 offset1:1
	ds_store_2addr_b32 v4, v3, v5 offset0:2 offset1:3
	ds_store_2addr_b32 v4, v6, v7 offset0:4 offset1:5
	;; [unrolled: 1-line block ×4, first 2 shown]
	ds_store_b32 v4, v12 offset:40
.LBB66_47:
	s_or_b32 exec_lo, exec_lo, s0
	s_delay_alu instid0(SALU_CYCLE_1)
	s_mov_b32 s0, exec_lo
	s_waitcnt lgkmcnt(0)
	s_barrier
	buffer_gl0_inv
	v_cmpx_gt_u32_e32 32, v0
	s_cbranch_execz .LBB66_49
; %bb.48:
	v_add_nc_u32_e32 v3, 0x580, v4
	v_add_nc_u32_e32 v9, 0x588, v4
	ds_load_2addr_b32 v[1:2], v4 offset1:1
	ds_load_2addr_b32 v[5:6], v4 offset0:2 offset1:3
	v_add_nc_u32_e32 v11, 0x590, v4
	v_add_nc_u32_e32 v19, 0x5a0, v4
	ds_load_2addr_b32 v[7:8], v3 offset1:1
	v_add_nc_u32_e32 v3, 0x598, v4
	ds_load_2addr_b32 v[9:10], v9 offset1:1
	ds_load_2addr_b32 v[11:12], v11 offset1:1
	ds_load_2addr_b32 v[13:14], v4 offset0:4 offset1:5
	ds_load_2addr_b32 v[15:16], v4 offset0:6 offset1:7
	ds_load_2addr_b32 v[17:18], v3 offset1:1
	ds_load_2addr_b32 v[19:20], v19 offset1:1
	ds_load_2addr_b32 v[21:22], v4 offset0:8 offset1:9
	ds_load_b32 v3, v4 offset:1448
	ds_load_b32 v23, v4 offset:40
	s_waitcnt lgkmcnt(8)
	v_add_nc_u32_e32 v5, v5, v9
	v_add_nc_u32_e32 v6, v6, v10
	s_waitcnt lgkmcnt(4)
	v_add_nc_u32_e32 v9, v15, v17
	v_add_nc_u32_e32 v1, v1, v7
	;; [unrolled: 1-line block ×6, first 2 shown]
	s_waitcnt lgkmcnt(2)
	v_add_nc_u32_e32 v11, v21, v19
	v_add_nc_u32_e32 v12, v22, v20
	s_waitcnt lgkmcnt(0)
	v_add_nc_u32_e32 v3, v23, v3
	ds_store_2addr_b32 v4, v1, v2 offset1:1
	ds_store_2addr_b32 v4, v5, v6 offset0:2 offset1:3
	ds_store_2addr_b32 v4, v7, v8 offset0:4 offset1:5
	;; [unrolled: 1-line block ×4, first 2 shown]
	ds_store_b32 v4, v3 offset:40
.LBB66_49:
	s_or_b32 exec_lo, exec_lo, s0
	s_delay_alu instid0(SALU_CYCLE_1)
	s_mov_b32 s0, exec_lo
	s_waitcnt lgkmcnt(0)
	s_barrier
	buffer_gl0_inv
	v_cmpx_gt_u32_e32 16, v0
	s_cbranch_execz .LBB66_51
; %bb.50:
	ds_load_2addr_b32 v[1:2], v4 offset0:176 offset1:177
	ds_load_2addr_b32 v[5:6], v4 offset1:1
	ds_load_2addr_b32 v[7:8], v4 offset0:2 offset1:3
	ds_load_2addr_b32 v[9:10], v4 offset0:178 offset1:179
	ds_load_2addr_b32 v[11:12], v4 offset0:180 offset1:181
	ds_load_2addr_b32 v[13:14], v4 offset0:4 offset1:5
	ds_load_2addr_b32 v[15:16], v4 offset0:6 offset1:7
	ds_load_2addr_b32 v[17:18], v4 offset0:182 offset1:183
	ds_load_2addr_b32 v[19:20], v4 offset0:184 offset1:185
	ds_load_2addr_b32 v[21:22], v4 offset0:8 offset1:9
	ds_load_2addr_b32 v[23:24], v4 offset0:10 offset1:186
	s_waitcnt lgkmcnt(9)
	v_add_nc_u32_e32 v1, v5, v1
	v_add_nc_u32_e32 v2, v6, v2
	s_waitcnt lgkmcnt(7)
	v_add_nc_u32_e32 v3, v7, v9
	v_add_nc_u32_e32 v5, v8, v10
	s_waitcnt lgkmcnt(5)
	v_add_nc_u32_e32 v6, v13, v11
	v_add_nc_u32_e32 v7, v14, v12
	s_waitcnt lgkmcnt(3)
	v_add_nc_u32_e32 v8, v15, v17
	v_add_nc_u32_e32 v9, v16, v18
	s_waitcnt lgkmcnt(1)
	v_add_nc_u32_e32 v10, v21, v19
	v_add_nc_u32_e32 v11, v22, v20
	s_waitcnt lgkmcnt(0)
	v_add_nc_u32_e32 v12, v23, v24
	ds_store_2addr_b32 v4, v1, v2 offset1:1
	ds_store_2addr_b32 v4, v3, v5 offset0:2 offset1:3
	ds_store_2addr_b32 v4, v6, v7 offset0:4 offset1:5
	ds_store_2addr_b32 v4, v8, v9 offset0:6 offset1:7
	ds_store_2addr_b32 v4, v10, v11 offset0:8 offset1:9
	ds_store_b32 v4, v12 offset:40
.LBB66_51:
	s_or_b32 exec_lo, exec_lo, s0
	s_delay_alu instid0(SALU_CYCLE_1)
	s_mov_b32 s0, exec_lo
	s_waitcnt lgkmcnt(0)
	s_barrier
	buffer_gl0_inv
	v_cmpx_gt_u32_e32 8, v0
	s_cbranch_execz .LBB66_53
; %bb.52:
	ds_load_2addr_b32 v[1:2], v4 offset0:88 offset1:89
	ds_load_2addr_b32 v[5:6], v4 offset1:1
	ds_load_2addr_b32 v[7:8], v4 offset0:2 offset1:3
	ds_load_2addr_b32 v[9:10], v4 offset0:90 offset1:91
	ds_load_2addr_b32 v[11:12], v4 offset0:92 offset1:93
	ds_load_2addr_b32 v[13:14], v4 offset0:4 offset1:5
	ds_load_2addr_b32 v[15:16], v4 offset0:6 offset1:7
	ds_load_2addr_b32 v[17:18], v4 offset0:94 offset1:95
	ds_load_2addr_b32 v[19:20], v4 offset0:96 offset1:97
	ds_load_2addr_b32 v[21:22], v4 offset0:8 offset1:9
	ds_load_2addr_b32 v[23:24], v4 offset0:10 offset1:98
	s_waitcnt lgkmcnt(9)
	v_add_nc_u32_e32 v1, v5, v1
	v_add_nc_u32_e32 v2, v6, v2
	s_waitcnt lgkmcnt(7)
	v_add_nc_u32_e32 v3, v7, v9
	v_add_nc_u32_e32 v5, v8, v10
	s_waitcnt lgkmcnt(5)
	v_add_nc_u32_e32 v6, v13, v11
	v_add_nc_u32_e32 v7, v14, v12
	s_waitcnt lgkmcnt(3)
	v_add_nc_u32_e32 v8, v15, v17
	v_add_nc_u32_e32 v9, v16, v18
	s_waitcnt lgkmcnt(1)
	v_add_nc_u32_e32 v10, v21, v19
	v_add_nc_u32_e32 v11, v22, v20
	s_waitcnt lgkmcnt(0)
	v_add_nc_u32_e32 v12, v23, v24
	ds_store_2addr_b32 v4, v1, v2 offset1:1
	ds_store_2addr_b32 v4, v3, v5 offset0:2 offset1:3
	ds_store_2addr_b32 v4, v6, v7 offset0:4 offset1:5
	ds_store_2addr_b32 v4, v8, v9 offset0:6 offset1:7
	ds_store_2addr_b32 v4, v10, v11 offset0:8 offset1:9
	ds_store_b32 v4, v12 offset:40
.LBB66_53:
	;; [unrolled: 44-line block ×4, first 2 shown]
	s_or_b32 exec_lo, exec_lo, s0
	s_delay_alu instid0(SALU_CYCLE_1)
	s_mov_b32 s0, exec_lo
	s_waitcnt lgkmcnt(0)
	s_barrier
	buffer_gl0_inv
	v_cmpx_eq_u32_e32 0, v0
	s_cbranch_execz .LBB66_59
; %bb.58:
	v_mov_b32_e32 v23, 0
	ds_load_b128 v[1:4], v23
	ds_load_b128 v[5:8], v23 offset:32
	ds_load_b128 v[9:12], v23 offset:48
	;; [unrolled: 1-line block ×4, first 2 shown]
	ds_load_b64 v[21:22], v23 offset:80
	s_waitcnt lgkmcnt(4)
	v_add_nc_u32_e32 v1, v1, v8
	s_waitcnt lgkmcnt(3)
	v_add_nc_u32_e32 v2, v2, v9
	v_add_nc_u32_e32 v3, v3, v10
	;; [unrolled: 1-line block ×3, first 2 shown]
	s_waitcnt lgkmcnt(2)
	v_add_nc_u32_e32 v8, v13, v12
	s_waitcnt lgkmcnt(1)
	v_add_nc_u32_e32 v9, v14, v17
	v_add_nc_u32_e32 v10, v15, v18
	;; [unrolled: 1-line block ×4, first 2 shown]
	s_waitcnt lgkmcnt(0)
	v_add_nc_u32_e32 v6, v6, v21
	v_add_nc_u32_e32 v7, v7, v22
	ds_store_b128 v23, v[1:4]
	ds_store_b128 v23, v[8:11] offset:16
	ds_store_b96 v23, v[5:7] offset:32
.LBB66_59:
	s_or_b32 exec_lo, exec_lo, s0
	s_waitcnt lgkmcnt(0)
	s_barrier
	buffer_gl0_inv
	s_mov_b32 s0, exec_lo
	v_cmpx_gt_u32_e32 11, v0
	s_cbranch_execz .LBB66_61
; %bb.60:
	v_lshlrev_b32_e32 v3, 2, v0
	v_mad_u64_u32 v[1:2], null, s15, 11, v[0:1]
	v_mov_b32_e32 v2, 0
	ds_load_b32 v3, v3
	v_lshlrev_b64 v[0:1], 2, v[1:2]
	s_delay_alu instid0(VALU_DEP_1) | instskip(NEXT) | instid1(VALU_DEP_2)
	v_add_co_u32 v0, vcc_lo, s2, v0
	v_add_co_ci_u32_e32 v1, vcc_lo, s3, v1, vcc_lo
	s_waitcnt lgkmcnt(0)
	global_store_b32 v[0:1], v3, off
.LBB66_61:
	s_nop 0
	s_sendmsg sendmsg(MSG_DEALLOC_VGPRS)
	s_endpgm
	.section	.rodata,"a",@progbits
	.p2align	6, 0x0
	.amdhsa_kernel _ZN9rocsparseL26csrgemm_group_reduce_part2ILj256ELj11E21rocsparse_complex_numIdEiiEEvT3_PKT2_PS3_Pij
		.amdhsa_group_segment_fixed_size 11264
		.amdhsa_private_segment_fixed_size 0
		.amdhsa_kernarg_size 296
		.amdhsa_user_sgpr_count 15
		.amdhsa_user_sgpr_dispatch_ptr 0
		.amdhsa_user_sgpr_queue_ptr 0
		.amdhsa_user_sgpr_kernarg_segment_ptr 1
		.amdhsa_user_sgpr_dispatch_id 0
		.amdhsa_user_sgpr_private_segment_size 0
		.amdhsa_wavefront_size32 1
		.amdhsa_uses_dynamic_stack 0
		.amdhsa_enable_private_segment 0
		.amdhsa_system_sgpr_workgroup_id_x 1
		.amdhsa_system_sgpr_workgroup_id_y 0
		.amdhsa_system_sgpr_workgroup_id_z 0
		.amdhsa_system_sgpr_workgroup_info 0
		.amdhsa_system_vgpr_workitem_id 0
		.amdhsa_next_free_vgpr 25
		.amdhsa_next_free_sgpr 26
		.amdhsa_reserve_vcc 1
		.amdhsa_float_round_mode_32 0
		.amdhsa_float_round_mode_16_64 0
		.amdhsa_float_denorm_mode_32 3
		.amdhsa_float_denorm_mode_16_64 3
		.amdhsa_dx10_clamp 1
		.amdhsa_ieee_mode 1
		.amdhsa_fp16_overflow 0
		.amdhsa_workgroup_processor_mode 1
		.amdhsa_memory_ordered 1
		.amdhsa_forward_progress 0
		.amdhsa_shared_vgpr_count 0
		.amdhsa_exception_fp_ieee_invalid_op 0
		.amdhsa_exception_fp_denorm_src 0
		.amdhsa_exception_fp_ieee_div_zero 0
		.amdhsa_exception_fp_ieee_overflow 0
		.amdhsa_exception_fp_ieee_underflow 0
		.amdhsa_exception_fp_ieee_inexact 0
		.amdhsa_exception_int_div_zero 0
	.end_amdhsa_kernel
	.section	.text._ZN9rocsparseL26csrgemm_group_reduce_part2ILj256ELj11E21rocsparse_complex_numIdEiiEEvT3_PKT2_PS3_Pij,"axG",@progbits,_ZN9rocsparseL26csrgemm_group_reduce_part2ILj256ELj11E21rocsparse_complex_numIdEiiEEvT3_PKT2_PS3_Pij,comdat
.Lfunc_end66:
	.size	_ZN9rocsparseL26csrgemm_group_reduce_part2ILj256ELj11E21rocsparse_complex_numIdEiiEEvT3_PKT2_PS3_Pij, .Lfunc_end66-_ZN9rocsparseL26csrgemm_group_reduce_part2ILj256ELj11E21rocsparse_complex_numIdEiiEEvT3_PKT2_PS3_Pij
                                        ; -- End function
	.section	.AMDGPU.csdata,"",@progbits
; Kernel info:
; codeLenInByte = 3296
; NumSgprs: 28
; NumVgprs: 25
; ScratchSize: 0
; MemoryBound: 0
; FloatMode: 240
; IeeeMode: 1
; LDSByteSize: 11264 bytes/workgroup (compile time only)
; SGPRBlocks: 3
; VGPRBlocks: 3
; NumSGPRsForWavesPerEU: 28
; NumVGPRsForWavesPerEU: 25
; Occupancy: 16
; WaveLimiterHint : 0
; COMPUTE_PGM_RSRC2:SCRATCH_EN: 0
; COMPUTE_PGM_RSRC2:USER_SGPR: 15
; COMPUTE_PGM_RSRC2:TRAP_HANDLER: 0
; COMPUTE_PGM_RSRC2:TGID_X_EN: 1
; COMPUTE_PGM_RSRC2:TGID_Y_EN: 0
; COMPUTE_PGM_RSRC2:TGID_Z_EN: 0
; COMPUTE_PGM_RSRC2:TIDIG_COMP_CNT: 0
	.section	.text._ZN9rocsparseL23csrgemm_fill_wf_per_rowILj256ELj8ELj16ELj137Eii21rocsparse_complex_numIdEEEvT4_S3_PKS3_S5_NS_24const_host_device_scalarIT5_EEPKT3_S5_PKS7_SB_S5_SD_S8_SB_S5_SD_SB_PS3_PS7_21rocsparse_index_base_SG_SG_SG_bbb,"axG",@progbits,_ZN9rocsparseL23csrgemm_fill_wf_per_rowILj256ELj8ELj16ELj137Eii21rocsparse_complex_numIdEEEvT4_S3_PKS3_S5_NS_24const_host_device_scalarIT5_EEPKT3_S5_PKS7_SB_S5_SD_S8_SB_S5_SD_SB_PS3_PS7_21rocsparse_index_base_SG_SG_SG_bbb,comdat
	.globl	_ZN9rocsparseL23csrgemm_fill_wf_per_rowILj256ELj8ELj16ELj137Eii21rocsparse_complex_numIdEEEvT4_S3_PKS3_S5_NS_24const_host_device_scalarIT5_EEPKT3_S5_PKS7_SB_S5_SD_S8_SB_S5_SD_SB_PS3_PS7_21rocsparse_index_base_SG_SG_SG_bbb ; -- Begin function _ZN9rocsparseL23csrgemm_fill_wf_per_rowILj256ELj8ELj16ELj137Eii21rocsparse_complex_numIdEEEvT4_S3_PKS3_S5_NS_24const_host_device_scalarIT5_EEPKT3_S5_PKS7_SB_S5_SD_S8_SB_S5_SD_SB_PS3_PS7_21rocsparse_index_base_SG_SG_SG_bbb
	.p2align	8
	.type	_ZN9rocsparseL23csrgemm_fill_wf_per_rowILj256ELj8ELj16ELj137Eii21rocsparse_complex_numIdEEEvT4_S3_PKS3_S5_NS_24const_host_device_scalarIT5_EEPKT3_S5_PKS7_SB_S5_SD_S8_SB_S5_SD_SB_PS3_PS7_21rocsparse_index_base_SG_SG_SG_bbb,@function
_ZN9rocsparseL23csrgemm_fill_wf_per_rowILj256ELj8ELj16ELj137Eii21rocsparse_complex_numIdEEEvT4_S3_PKS3_S5_NS_24const_host_device_scalarIT5_EEPKT3_S5_PKS7_SB_S5_SD_S8_SB_S5_SD_SB_PS3_PS7_21rocsparse_index_base_SG_SG_SG_bbb: ; @_ZN9rocsparseL23csrgemm_fill_wf_per_rowILj256ELj8ELj16ELj137Eii21rocsparse_complex_numIdEEEvT4_S3_PKS3_S5_NS_24const_host_device_scalarIT5_EEPKT3_S5_PKS7_SB_S5_SD_S8_SB_S5_SD_SB_PS3_PS7_21rocsparse_index_base_SG_SG_SG_bbb
; %bb.0:
	s_load_b32 s14, s[2:3], 0xa8
	s_load_b64 s[8:9], s[0:1], 0x4
	s_clause 0x1
	s_load_b128 s[4:7], s[2:3], 0x18
	s_load_b128 s[44:47], s[2:3], 0x58
	v_dual_mov_b32 v4, 0 :: v_dual_and_b32 v1, 0x3ff, v0
	s_load_b128 s[24:27], s[2:3], 0x98
	v_bfe_u32 v3, v0, 10, 10
	v_mov_b32_e32 v5, 0
	v_bfe_u32 v0, v0, 20, 10
	s_waitcnt lgkmcnt(0)
	s_bitcmp1_b32 s14, 0
	s_cselect_b32 s13, -1, 0
	s_bitcmp1_b32 s14, 16
	v_mov_b32_e32 v6, s44
	s_cselect_b32 s0, -1, 0
	s_lshr_b32 s1, s8, 16
	s_delay_alu instid0(SALU_CYCLE_1) | instskip(NEXT) | instid1(SALU_CYCLE_1)
	s_mul_i32 s1, s1, s9
	v_mul_lo_u32 v2, s1, v1
	s_xor_b32 s1, s0, -1
	s_bitcmp0_b32 s14, 0
	v_cndmask_b32_e64 v8, 0, 1, s1
	s_delay_alu instid0(VALU_DEP_2) | instskip(SKIP_1) | instid1(VALU_DEP_3)
	v_mad_u32_u24 v9, v3, s9, v2
	v_dual_mov_b32 v2, s4 :: v_dual_mov_b32 v3, s5
	v_cmp_ne_u32_e32 vcc_lo, 1, v8
	v_mov_b32_e32 v11, v5
	s_delay_alu instid0(VALU_DEP_4)
	v_add_lshl_u32 v0, v9, v0, 3
	v_dual_mov_b32 v9, v5 :: v_dual_mov_b32 v10, v4
	v_dual_mov_b32 v7, s45 :: v_dual_mov_b32 v8, v4
	ds_store_2addr_stride64_b64 v0, v[6:7], v[2:3] offset0:20 offset1:24
	s_cbranch_scc1 .LBB67_3
; %bb.1:
	s_mov_b64 s[8:9], src_shared_base
	s_and_b32 s8, s0, exec_lo
	s_cselect_b32 s8, s9, s5
	s_delay_alu instid0(SALU_CYCLE_1) | instskip(SKIP_2) | instid1(VALU_DEP_2)
	v_dual_mov_b32 v3, s8 :: v_dual_add_nc_u32 v2, 0x3000, v0
	v_dual_mov_b32 v11, s7 :: v_dual_mov_b32 v10, s6
	s_and_b32 vcc_lo, exec_lo, vcc_lo
	v_cndmask_b32_e64 v2, s4, v2, s0
	flat_load_b64 v[8:9], v[2:3]
	s_cbranch_vccnz .LBB67_3
; %bb.2:
	v_dual_mov_b32 v2, s4 :: v_dual_mov_b32 v3, s5
	flat_load_b64 v[10:11], v[2:3] offset:8
.LBB67_3:
	s_clause 0x4
	s_load_b128 s[28:31], s[2:3], 0x88
	s_load_b256 s[4:11], s[2:3], 0x68
	s_load_b128 s[36:39], s[2:3], 0x48
	s_load_b128 s[40:43], s[2:3], 0x8
	s_load_b256 s[16:23], s[2:3], 0x28
	s_bitcmp1_b32 s14, 8
	v_dual_mov_b32 v7, v5 :: v_dual_mov_b32 v6, v4
	s_cselect_b32 s12, -1, 0
	s_bfe_u32 s14, s14, 0x10008
	s_delay_alu instid0(SALU_CYCLE_1)
	s_cmp_eq_u32 s14, 0
	s_cbranch_scc1 .LBB67_6
; %bb.4:
	s_mov_b64 s[34:35], src_shared_base
	s_and_b32 s14, s0, exec_lo
	s_cselect_b32 s14, s35, s45
	s_delay_alu instid0(SALU_CYCLE_1) | instskip(SKIP_2) | instid1(VALU_DEP_2)
	v_dual_mov_b32 v3, s14 :: v_dual_add_nc_u32 v0, 0x2800, v0
	v_dual_mov_b32 v4, s46 :: v_dual_mov_b32 v5, s47
	s_and_not1_b32 vcc_lo, exec_lo, s1
	v_cndmask_b32_e64 v2, s44, v0, s0
	flat_load_b64 v[6:7], v[2:3]
	s_cbranch_vccnz .LBB67_6
; %bb.5:
	v_dual_mov_b32 v2, s44 :: v_dual_mov_b32 v3, s45
	flat_load_b64 v[4:5], v[2:3] offset:8
.LBB67_6:
	v_lshrrev_b32_e32 v12, 3, v1
	v_mov_b32_e32 v0, 0
	v_and_b32_e32 v28, 7, v1
	s_load_b64 s[0:1], s[2:3], 0x0
	s_mov_b32 s2, 0
	v_lshlrev_b32_e32 v1, 6, v12
	s_delay_alu instid0(VALU_DEP_2) | instskip(NEXT) | instid1(VALU_DEP_1)
	v_lshlrev_b32_e32 v2, 2, v28
	v_or3_b32 v24, v1, v2, 0x2000
	s_delay_alu instid0(VALU_DEP_1)
	v_mov_b32_e32 v13, v24
	v_mov_b32_e32 v1, v0
	v_lshlrev_b32_e32 v3, 4, v28
	v_or_b32_e32 v23, -8, v28
	s_waitcnt lgkmcnt(0)
	v_dual_mov_b32 v2, v0 :: v_dual_mov_b32 v15, s1
	s_delay_alu instid0(VALU_DEP_3) | instskip(NEXT) | instid1(VALU_DEP_3)
	v_lshl_or_b32 v25, v12, 8, v3
	v_dual_mov_b32 v16, v23 :: v_dual_mov_b32 v3, v0
	s_delay_alu instid0(VALU_DEP_2)
	v_mov_b32_e32 v14, v25
.LBB67_7:                               ; =>This Inner Loop Header: Depth=1
	s_delay_alu instid0(VALU_DEP_2) | instskip(NEXT) | instid1(VALU_DEP_1)
	v_add_co_u32 v16, s3, v16, 8
	s_xor_b32 s3, s3, -1
	ds_store_b32 v13, v15
	ds_store_b128 v14, v[0:3]
	v_add_nc_u32_e32 v14, 0x80, v14
	v_add_nc_u32_e32 v13, 32, v13
	s_and_b32 s3, exec_lo, s3
	s_delay_alu instid0(SALU_CYCLE_1) | instskip(NEXT) | instid1(SALU_CYCLE_1)
	s_or_b32 s2, s3, s2
	s_and_not1_b32 exec_lo, exec_lo, s2
	s_cbranch_execnz .LBB67_7
; %bb.8:
	s_or_b32 exec_lo, exec_lo, s2
	s_lshl_b32 s2, s15, 5
	s_waitcnt vmcnt(0) lgkmcnt(0)
	buffer_gl0_inv
	v_and_or_b32 v0, 0x1fffffe0, s2, v12
	s_delay_alu instid0(VALU_DEP_1)
	v_cmp_gt_i32_e32 vcc_lo, s0, v0
	s_and_saveexec_b32 s0, vcc_lo
	s_cbranch_execz .LBB67_68
; %bb.9:
	s_cmp_eq_u64 s[42:43], 0
	s_cbranch_scc1 .LBB67_11
; %bb.10:
	s_load_b32 s0, s[40:41], 0x0
	s_waitcnt lgkmcnt(0)
	v_add_nc_u32_e32 v0, s0, v0
	s_delay_alu instid0(VALU_DEP_1) | instskip(NEXT) | instid1(VALU_DEP_1)
	v_ashrrev_i32_e32 v1, 31, v0
	v_lshlrev_b64 v[0:1], 2, v[0:1]
	s_delay_alu instid0(VALU_DEP_1) | instskip(NEXT) | instid1(VALU_DEP_2)
	v_add_co_u32 v0, vcc_lo, s42, v0
	v_add_co_ci_u32_e32 v1, vcc_lo, s43, v1, vcc_lo
	global_load_b32 v0, v[0:1], off
.LBB67_11:
	s_waitcnt vmcnt(0)
	v_ashrrev_i32_e32 v1, 31, v0
	v_lshl_or_b32 v26, v12, 6, 0x2000
	v_lshlrev_b32_e32 v27, 8, v12
	s_and_not1_b32 vcc_lo, exec_lo, s13
	s_delay_alu instid0(VALU_DEP_3)
	v_lshlrev_b64 v[0:1], 2, v[0:1]
	s_cbranch_vccnz .LBB67_39
; %bb.12:
	s_delay_alu instid0(VALU_DEP_1) | instskip(NEXT) | instid1(VALU_DEP_2)
	v_add_co_u32 v2, vcc_lo, s16, v0
	v_add_co_ci_u32_e32 v3, vcc_lo, s17, v1, vcc_lo
	v_subrev_nc_u32_e32 v12, s24, v28
	s_mov_b32 s0, exec_lo
	global_load_b64 v[2:3], v[2:3], off
	s_waitcnt vmcnt(0)
	v_subrev_nc_u32_e32 v29, s24, v3
	v_add_nc_u32_e32 v2, v2, v12
	s_delay_alu instid0(VALU_DEP_1)
	v_cmpx_lt_i32_e64 v2, v29
	s_cbranch_execz .LBB67_38
; %bb.13:
	s_mov_b32 s2, 0
	s_branch .LBB67_15
.LBB67_14:                              ;   in Loop: Header=BB67_15 Depth=1
	s_or_b32 exec_lo, exec_lo, s3
	v_add_nc_u32_e32 v2, 8, v2
	s_delay_alu instid0(VALU_DEP_1) | instskip(SKIP_1) | instid1(SALU_CYCLE_1)
	v_cmp_ge_i32_e32 vcc_lo, v2, v29
	s_or_b32 s2, vcc_lo, s2
	s_and_not1_b32 exec_lo, exec_lo, s2
	s_cbranch_execz .LBB67_38
.LBB67_15:                              ; =>This Loop Header: Depth=1
                                        ;     Child Loop BB67_18 Depth 2
                                        ;       Child Loop BB67_20 Depth 3
                                        ;         Child Loop BB67_26 Depth 4
                                        ;         Child Loop BB67_28 Depth 4
	;; [unrolled: 1-line block ×4, first 2 shown]
	v_ashrrev_i32_e32 v3, 31, v2
	s_mov_b32 s3, exec_lo
	s_delay_alu instid0(VALU_DEP_1) | instskip(NEXT) | instid1(VALU_DEP_1)
	v_lshlrev_b64 v[12:13], 2, v[2:3]
	v_add_co_u32 v12, vcc_lo, s18, v12
	s_delay_alu instid0(VALU_DEP_2) | instskip(SKIP_3) | instid1(VALU_DEP_1)
	v_add_co_ci_u32_e32 v13, vcc_lo, s19, v13, vcc_lo
	global_load_b32 v12, v[12:13], off
	s_waitcnt vmcnt(0)
	v_subrev_nc_u32_e32 v12, s24, v12
	v_ashrrev_i32_e32 v13, 31, v12
	s_delay_alu instid0(VALU_DEP_1) | instskip(NEXT) | instid1(VALU_DEP_1)
	v_lshlrev_b64 v[12:13], 2, v[12:13]
	v_add_co_u32 v12, vcc_lo, s22, v12
	s_delay_alu instid0(VALU_DEP_2)
	v_add_co_ci_u32_e32 v13, vcc_lo, s23, v13, vcc_lo
	global_load_b64 v[16:17], v[12:13], off
	s_waitcnt vmcnt(0)
	v_cmpx_lt_i32_e64 v16, v17
	s_cbranch_execz .LBB67_14
; %bb.16:                               ;   in Loop: Header=BB67_15 Depth=1
	v_lshlrev_b64 v[12:13], 4, v[2:3]
	v_subrev_nc_u32_e32 v3, s25, v17
	v_subrev_nc_u32_e32 v16, s25, v16
	s_mov_b32 s13, 0
	s_delay_alu instid0(VALU_DEP_3) | instskip(NEXT) | instid1(VALU_DEP_4)
	v_add_co_u32 v12, vcc_lo, s20, v12
	v_add_co_ci_u32_e32 v13, vcc_lo, s21, v13, vcc_lo
	global_load_b128 v[18:21], v[12:13], off
	s_waitcnt vmcnt(0)
	v_mul_f64 v[12:13], v[20:21], -v[10:11]
	v_mul_f64 v[14:15], v[8:9], v[20:21]
	s_delay_alu instid0(VALU_DEP_2) | instskip(NEXT) | instid1(VALU_DEP_2)
	v_fma_f64 v[12:13], v[8:9], v[18:19], v[12:13]
	v_fma_f64 v[14:15], v[10:11], v[18:19], v[14:15]
	s_branch .LBB67_18
.LBB67_17:                              ;   in Loop: Header=BB67_18 Depth=2
	s_or_b32 exec_lo, exec_lo, s14
	v_add_nc_u32_e32 v16, 1, v16
	s_delay_alu instid0(VALU_DEP_1) | instskip(SKIP_1) | instid1(SALU_CYCLE_1)
	v_cmp_ge_i32_e32 vcc_lo, v16, v3
	s_or_b32 s13, vcc_lo, s13
	s_and_not1_b32 exec_lo, exec_lo, s13
	s_cbranch_execz .LBB67_14
.LBB67_18:                              ;   Parent Loop BB67_15 Depth=1
                                        ; =>  This Loop Header: Depth=2
                                        ;       Child Loop BB67_20 Depth 3
                                        ;         Child Loop BB67_26 Depth 4
                                        ;         Child Loop BB67_28 Depth 4
	;; [unrolled: 1-line block ×4, first 2 shown]
	v_ashrrev_i32_e32 v17, 31, v16
	s_mov_b32 s14, 0
	s_delay_alu instid0(VALU_DEP_1) | instskip(NEXT) | instid1(VALU_DEP_1)
	v_lshlrev_b64 v[18:19], 4, v[16:17]
	v_add_co_u32 v18, vcc_lo, s38, v18
	s_delay_alu instid0(VALU_DEP_2) | instskip(SKIP_2) | instid1(VALU_DEP_1)
	v_add_co_ci_u32_e32 v19, vcc_lo, s39, v19, vcc_lo
	global_load_b128 v[19:22], v[18:19], off
	v_lshlrev_b64 v[17:18], 2, v[16:17]
	v_add_co_u32 v17, vcc_lo, s36, v17
	s_delay_alu instid0(VALU_DEP_2)
	v_add_co_ci_u32_e32 v18, vcc_lo, s37, v18, vcc_lo
	global_load_b32 v30, v[17:18], off
	s_waitcnt vmcnt(1)
	v_mul_f64 v[17:18], v[21:22], -v[14:15]
	v_mul_f64 v[21:22], v[12:13], v[21:22]
	s_waitcnt vmcnt(0)
	v_subrev_nc_u32_e32 v30, s25, v30
	s_delay_alu instid0(VALU_DEP_3) | instskip(NEXT) | instid1(VALU_DEP_3)
	v_fma_f64 v[17:18], v[12:13], v[19:20], v[17:18]
	v_fma_f64 v[19:20], v[14:15], v[19:20], v[21:22]
	s_delay_alu instid0(VALU_DEP_3) | instskip(NEXT) | instid1(VALU_DEP_1)
	v_lshl_add_u32 v21, v30, 3, v30
	v_and_b32_e32 v31, 15, v21
	s_branch .LBB67_20
.LBB67_19:                              ;   in Loop: Header=BB67_20 Depth=3
	s_or_b32 exec_lo, exec_lo, s15
	s_xor_b32 s15, s16, -1
	s_delay_alu instid0(SALU_CYCLE_1) | instskip(NEXT) | instid1(SALU_CYCLE_1)
	s_and_b32 s15, exec_lo, s15
	s_or_b32 s14, s15, s14
	s_delay_alu instid0(SALU_CYCLE_1)
	s_and_not1_b32 exec_lo, exec_lo, s14
	s_cbranch_execz .LBB67_17
.LBB67_20:                              ;   Parent Loop BB67_15 Depth=1
                                        ;     Parent Loop BB67_18 Depth=2
                                        ; =>    This Loop Header: Depth=3
                                        ;         Child Loop BB67_26 Depth 4
                                        ;         Child Loop BB67_28 Depth 4
	;; [unrolled: 1-line block ×4, first 2 shown]
	s_delay_alu instid0(VALU_DEP_1)
	v_lshl_add_u32 v21, v31, 2, v26
	s_mov_b32 s15, exec_lo
                                        ; implicit-def: $sgpr16
	ds_load_b32 v22, v21
	s_waitcnt lgkmcnt(0)
	v_cmpx_ne_u32_e64 v22, v30
	s_xor_b32 s15, exec_lo, s15
	s_cbranch_execz .LBB67_32
; %bb.21:                               ;   in Loop: Header=BB67_20 Depth=3
	s_mov_b32 s17, exec_lo
                                        ; implicit-def: $sgpr16
	v_cmpx_ne_u32_e64 s1, v22
	s_xor_b32 s17, exec_lo, s17
; %bb.22:                               ;   in Loop: Header=BB67_20 Depth=3
	v_add_nc_u32_e32 v21, 1, v31
	s_mov_b32 s16, -1
	s_delay_alu instid0(VALU_DEP_1)
	v_and_b32_e32 v31, 15, v21
                                        ; implicit-def: $vgpr21
; %bb.23:                               ;   in Loop: Header=BB67_20 Depth=3
	s_and_not1_saveexec_b32 s17, s17
	s_cbranch_execz .LBB67_31
; %bb.24:                               ;   in Loop: Header=BB67_20 Depth=3
	v_mov_b32_e32 v22, s1
	s_mov_b32 s34, -1
	s_mov_b32 s33, exec_lo
	ds_cmpstore_rtn_b32 v21, v21, v30, v22
	s_waitcnt lgkmcnt(0)
	v_cmpx_eq_u32_e64 s1, v21
	s_cbranch_execz .LBB67_30
; %bb.25:                               ;   in Loop: Header=BB67_20 Depth=3
	v_lshl_add_u32 v32, v31, 4, v27
	s_mov_b32 s34, 0
	ds_load_b64 v[21:22], v32
.LBB67_26:                              ;   Parent Loop BB67_15 Depth=1
                                        ;     Parent Loop BB67_18 Depth=2
                                        ;       Parent Loop BB67_20 Depth=3
                                        ; =>      This Inner Loop Header: Depth=4
	s_waitcnt lgkmcnt(0)
	v_add_f64 v[33:34], v[21:22], v[17:18]
	ds_cmpstore_rtn_b64 v[33:34], v32, v[33:34], v[21:22]
	s_waitcnt lgkmcnt(0)
	v_cmp_eq_u64_e32 vcc_lo, v[33:34], v[21:22]
	v_dual_mov_b32 v21, v33 :: v_dual_mov_b32 v22, v34
	s_or_b32 s34, vcc_lo, s34
	s_delay_alu instid0(SALU_CYCLE_1)
	s_and_not1_b32 exec_lo, exec_lo, s34
	s_cbranch_execnz .LBB67_26
; %bb.27:                               ;   in Loop: Header=BB67_20 Depth=3
	s_or_b32 exec_lo, exec_lo, s34
	ds_load_b64 v[21:22], v32 offset:8
	s_mov_b32 s34, 0
.LBB67_28:                              ;   Parent Loop BB67_15 Depth=1
                                        ;     Parent Loop BB67_18 Depth=2
                                        ;       Parent Loop BB67_20 Depth=3
                                        ; =>      This Inner Loop Header: Depth=4
	s_waitcnt lgkmcnt(0)
	v_add_f64 v[33:34], v[21:22], v[19:20]
	ds_cmpstore_rtn_b64 v[33:34], v32, v[33:34], v[21:22] offset:8
	s_waitcnt lgkmcnt(0)
	v_cmp_eq_u64_e32 vcc_lo, v[33:34], v[21:22]
	v_dual_mov_b32 v21, v33 :: v_dual_mov_b32 v22, v34
	s_or_b32 s34, vcc_lo, s34
	s_delay_alu instid0(SALU_CYCLE_1)
	s_and_not1_b32 exec_lo, exec_lo, s34
	s_cbranch_execnz .LBB67_28
; %bb.29:                               ;   in Loop: Header=BB67_20 Depth=3
	s_or_b32 exec_lo, exec_lo, s34
	s_delay_alu instid0(SALU_CYCLE_1)
	s_xor_b32 s34, exec_lo, -1
.LBB67_30:                              ;   in Loop: Header=BB67_20 Depth=3
	s_or_b32 exec_lo, exec_lo, s33
	s_delay_alu instid0(SALU_CYCLE_1) | instskip(SKIP_1) | instid1(SALU_CYCLE_1)
	s_and_not1_b32 s16, s16, exec_lo
	s_and_b32 s33, s34, exec_lo
	s_or_b32 s16, s16, s33
.LBB67_31:                              ;   in Loop: Header=BB67_20 Depth=3
	s_or_b32 exec_lo, exec_lo, s17
	s_delay_alu instid0(SALU_CYCLE_1)
	s_and_b32 s16, s16, exec_lo
.LBB67_32:                              ;   in Loop: Header=BB67_20 Depth=3
	s_and_not1_saveexec_b32 s15, s15
	s_cbranch_execz .LBB67_19
; %bb.33:                               ;   in Loop: Header=BB67_20 Depth=3
	v_lshl_add_u32 v32, v31, 4, v27
	s_mov_b32 s17, 0
	ds_load_b64 v[21:22], v32
.LBB67_34:                              ;   Parent Loop BB67_15 Depth=1
                                        ;     Parent Loop BB67_18 Depth=2
                                        ;       Parent Loop BB67_20 Depth=3
                                        ; =>      This Inner Loop Header: Depth=4
	s_waitcnt lgkmcnt(0)
	v_add_f64 v[33:34], v[21:22], v[17:18]
	ds_cmpstore_rtn_b64 v[33:34], v32, v[33:34], v[21:22]
	s_waitcnt lgkmcnt(0)
	v_cmp_eq_u64_e32 vcc_lo, v[33:34], v[21:22]
	v_dual_mov_b32 v21, v33 :: v_dual_mov_b32 v22, v34
	s_or_b32 s17, vcc_lo, s17
	s_delay_alu instid0(SALU_CYCLE_1)
	s_and_not1_b32 exec_lo, exec_lo, s17
	s_cbranch_execnz .LBB67_34
; %bb.35:                               ;   in Loop: Header=BB67_20 Depth=3
	s_or_b32 exec_lo, exec_lo, s17
	ds_load_b64 v[21:22], v32 offset:8
	s_mov_b32 s17, 0
.LBB67_36:                              ;   Parent Loop BB67_15 Depth=1
                                        ;     Parent Loop BB67_18 Depth=2
                                        ;       Parent Loop BB67_20 Depth=3
                                        ; =>      This Inner Loop Header: Depth=4
	s_waitcnt lgkmcnt(0)
	v_add_f64 v[33:34], v[21:22], v[19:20]
	ds_cmpstore_rtn_b64 v[33:34], v32, v[33:34], v[21:22] offset:8
	s_waitcnt lgkmcnt(0)
	v_cmp_eq_u64_e32 vcc_lo, v[33:34], v[21:22]
	v_dual_mov_b32 v21, v33 :: v_dual_mov_b32 v22, v34
	s_or_b32 s17, vcc_lo, s17
	s_delay_alu instid0(SALU_CYCLE_1)
	s_and_not1_b32 exec_lo, exec_lo, s17
	s_cbranch_execnz .LBB67_36
; %bb.37:                               ;   in Loop: Header=BB67_20 Depth=3
	s_or_b32 exec_lo, exec_lo, s17
	s_delay_alu instid0(SALU_CYCLE_1)
	s_and_not1_b32 s16, s16, exec_lo
	s_branch .LBB67_19
.LBB67_38:
	s_or_b32 exec_lo, exec_lo, s0
.LBB67_39:
	s_delay_alu instid0(SALU_CYCLE_1)
	s_and_not1_b32 vcc_lo, exec_lo, s12
	s_cbranch_vccnz .LBB67_64
; %bb.40:
	s_delay_alu instid0(VALU_DEP_1) | instskip(NEXT) | instid1(VALU_DEP_2)
	v_add_co_u32 v2, vcc_lo, s4, v0
	v_add_co_ci_u32_e32 v3, vcc_lo, s5, v1, vcc_lo
	v_subrev_nc_u32_e32 v8, s27, v28
	s_mov_b32 s0, exec_lo
	global_load_b64 v[2:3], v[2:3], off
	s_waitcnt vmcnt(0)
	v_subrev_nc_u32_e32 v14, s27, v3
	v_add_nc_u32_e32 v2, v2, v8
	s_delay_alu instid0(VALU_DEP_1)
	v_cmpx_lt_i32_e64 v2, v14
	s_cbranch_execz .LBB67_63
; %bb.41:
	s_mov_b32 s2, 0
	s_branch .LBB67_43
.LBB67_42:                              ;   in Loop: Header=BB67_43 Depth=1
	s_or_b32 exec_lo, exec_lo, s3
	v_add_nc_u32_e32 v2, 8, v2
	s_delay_alu instid0(VALU_DEP_1) | instskip(SKIP_1) | instid1(SALU_CYCLE_1)
	v_cmp_ge_i32_e32 vcc_lo, v2, v14
	s_or_b32 s2, vcc_lo, s2
	s_and_not1_b32 exec_lo, exec_lo, s2
	s_cbranch_execz .LBB67_63
.LBB67_43:                              ; =>This Loop Header: Depth=1
                                        ;     Child Loop BB67_45 Depth 2
                                        ;       Child Loop BB67_51 Depth 3
                                        ;       Child Loop BB67_53 Depth 3
	;; [unrolled: 1-line block ×4, first 2 shown]
	v_ashrrev_i32_e32 v3, 31, v2
	s_mov_b32 s3, 0
	s_delay_alu instid0(VALU_DEP_1) | instskip(NEXT) | instid1(VALU_DEP_1)
	v_lshlrev_b64 v[8:9], 4, v[2:3]
	v_add_co_u32 v8, vcc_lo, s8, v8
	s_delay_alu instid0(VALU_DEP_2) | instskip(SKIP_2) | instid1(VALU_DEP_1)
	v_add_co_ci_u32_e32 v9, vcc_lo, s9, v9, vcc_lo
	global_load_b128 v[10:13], v[8:9], off
	v_lshlrev_b64 v[8:9], 2, v[2:3]
	v_add_co_u32 v8, vcc_lo, s6, v8
	s_delay_alu instid0(VALU_DEP_2)
	v_add_co_ci_u32_e32 v9, vcc_lo, s7, v9, vcc_lo
	global_load_b32 v3, v[8:9], off
	s_waitcnt vmcnt(1)
	v_mul_f64 v[8:9], v[12:13], -v[4:5]
	v_mul_f64 v[12:13], v[6:7], v[12:13]
	s_waitcnt vmcnt(0)
	v_subrev_nc_u32_e32 v3, s27, v3
	s_delay_alu instid0(VALU_DEP_3) | instskip(NEXT) | instid1(VALU_DEP_3)
	v_fma_f64 v[8:9], v[6:7], v[10:11], v[8:9]
	v_fma_f64 v[10:11], v[4:5], v[10:11], v[12:13]
	s_delay_alu instid0(VALU_DEP_3) | instskip(NEXT) | instid1(VALU_DEP_1)
	v_lshl_add_u32 v12, v3, 3, v3
	v_and_b32_e32 v15, 15, v12
	s_branch .LBB67_45
.LBB67_44:                              ;   in Loop: Header=BB67_45 Depth=2
	s_or_b32 exec_lo, exec_lo, s4
	s_xor_b32 s4, s5, -1
	s_delay_alu instid0(SALU_CYCLE_1) | instskip(NEXT) | instid1(SALU_CYCLE_1)
	s_and_b32 s4, exec_lo, s4
	s_or_b32 s3, s4, s3
	s_delay_alu instid0(SALU_CYCLE_1)
	s_and_not1_b32 exec_lo, exec_lo, s3
	s_cbranch_execz .LBB67_42
.LBB67_45:                              ;   Parent Loop BB67_43 Depth=1
                                        ; =>  This Loop Header: Depth=2
                                        ;       Child Loop BB67_51 Depth 3
                                        ;       Child Loop BB67_53 Depth 3
	;; [unrolled: 1-line block ×4, first 2 shown]
	s_delay_alu instid0(VALU_DEP_1)
	v_lshl_add_u32 v12, v15, 2, v26
	s_mov_b32 s4, exec_lo
                                        ; implicit-def: $sgpr5
	ds_load_b32 v13, v12
	s_waitcnt lgkmcnt(0)
	v_cmpx_ne_u32_e64 v13, v3
	s_xor_b32 s4, exec_lo, s4
	s_cbranch_execz .LBB67_57
; %bb.46:                               ;   in Loop: Header=BB67_45 Depth=2
	s_mov_b32 s12, exec_lo
                                        ; implicit-def: $sgpr5
	v_cmpx_ne_u32_e64 s1, v13
	s_xor_b32 s12, exec_lo, s12
; %bb.47:                               ;   in Loop: Header=BB67_45 Depth=2
	v_add_nc_u32_e32 v12, 1, v15
	s_mov_b32 s5, -1
	s_delay_alu instid0(VALU_DEP_1)
	v_and_b32_e32 v15, 15, v12
                                        ; implicit-def: $vgpr12
; %bb.48:                               ;   in Loop: Header=BB67_45 Depth=2
	s_and_not1_saveexec_b32 s12, s12
	s_cbranch_execz .LBB67_56
; %bb.49:                               ;   in Loop: Header=BB67_45 Depth=2
	v_mov_b32_e32 v13, s1
	s_mov_b32 s14, -1
	s_mov_b32 s13, exec_lo
	ds_cmpstore_rtn_b32 v12, v12, v3, v13
	s_waitcnt lgkmcnt(0)
	v_cmpx_eq_u32_e64 s1, v12
	s_cbranch_execz .LBB67_55
; %bb.50:                               ;   in Loop: Header=BB67_45 Depth=2
	v_lshl_add_u32 v16, v15, 4, v27
	s_mov_b32 s14, 0
	ds_load_b64 v[12:13], v16
.LBB67_51:                              ;   Parent Loop BB67_43 Depth=1
                                        ;     Parent Loop BB67_45 Depth=2
                                        ; =>    This Inner Loop Header: Depth=3
	s_waitcnt lgkmcnt(0)
	v_add_f64 v[17:18], v[12:13], v[8:9]
	ds_cmpstore_rtn_b64 v[17:18], v16, v[17:18], v[12:13]
	s_waitcnt lgkmcnt(0)
	v_cmp_eq_u64_e32 vcc_lo, v[17:18], v[12:13]
	v_dual_mov_b32 v12, v17 :: v_dual_mov_b32 v13, v18
	s_or_b32 s14, vcc_lo, s14
	s_delay_alu instid0(SALU_CYCLE_1)
	s_and_not1_b32 exec_lo, exec_lo, s14
	s_cbranch_execnz .LBB67_51
; %bb.52:                               ;   in Loop: Header=BB67_45 Depth=2
	s_or_b32 exec_lo, exec_lo, s14
	ds_load_b64 v[12:13], v16 offset:8
	s_mov_b32 s14, 0
.LBB67_53:                              ;   Parent Loop BB67_43 Depth=1
                                        ;     Parent Loop BB67_45 Depth=2
                                        ; =>    This Inner Loop Header: Depth=3
	s_waitcnt lgkmcnt(0)
	v_add_f64 v[17:18], v[12:13], v[10:11]
	ds_cmpstore_rtn_b64 v[17:18], v16, v[17:18], v[12:13] offset:8
	s_waitcnt lgkmcnt(0)
	v_cmp_eq_u64_e32 vcc_lo, v[17:18], v[12:13]
	v_dual_mov_b32 v12, v17 :: v_dual_mov_b32 v13, v18
	s_or_b32 s14, vcc_lo, s14
	s_delay_alu instid0(SALU_CYCLE_1)
	s_and_not1_b32 exec_lo, exec_lo, s14
	s_cbranch_execnz .LBB67_53
; %bb.54:                               ;   in Loop: Header=BB67_45 Depth=2
	s_or_b32 exec_lo, exec_lo, s14
	s_delay_alu instid0(SALU_CYCLE_1)
	s_xor_b32 s14, exec_lo, -1
.LBB67_55:                              ;   in Loop: Header=BB67_45 Depth=2
	s_or_b32 exec_lo, exec_lo, s13
	s_delay_alu instid0(SALU_CYCLE_1) | instskip(SKIP_1) | instid1(SALU_CYCLE_1)
	s_and_not1_b32 s5, s5, exec_lo
	s_and_b32 s13, s14, exec_lo
	s_or_b32 s5, s5, s13
.LBB67_56:                              ;   in Loop: Header=BB67_45 Depth=2
	s_or_b32 exec_lo, exec_lo, s12
	s_delay_alu instid0(SALU_CYCLE_1)
	s_and_b32 s5, s5, exec_lo
.LBB67_57:                              ;   in Loop: Header=BB67_45 Depth=2
	s_and_not1_saveexec_b32 s4, s4
	s_cbranch_execz .LBB67_44
; %bb.58:                               ;   in Loop: Header=BB67_45 Depth=2
	v_lshl_add_u32 v16, v15, 4, v27
	s_mov_b32 s12, 0
	ds_load_b64 v[12:13], v16
.LBB67_59:                              ;   Parent Loop BB67_43 Depth=1
                                        ;     Parent Loop BB67_45 Depth=2
                                        ; =>    This Inner Loop Header: Depth=3
	s_waitcnt lgkmcnt(0)
	v_add_f64 v[17:18], v[12:13], v[8:9]
	ds_cmpstore_rtn_b64 v[17:18], v16, v[17:18], v[12:13]
	s_waitcnt lgkmcnt(0)
	v_cmp_eq_u64_e32 vcc_lo, v[17:18], v[12:13]
	v_dual_mov_b32 v12, v17 :: v_dual_mov_b32 v13, v18
	s_or_b32 s12, vcc_lo, s12
	s_delay_alu instid0(SALU_CYCLE_1)
	s_and_not1_b32 exec_lo, exec_lo, s12
	s_cbranch_execnz .LBB67_59
; %bb.60:                               ;   in Loop: Header=BB67_45 Depth=2
	s_or_b32 exec_lo, exec_lo, s12
	ds_load_b64 v[12:13], v16 offset:8
	s_mov_b32 s12, 0
.LBB67_61:                              ;   Parent Loop BB67_43 Depth=1
                                        ;     Parent Loop BB67_45 Depth=2
                                        ; =>    This Inner Loop Header: Depth=3
	s_waitcnt lgkmcnt(0)
	v_add_f64 v[17:18], v[12:13], v[10:11]
	ds_cmpstore_rtn_b64 v[17:18], v16, v[17:18], v[12:13] offset:8
	s_waitcnt lgkmcnt(0)
	v_cmp_eq_u64_e32 vcc_lo, v[17:18], v[12:13]
	v_dual_mov_b32 v12, v17 :: v_dual_mov_b32 v13, v18
	s_or_b32 s12, vcc_lo, s12
	s_delay_alu instid0(SALU_CYCLE_1)
	s_and_not1_b32 exec_lo, exec_lo, s12
	s_cbranch_execnz .LBB67_61
; %bb.62:                               ;   in Loop: Header=BB67_45 Depth=2
	s_or_b32 exec_lo, exec_lo, s12
	s_delay_alu instid0(SALU_CYCLE_1)
	s_and_not1_b32 s5, s5, exec_lo
	s_branch .LBB67_44
.LBB67_63:
	s_or_b32 exec_lo, exec_lo, s0
.LBB67_64:
	s_delay_alu instid0(VALU_DEP_1) | instskip(NEXT) | instid1(VALU_DEP_2)
	v_add_co_u32 v0, vcc_lo, s10, v0
	v_add_co_ci_u32_e32 v1, vcc_lo, s11, v1, vcc_lo
	buffer_gl0_inv
	s_mov_b32 s0, 0
	global_load_b32 v0, v[0:1], off
	s_waitcnt vmcnt(0)
	v_subrev_nc_u32_e32 v0, s26, v0
	s_branch .LBB67_66
.LBB67_65:                              ;   in Loop: Header=BB67_66 Depth=1
	s_or_b32 exec_lo, exec_lo, s2
	v_add_co_u32 v23, s2, v23, 8
	s_delay_alu instid0(VALU_DEP_1) | instskip(SKIP_3) | instid1(SALU_CYCLE_1)
	s_xor_b32 s2, s2, -1
	v_add_nc_u32_e32 v25, 0x80, v25
	v_add_nc_u32_e32 v24, 32, v24
	s_and_b32 s2, exec_lo, s2
	s_or_b32 s0, s2, s0
	s_delay_alu instid0(SALU_CYCLE_1)
	s_and_not1_b32 exec_lo, exec_lo, s0
	s_cbranch_execz .LBB67_68
.LBB67_66:                              ; =>This Inner Loop Header: Depth=1
	ds_load_b32 v1, v24
	s_mov_b32 s2, exec_lo
	s_waitcnt lgkmcnt(0)
	v_cmpx_gt_i32_e64 s1, v1
	s_cbranch_execz .LBB67_65
; %bb.67:                               ;   in Loop: Header=BB67_66 Depth=1
	ds_load_b128 v[2:5], v26
	ds_load_b128 v[6:9], v26 offset:16
	ds_load_b128 v[10:13], v26 offset:32
	;; [unrolled: 1-line block ×3, first 2 shown]
	s_waitcnt lgkmcnt(3)
	v_cmp_gt_i32_e32 vcc_lo, v1, v2
	v_cndmask_b32_e64 v2, 0, 1, vcc_lo
	v_cmp_gt_i32_e32 vcc_lo, v1, v4
	v_cndmask_b32_e64 v4, 0, 1, vcc_lo
	v_cmp_gt_i32_e32 vcc_lo, v1, v3
	s_delay_alu instid0(VALU_DEP_4)
	v_add_co_ci_u32_e32 v2, vcc_lo, v0, v2, vcc_lo
	s_waitcnt lgkmcnt(2)
	v_cmp_gt_i32_e32 vcc_lo, v1, v6
	v_cndmask_b32_e64 v3, 0, 1, vcc_lo
	v_cmp_gt_i32_e32 vcc_lo, v1, v5
	v_add_co_ci_u32_e32 v2, vcc_lo, v2, v4, vcc_lo
	v_cmp_gt_i32_e32 vcc_lo, v1, v8
	v_cndmask_b32_e64 v4, 0, 1, vcc_lo
	v_cmp_gt_i32_e32 vcc_lo, v1, v7
	s_delay_alu instid0(VALU_DEP_4)
	v_add_co_ci_u32_e32 v2, vcc_lo, v2, v3, vcc_lo
	s_waitcnt lgkmcnt(1)
	v_cmp_gt_i32_e32 vcc_lo, v1, v10
	v_cndmask_b32_e64 v3, 0, 1, vcc_lo
	v_cmp_gt_i32_e32 vcc_lo, v1, v9
	v_add_co_ci_u32_e32 v2, vcc_lo, v2, v4, vcc_lo
	v_cmp_gt_i32_e32 vcc_lo, v1, v12
	v_cndmask_b32_e64 v4, 0, 1, vcc_lo
	v_cmp_gt_i32_e32 vcc_lo, v1, v11
	s_delay_alu instid0(VALU_DEP_4)
	v_add_co_ci_u32_e32 v2, vcc_lo, v2, v3, vcc_lo
	s_waitcnt lgkmcnt(0)
	v_cmp_gt_i32_e32 vcc_lo, v1, v14
	v_cndmask_b32_e64 v3, 0, 1, vcc_lo
	v_cmp_gt_i32_e32 vcc_lo, v1, v13
	v_add_co_ci_u32_e32 v2, vcc_lo, v2, v4, vcc_lo
	v_cmp_gt_i32_e32 vcc_lo, v1, v16
	v_cndmask_b32_e64 v4, 0, 1, vcc_lo
	v_cmp_gt_i32_e32 vcc_lo, v1, v15
	s_delay_alu instid0(VALU_DEP_4) | instskip(SKIP_2) | instid1(VALU_DEP_3)
	v_add_co_ci_u32_e32 v2, vcc_lo, v2, v3, vcc_lo
	v_cmp_gt_i32_e32 vcc_lo, v1, v17
	v_add_nc_u32_e32 v1, s26, v1
	v_add_co_ci_u32_e32 v6, vcc_lo, v2, v4, vcc_lo
	ds_load_2addr_b64 v[2:5], v25 offset1:1
	v_ashrrev_i32_e32 v7, 31, v6
	s_delay_alu instid0(VALU_DEP_1) | instskip(SKIP_1) | instid1(VALU_DEP_2)
	v_lshlrev_b64 v[8:9], 2, v[6:7]
	v_lshlrev_b64 v[6:7], 4, v[6:7]
	v_add_co_u32 v8, vcc_lo, s28, v8
	s_delay_alu instid0(VALU_DEP_3) | instskip(NEXT) | instid1(VALU_DEP_3)
	v_add_co_ci_u32_e32 v9, vcc_lo, s29, v9, vcc_lo
	v_add_co_u32 v6, vcc_lo, s30, v6
	s_delay_alu instid0(VALU_DEP_4)
	v_add_co_ci_u32_e32 v7, vcc_lo, s31, v7, vcc_lo
	global_store_b32 v[8:9], v1, off
	s_waitcnt lgkmcnt(0)
	global_store_b128 v[6:7], v[2:5], off
	s_branch .LBB67_65
.LBB67_68:
	s_nop 0
	s_sendmsg sendmsg(MSG_DEALLOC_VGPRS)
	s_endpgm
	.section	.rodata,"a",@progbits
	.p2align	6, 0x0
	.amdhsa_kernel _ZN9rocsparseL23csrgemm_fill_wf_per_rowILj256ELj8ELj16ELj137Eii21rocsparse_complex_numIdEEEvT4_S3_PKS3_S5_NS_24const_host_device_scalarIT5_EEPKT3_S5_PKS7_SB_S5_SD_S8_SB_S5_SD_SB_PS3_PS7_21rocsparse_index_base_SG_SG_SG_bbb
		.amdhsa_group_segment_fixed_size 14336
		.amdhsa_private_segment_fixed_size 0
		.amdhsa_kernarg_size 172
		.amdhsa_user_sgpr_count 15
		.amdhsa_user_sgpr_dispatch_ptr 1
		.amdhsa_user_sgpr_queue_ptr 0
		.amdhsa_user_sgpr_kernarg_segment_ptr 1
		.amdhsa_user_sgpr_dispatch_id 0
		.amdhsa_user_sgpr_private_segment_size 0
		.amdhsa_wavefront_size32 1
		.amdhsa_uses_dynamic_stack 0
		.amdhsa_enable_private_segment 0
		.amdhsa_system_sgpr_workgroup_id_x 1
		.amdhsa_system_sgpr_workgroup_id_y 0
		.amdhsa_system_sgpr_workgroup_id_z 0
		.amdhsa_system_sgpr_workgroup_info 0
		.amdhsa_system_vgpr_workitem_id 2
		.amdhsa_next_free_vgpr 35
		.amdhsa_next_free_sgpr 48
		.amdhsa_reserve_vcc 1
		.amdhsa_float_round_mode_32 0
		.amdhsa_float_round_mode_16_64 0
		.amdhsa_float_denorm_mode_32 3
		.amdhsa_float_denorm_mode_16_64 3
		.amdhsa_dx10_clamp 1
		.amdhsa_ieee_mode 1
		.amdhsa_fp16_overflow 0
		.amdhsa_workgroup_processor_mode 1
		.amdhsa_memory_ordered 1
		.amdhsa_forward_progress 0
		.amdhsa_shared_vgpr_count 0
		.amdhsa_exception_fp_ieee_invalid_op 0
		.amdhsa_exception_fp_denorm_src 0
		.amdhsa_exception_fp_ieee_div_zero 0
		.amdhsa_exception_fp_ieee_overflow 0
		.amdhsa_exception_fp_ieee_underflow 0
		.amdhsa_exception_fp_ieee_inexact 0
		.amdhsa_exception_int_div_zero 0
	.end_amdhsa_kernel
	.section	.text._ZN9rocsparseL23csrgemm_fill_wf_per_rowILj256ELj8ELj16ELj137Eii21rocsparse_complex_numIdEEEvT4_S3_PKS3_S5_NS_24const_host_device_scalarIT5_EEPKT3_S5_PKS7_SB_S5_SD_S8_SB_S5_SD_SB_PS3_PS7_21rocsparse_index_base_SG_SG_SG_bbb,"axG",@progbits,_ZN9rocsparseL23csrgemm_fill_wf_per_rowILj256ELj8ELj16ELj137Eii21rocsparse_complex_numIdEEEvT4_S3_PKS3_S5_NS_24const_host_device_scalarIT5_EEPKT3_S5_PKS7_SB_S5_SD_S8_SB_S5_SD_SB_PS3_PS7_21rocsparse_index_base_SG_SG_SG_bbb,comdat
.Lfunc_end67:
	.size	_ZN9rocsparseL23csrgemm_fill_wf_per_rowILj256ELj8ELj16ELj137Eii21rocsparse_complex_numIdEEEvT4_S3_PKS3_S5_NS_24const_host_device_scalarIT5_EEPKT3_S5_PKS7_SB_S5_SD_S8_SB_S5_SD_SB_PS3_PS7_21rocsparse_index_base_SG_SG_SG_bbb, .Lfunc_end67-_ZN9rocsparseL23csrgemm_fill_wf_per_rowILj256ELj8ELj16ELj137Eii21rocsparse_complex_numIdEEEvT4_S3_PKS3_S5_NS_24const_host_device_scalarIT5_EEPKT3_S5_PKS7_SB_S5_SD_S8_SB_S5_SD_SB_PS3_PS7_21rocsparse_index_base_SG_SG_SG_bbb
                                        ; -- End function
	.section	.AMDGPU.csdata,"",@progbits
; Kernel info:
; codeLenInByte = 2944
; NumSgprs: 50
; NumVgprs: 35
; ScratchSize: 0
; MemoryBound: 0
; FloatMode: 240
; IeeeMode: 1
; LDSByteSize: 14336 bytes/workgroup (compile time only)
; SGPRBlocks: 6
; VGPRBlocks: 4
; NumSGPRsForWavesPerEU: 50
; NumVGPRsForWavesPerEU: 35
; Occupancy: 16
; WaveLimiterHint : 1
; COMPUTE_PGM_RSRC2:SCRATCH_EN: 0
; COMPUTE_PGM_RSRC2:USER_SGPR: 15
; COMPUTE_PGM_RSRC2:TRAP_HANDLER: 0
; COMPUTE_PGM_RSRC2:TGID_X_EN: 1
; COMPUTE_PGM_RSRC2:TGID_Y_EN: 0
; COMPUTE_PGM_RSRC2:TGID_Z_EN: 0
; COMPUTE_PGM_RSRC2:TIDIG_COMP_CNT: 2
	.section	.text._ZN9rocsparseL23csrgemm_fill_wf_per_rowILj256ELj16ELj32ELj137Eii21rocsparse_complex_numIdEEEvT4_S3_PKS3_S5_NS_24const_host_device_scalarIT5_EEPKT3_S5_PKS7_SB_S5_SD_S8_SB_S5_SD_SB_PS3_PS7_21rocsparse_index_base_SG_SG_SG_bbb,"axG",@progbits,_ZN9rocsparseL23csrgemm_fill_wf_per_rowILj256ELj16ELj32ELj137Eii21rocsparse_complex_numIdEEEvT4_S3_PKS3_S5_NS_24const_host_device_scalarIT5_EEPKT3_S5_PKS7_SB_S5_SD_S8_SB_S5_SD_SB_PS3_PS7_21rocsparse_index_base_SG_SG_SG_bbb,comdat
	.globl	_ZN9rocsparseL23csrgemm_fill_wf_per_rowILj256ELj16ELj32ELj137Eii21rocsparse_complex_numIdEEEvT4_S3_PKS3_S5_NS_24const_host_device_scalarIT5_EEPKT3_S5_PKS7_SB_S5_SD_S8_SB_S5_SD_SB_PS3_PS7_21rocsparse_index_base_SG_SG_SG_bbb ; -- Begin function _ZN9rocsparseL23csrgemm_fill_wf_per_rowILj256ELj16ELj32ELj137Eii21rocsparse_complex_numIdEEEvT4_S3_PKS3_S5_NS_24const_host_device_scalarIT5_EEPKT3_S5_PKS7_SB_S5_SD_S8_SB_S5_SD_SB_PS3_PS7_21rocsparse_index_base_SG_SG_SG_bbb
	.p2align	8
	.type	_ZN9rocsparseL23csrgemm_fill_wf_per_rowILj256ELj16ELj32ELj137Eii21rocsparse_complex_numIdEEEvT4_S3_PKS3_S5_NS_24const_host_device_scalarIT5_EEPKT3_S5_PKS7_SB_S5_SD_S8_SB_S5_SD_SB_PS3_PS7_21rocsparse_index_base_SG_SG_SG_bbb,@function
_ZN9rocsparseL23csrgemm_fill_wf_per_rowILj256ELj16ELj32ELj137Eii21rocsparse_complex_numIdEEEvT4_S3_PKS3_S5_NS_24const_host_device_scalarIT5_EEPKT3_S5_PKS7_SB_S5_SD_S8_SB_S5_SD_SB_PS3_PS7_21rocsparse_index_base_SG_SG_SG_bbb: ; @_ZN9rocsparseL23csrgemm_fill_wf_per_rowILj256ELj16ELj32ELj137Eii21rocsparse_complex_numIdEEEvT4_S3_PKS3_S5_NS_24const_host_device_scalarIT5_EEPKT3_S5_PKS7_SB_S5_SD_S8_SB_S5_SD_SB_PS3_PS7_21rocsparse_index_base_SG_SG_SG_bbb
; %bb.0:
	s_load_b32 s14, s[2:3], 0xa8
	s_load_b64 s[8:9], s[0:1], 0x4
	s_clause 0x1
	s_load_b128 s[4:7], s[2:3], 0x18
	s_load_b128 s[44:47], s[2:3], 0x58
	v_dual_mov_b32 v4, 0 :: v_dual_and_b32 v1, 0x3ff, v0
	s_load_b128 s[24:27], s[2:3], 0x98
	v_bfe_u32 v3, v0, 10, 10
	v_mov_b32_e32 v5, 0
	v_bfe_u32 v0, v0, 20, 10
	s_waitcnt lgkmcnt(0)
	s_bitcmp1_b32 s14, 0
	s_cselect_b32 s13, -1, 0
	s_bitcmp1_b32 s14, 16
	v_mov_b32_e32 v6, s44
	s_cselect_b32 s0, -1, 0
	s_lshr_b32 s1, s8, 16
	s_delay_alu instid0(SALU_CYCLE_1) | instskip(NEXT) | instid1(SALU_CYCLE_1)
	s_mul_i32 s1, s1, s9
	v_mul_lo_u32 v2, s1, v1
	s_xor_b32 s1, s0, -1
	s_bitcmp0_b32 s14, 0
	v_cndmask_b32_e64 v8, 0, 1, s1
	s_delay_alu instid0(VALU_DEP_2) | instskip(SKIP_1) | instid1(VALU_DEP_3)
	v_mad_u32_u24 v9, v3, s9, v2
	v_dual_mov_b32 v2, s4 :: v_dual_mov_b32 v3, s5
	v_cmp_ne_u32_e32 vcc_lo, 1, v8
	v_mov_b32_e32 v11, v5
	s_delay_alu instid0(VALU_DEP_4)
	v_add_lshl_u32 v0, v9, v0, 3
	v_dual_mov_b32 v9, v5 :: v_dual_mov_b32 v10, v4
	v_dual_mov_b32 v7, s45 :: v_dual_mov_b32 v8, v4
	ds_store_2addr_stride64_b64 v0, v[6:7], v[2:3] offset0:20 offset1:24
	s_cbranch_scc1 .LBB68_3
; %bb.1:
	s_mov_b64 s[8:9], src_shared_base
	s_and_b32 s8, s0, exec_lo
	s_cselect_b32 s8, s9, s5
	s_delay_alu instid0(SALU_CYCLE_1) | instskip(SKIP_2) | instid1(VALU_DEP_2)
	v_dual_mov_b32 v3, s8 :: v_dual_add_nc_u32 v2, 0x3000, v0
	v_dual_mov_b32 v11, s7 :: v_dual_mov_b32 v10, s6
	s_and_b32 vcc_lo, exec_lo, vcc_lo
	v_cndmask_b32_e64 v2, s4, v2, s0
	flat_load_b64 v[8:9], v[2:3]
	s_cbranch_vccnz .LBB68_3
; %bb.2:
	v_dual_mov_b32 v2, s4 :: v_dual_mov_b32 v3, s5
	flat_load_b64 v[10:11], v[2:3] offset:8
.LBB68_3:
	s_clause 0x4
	s_load_b128 s[28:31], s[2:3], 0x88
	s_load_b256 s[4:11], s[2:3], 0x68
	s_load_b128 s[36:39], s[2:3], 0x48
	s_load_b128 s[40:43], s[2:3], 0x8
	s_load_b256 s[16:23], s[2:3], 0x28
	s_bitcmp1_b32 s14, 8
	v_dual_mov_b32 v7, v5 :: v_dual_mov_b32 v6, v4
	s_cselect_b32 s12, -1, 0
	s_bfe_u32 s14, s14, 0x10008
	s_delay_alu instid0(SALU_CYCLE_1)
	s_cmp_eq_u32 s14, 0
	s_cbranch_scc1 .LBB68_6
; %bb.4:
	s_mov_b64 s[34:35], src_shared_base
	s_and_b32 s14, s0, exec_lo
	s_cselect_b32 s14, s35, s45
	s_delay_alu instid0(SALU_CYCLE_1) | instskip(SKIP_2) | instid1(VALU_DEP_2)
	v_dual_mov_b32 v3, s14 :: v_dual_add_nc_u32 v0, 0x2800, v0
	v_dual_mov_b32 v4, s46 :: v_dual_mov_b32 v5, s47
	s_and_not1_b32 vcc_lo, exec_lo, s1
	v_cndmask_b32_e64 v2, s44, v0, s0
	flat_load_b64 v[6:7], v[2:3]
	s_cbranch_vccnz .LBB68_6
; %bb.5:
	v_dual_mov_b32 v2, s44 :: v_dual_mov_b32 v3, s45
	flat_load_b64 v[4:5], v[2:3] offset:8
.LBB68_6:
	v_lshrrev_b32_e32 v12, 4, v1
	v_mov_b32_e32 v0, 0
	v_and_b32_e32 v28, 15, v1
	s_load_b64 s[0:1], s[2:3], 0x0
	s_mov_b32 s2, 0
	v_lshlrev_b32_e32 v1, 7, v12
	s_delay_alu instid0(VALU_DEP_2) | instskip(NEXT) | instid1(VALU_DEP_1)
	v_lshlrev_b32_e32 v2, 2, v28
	v_or3_b32 v24, v1, v2, 0x2000
	s_delay_alu instid0(VALU_DEP_1)
	v_mov_b32_e32 v13, v24
	v_mov_b32_e32 v1, v0
	v_lshlrev_b32_e32 v3, 4, v28
	v_or_b32_e32 v23, -16, v28
	s_waitcnt lgkmcnt(0)
	v_dual_mov_b32 v2, v0 :: v_dual_mov_b32 v15, s1
	s_delay_alu instid0(VALU_DEP_3) | instskip(NEXT) | instid1(VALU_DEP_3)
	v_lshl_or_b32 v25, v12, 9, v3
	v_dual_mov_b32 v16, v23 :: v_dual_mov_b32 v3, v0
	s_delay_alu instid0(VALU_DEP_2)
	v_mov_b32_e32 v14, v25
.LBB68_7:                               ; =>This Inner Loop Header: Depth=1
	s_delay_alu instid0(VALU_DEP_2) | instskip(NEXT) | instid1(VALU_DEP_1)
	v_add_co_u32 v16, s3, v16, 16
	s_xor_b32 s3, s3, -1
	ds_store_b32 v13, v15
	ds_store_b128 v14, v[0:3]
	v_add_nc_u32_e32 v14, 0x100, v14
	v_add_nc_u32_e32 v13, 64, v13
	s_and_b32 s3, exec_lo, s3
	s_delay_alu instid0(SALU_CYCLE_1) | instskip(NEXT) | instid1(SALU_CYCLE_1)
	s_or_b32 s2, s3, s2
	s_and_not1_b32 exec_lo, exec_lo, s2
	s_cbranch_execnz .LBB68_7
; %bb.8:
	s_or_b32 exec_lo, exec_lo, s2
	s_lshl_b32 s2, s15, 4
	s_waitcnt vmcnt(0) lgkmcnt(0)
	buffer_gl0_inv
	v_and_or_b32 v0, 0xffffff0, s2, v12
	s_delay_alu instid0(VALU_DEP_1)
	v_cmp_gt_i32_e32 vcc_lo, s0, v0
	s_and_saveexec_b32 s0, vcc_lo
	s_cbranch_execz .LBB68_68
; %bb.9:
	s_cmp_eq_u64 s[42:43], 0
	s_cbranch_scc1 .LBB68_11
; %bb.10:
	s_load_b32 s0, s[40:41], 0x0
	s_waitcnt lgkmcnt(0)
	v_add_nc_u32_e32 v0, s0, v0
	s_delay_alu instid0(VALU_DEP_1) | instskip(NEXT) | instid1(VALU_DEP_1)
	v_ashrrev_i32_e32 v1, 31, v0
	v_lshlrev_b64 v[0:1], 2, v[0:1]
	s_delay_alu instid0(VALU_DEP_1) | instskip(NEXT) | instid1(VALU_DEP_2)
	v_add_co_u32 v0, vcc_lo, s42, v0
	v_add_co_ci_u32_e32 v1, vcc_lo, s43, v1, vcc_lo
	global_load_b32 v0, v[0:1], off
.LBB68_11:
	s_waitcnt vmcnt(0)
	v_ashrrev_i32_e32 v1, 31, v0
	v_lshl_or_b32 v26, v12, 7, 0x2000
	v_lshlrev_b32_e32 v27, 9, v12
	s_and_not1_b32 vcc_lo, exec_lo, s13
	s_delay_alu instid0(VALU_DEP_3)
	v_lshlrev_b64 v[0:1], 2, v[0:1]
	s_cbranch_vccnz .LBB68_39
; %bb.12:
	s_delay_alu instid0(VALU_DEP_1) | instskip(NEXT) | instid1(VALU_DEP_2)
	v_add_co_u32 v2, vcc_lo, s16, v0
	v_add_co_ci_u32_e32 v3, vcc_lo, s17, v1, vcc_lo
	v_subrev_nc_u32_e32 v12, s24, v28
	s_mov_b32 s0, exec_lo
	global_load_b64 v[2:3], v[2:3], off
	s_waitcnt vmcnt(0)
	v_subrev_nc_u32_e32 v29, s24, v3
	v_add_nc_u32_e32 v2, v2, v12
	s_delay_alu instid0(VALU_DEP_1)
	v_cmpx_lt_i32_e64 v2, v29
	s_cbranch_execz .LBB68_38
; %bb.13:
	s_mov_b32 s2, 0
	s_branch .LBB68_15
.LBB68_14:                              ;   in Loop: Header=BB68_15 Depth=1
	s_or_b32 exec_lo, exec_lo, s3
	v_add_nc_u32_e32 v2, 16, v2
	s_delay_alu instid0(VALU_DEP_1) | instskip(SKIP_1) | instid1(SALU_CYCLE_1)
	v_cmp_ge_i32_e32 vcc_lo, v2, v29
	s_or_b32 s2, vcc_lo, s2
	s_and_not1_b32 exec_lo, exec_lo, s2
	s_cbranch_execz .LBB68_38
.LBB68_15:                              ; =>This Loop Header: Depth=1
                                        ;     Child Loop BB68_18 Depth 2
                                        ;       Child Loop BB68_20 Depth 3
                                        ;         Child Loop BB68_26 Depth 4
                                        ;         Child Loop BB68_28 Depth 4
	;; [unrolled: 1-line block ×4, first 2 shown]
	v_ashrrev_i32_e32 v3, 31, v2
	s_mov_b32 s3, exec_lo
	s_delay_alu instid0(VALU_DEP_1) | instskip(NEXT) | instid1(VALU_DEP_1)
	v_lshlrev_b64 v[12:13], 2, v[2:3]
	v_add_co_u32 v12, vcc_lo, s18, v12
	s_delay_alu instid0(VALU_DEP_2) | instskip(SKIP_3) | instid1(VALU_DEP_1)
	v_add_co_ci_u32_e32 v13, vcc_lo, s19, v13, vcc_lo
	global_load_b32 v12, v[12:13], off
	s_waitcnt vmcnt(0)
	v_subrev_nc_u32_e32 v12, s24, v12
	v_ashrrev_i32_e32 v13, 31, v12
	s_delay_alu instid0(VALU_DEP_1) | instskip(NEXT) | instid1(VALU_DEP_1)
	v_lshlrev_b64 v[12:13], 2, v[12:13]
	v_add_co_u32 v12, vcc_lo, s22, v12
	s_delay_alu instid0(VALU_DEP_2)
	v_add_co_ci_u32_e32 v13, vcc_lo, s23, v13, vcc_lo
	global_load_b64 v[16:17], v[12:13], off
	s_waitcnt vmcnt(0)
	v_cmpx_lt_i32_e64 v16, v17
	s_cbranch_execz .LBB68_14
; %bb.16:                               ;   in Loop: Header=BB68_15 Depth=1
	v_lshlrev_b64 v[12:13], 4, v[2:3]
	v_subrev_nc_u32_e32 v3, s25, v17
	v_subrev_nc_u32_e32 v16, s25, v16
	s_mov_b32 s13, 0
	s_delay_alu instid0(VALU_DEP_3) | instskip(NEXT) | instid1(VALU_DEP_4)
	v_add_co_u32 v12, vcc_lo, s20, v12
	v_add_co_ci_u32_e32 v13, vcc_lo, s21, v13, vcc_lo
	global_load_b128 v[18:21], v[12:13], off
	s_waitcnt vmcnt(0)
	v_mul_f64 v[12:13], v[20:21], -v[10:11]
	v_mul_f64 v[14:15], v[8:9], v[20:21]
	s_delay_alu instid0(VALU_DEP_2) | instskip(NEXT) | instid1(VALU_DEP_2)
	v_fma_f64 v[12:13], v[8:9], v[18:19], v[12:13]
	v_fma_f64 v[14:15], v[10:11], v[18:19], v[14:15]
	s_branch .LBB68_18
.LBB68_17:                              ;   in Loop: Header=BB68_18 Depth=2
	s_or_b32 exec_lo, exec_lo, s14
	v_add_nc_u32_e32 v16, 1, v16
	s_delay_alu instid0(VALU_DEP_1) | instskip(SKIP_1) | instid1(SALU_CYCLE_1)
	v_cmp_ge_i32_e32 vcc_lo, v16, v3
	s_or_b32 s13, vcc_lo, s13
	s_and_not1_b32 exec_lo, exec_lo, s13
	s_cbranch_execz .LBB68_14
.LBB68_18:                              ;   Parent Loop BB68_15 Depth=1
                                        ; =>  This Loop Header: Depth=2
                                        ;       Child Loop BB68_20 Depth 3
                                        ;         Child Loop BB68_26 Depth 4
                                        ;         Child Loop BB68_28 Depth 4
	;; [unrolled: 1-line block ×4, first 2 shown]
	v_ashrrev_i32_e32 v17, 31, v16
	s_mov_b32 s14, 0
	s_delay_alu instid0(VALU_DEP_1) | instskip(NEXT) | instid1(VALU_DEP_1)
	v_lshlrev_b64 v[18:19], 4, v[16:17]
	v_add_co_u32 v18, vcc_lo, s38, v18
	s_delay_alu instid0(VALU_DEP_2) | instskip(SKIP_2) | instid1(VALU_DEP_1)
	v_add_co_ci_u32_e32 v19, vcc_lo, s39, v19, vcc_lo
	global_load_b128 v[19:22], v[18:19], off
	v_lshlrev_b64 v[17:18], 2, v[16:17]
	v_add_co_u32 v17, vcc_lo, s36, v17
	s_delay_alu instid0(VALU_DEP_2)
	v_add_co_ci_u32_e32 v18, vcc_lo, s37, v18, vcc_lo
	global_load_b32 v30, v[17:18], off
	s_waitcnt vmcnt(1)
	v_mul_f64 v[17:18], v[21:22], -v[14:15]
	v_mul_f64 v[21:22], v[12:13], v[21:22]
	s_waitcnt vmcnt(0)
	v_subrev_nc_u32_e32 v30, s25, v30
	s_delay_alu instid0(VALU_DEP_3) | instskip(NEXT) | instid1(VALU_DEP_3)
	v_fma_f64 v[17:18], v[12:13], v[19:20], v[17:18]
	v_fma_f64 v[19:20], v[14:15], v[19:20], v[21:22]
	s_delay_alu instid0(VALU_DEP_3) | instskip(NEXT) | instid1(VALU_DEP_1)
	v_lshl_add_u32 v21, v30, 3, v30
	v_and_b32_e32 v31, 31, v21
	s_branch .LBB68_20
.LBB68_19:                              ;   in Loop: Header=BB68_20 Depth=3
	s_or_b32 exec_lo, exec_lo, s15
	s_xor_b32 s15, s16, -1
	s_delay_alu instid0(SALU_CYCLE_1) | instskip(NEXT) | instid1(SALU_CYCLE_1)
	s_and_b32 s15, exec_lo, s15
	s_or_b32 s14, s15, s14
	s_delay_alu instid0(SALU_CYCLE_1)
	s_and_not1_b32 exec_lo, exec_lo, s14
	s_cbranch_execz .LBB68_17
.LBB68_20:                              ;   Parent Loop BB68_15 Depth=1
                                        ;     Parent Loop BB68_18 Depth=2
                                        ; =>    This Loop Header: Depth=3
                                        ;         Child Loop BB68_26 Depth 4
                                        ;         Child Loop BB68_28 Depth 4
	;; [unrolled: 1-line block ×4, first 2 shown]
	s_delay_alu instid0(VALU_DEP_1)
	v_lshl_add_u32 v21, v31, 2, v26
	s_mov_b32 s15, exec_lo
                                        ; implicit-def: $sgpr16
	ds_load_b32 v22, v21
	s_waitcnt lgkmcnt(0)
	v_cmpx_ne_u32_e64 v22, v30
	s_xor_b32 s15, exec_lo, s15
	s_cbranch_execz .LBB68_32
; %bb.21:                               ;   in Loop: Header=BB68_20 Depth=3
	s_mov_b32 s17, exec_lo
                                        ; implicit-def: $sgpr16
	v_cmpx_ne_u32_e64 s1, v22
	s_xor_b32 s17, exec_lo, s17
; %bb.22:                               ;   in Loop: Header=BB68_20 Depth=3
	v_add_nc_u32_e32 v21, 1, v31
	s_mov_b32 s16, -1
	s_delay_alu instid0(VALU_DEP_1)
	v_and_b32_e32 v31, 31, v21
                                        ; implicit-def: $vgpr21
; %bb.23:                               ;   in Loop: Header=BB68_20 Depth=3
	s_and_not1_saveexec_b32 s17, s17
	s_cbranch_execz .LBB68_31
; %bb.24:                               ;   in Loop: Header=BB68_20 Depth=3
	v_mov_b32_e32 v22, s1
	s_mov_b32 s34, -1
	s_mov_b32 s33, exec_lo
	ds_cmpstore_rtn_b32 v21, v21, v30, v22
	s_waitcnt lgkmcnt(0)
	v_cmpx_eq_u32_e64 s1, v21
	s_cbranch_execz .LBB68_30
; %bb.25:                               ;   in Loop: Header=BB68_20 Depth=3
	v_lshl_add_u32 v32, v31, 4, v27
	s_mov_b32 s34, 0
	ds_load_b64 v[21:22], v32
.LBB68_26:                              ;   Parent Loop BB68_15 Depth=1
                                        ;     Parent Loop BB68_18 Depth=2
                                        ;       Parent Loop BB68_20 Depth=3
                                        ; =>      This Inner Loop Header: Depth=4
	s_waitcnt lgkmcnt(0)
	v_add_f64 v[33:34], v[21:22], v[17:18]
	ds_cmpstore_rtn_b64 v[33:34], v32, v[33:34], v[21:22]
	s_waitcnt lgkmcnt(0)
	v_cmp_eq_u64_e32 vcc_lo, v[33:34], v[21:22]
	v_dual_mov_b32 v21, v33 :: v_dual_mov_b32 v22, v34
	s_or_b32 s34, vcc_lo, s34
	s_delay_alu instid0(SALU_CYCLE_1)
	s_and_not1_b32 exec_lo, exec_lo, s34
	s_cbranch_execnz .LBB68_26
; %bb.27:                               ;   in Loop: Header=BB68_20 Depth=3
	s_or_b32 exec_lo, exec_lo, s34
	ds_load_b64 v[21:22], v32 offset:8
	s_mov_b32 s34, 0
.LBB68_28:                              ;   Parent Loop BB68_15 Depth=1
                                        ;     Parent Loop BB68_18 Depth=2
                                        ;       Parent Loop BB68_20 Depth=3
                                        ; =>      This Inner Loop Header: Depth=4
	s_waitcnt lgkmcnt(0)
	v_add_f64 v[33:34], v[21:22], v[19:20]
	ds_cmpstore_rtn_b64 v[33:34], v32, v[33:34], v[21:22] offset:8
	s_waitcnt lgkmcnt(0)
	v_cmp_eq_u64_e32 vcc_lo, v[33:34], v[21:22]
	v_dual_mov_b32 v21, v33 :: v_dual_mov_b32 v22, v34
	s_or_b32 s34, vcc_lo, s34
	s_delay_alu instid0(SALU_CYCLE_1)
	s_and_not1_b32 exec_lo, exec_lo, s34
	s_cbranch_execnz .LBB68_28
; %bb.29:                               ;   in Loop: Header=BB68_20 Depth=3
	s_or_b32 exec_lo, exec_lo, s34
	s_delay_alu instid0(SALU_CYCLE_1)
	s_xor_b32 s34, exec_lo, -1
.LBB68_30:                              ;   in Loop: Header=BB68_20 Depth=3
	s_or_b32 exec_lo, exec_lo, s33
	s_delay_alu instid0(SALU_CYCLE_1) | instskip(SKIP_1) | instid1(SALU_CYCLE_1)
	s_and_not1_b32 s16, s16, exec_lo
	s_and_b32 s33, s34, exec_lo
	s_or_b32 s16, s16, s33
.LBB68_31:                              ;   in Loop: Header=BB68_20 Depth=3
	s_or_b32 exec_lo, exec_lo, s17
	s_delay_alu instid0(SALU_CYCLE_1)
	s_and_b32 s16, s16, exec_lo
.LBB68_32:                              ;   in Loop: Header=BB68_20 Depth=3
	s_and_not1_saveexec_b32 s15, s15
	s_cbranch_execz .LBB68_19
; %bb.33:                               ;   in Loop: Header=BB68_20 Depth=3
	v_lshl_add_u32 v32, v31, 4, v27
	s_mov_b32 s17, 0
	ds_load_b64 v[21:22], v32
.LBB68_34:                              ;   Parent Loop BB68_15 Depth=1
                                        ;     Parent Loop BB68_18 Depth=2
                                        ;       Parent Loop BB68_20 Depth=3
                                        ; =>      This Inner Loop Header: Depth=4
	s_waitcnt lgkmcnt(0)
	v_add_f64 v[33:34], v[21:22], v[17:18]
	ds_cmpstore_rtn_b64 v[33:34], v32, v[33:34], v[21:22]
	s_waitcnt lgkmcnt(0)
	v_cmp_eq_u64_e32 vcc_lo, v[33:34], v[21:22]
	v_dual_mov_b32 v21, v33 :: v_dual_mov_b32 v22, v34
	s_or_b32 s17, vcc_lo, s17
	s_delay_alu instid0(SALU_CYCLE_1)
	s_and_not1_b32 exec_lo, exec_lo, s17
	s_cbranch_execnz .LBB68_34
; %bb.35:                               ;   in Loop: Header=BB68_20 Depth=3
	s_or_b32 exec_lo, exec_lo, s17
	ds_load_b64 v[21:22], v32 offset:8
	s_mov_b32 s17, 0
.LBB68_36:                              ;   Parent Loop BB68_15 Depth=1
                                        ;     Parent Loop BB68_18 Depth=2
                                        ;       Parent Loop BB68_20 Depth=3
                                        ; =>      This Inner Loop Header: Depth=4
	s_waitcnt lgkmcnt(0)
	v_add_f64 v[33:34], v[21:22], v[19:20]
	ds_cmpstore_rtn_b64 v[33:34], v32, v[33:34], v[21:22] offset:8
	s_waitcnt lgkmcnt(0)
	v_cmp_eq_u64_e32 vcc_lo, v[33:34], v[21:22]
	v_dual_mov_b32 v21, v33 :: v_dual_mov_b32 v22, v34
	s_or_b32 s17, vcc_lo, s17
	s_delay_alu instid0(SALU_CYCLE_1)
	s_and_not1_b32 exec_lo, exec_lo, s17
	s_cbranch_execnz .LBB68_36
; %bb.37:                               ;   in Loop: Header=BB68_20 Depth=3
	s_or_b32 exec_lo, exec_lo, s17
	s_delay_alu instid0(SALU_CYCLE_1)
	s_and_not1_b32 s16, s16, exec_lo
	s_branch .LBB68_19
.LBB68_38:
	s_or_b32 exec_lo, exec_lo, s0
.LBB68_39:
	s_delay_alu instid0(SALU_CYCLE_1)
	s_and_not1_b32 vcc_lo, exec_lo, s12
	s_cbranch_vccnz .LBB68_64
; %bb.40:
	s_delay_alu instid0(VALU_DEP_1) | instskip(NEXT) | instid1(VALU_DEP_2)
	v_add_co_u32 v2, vcc_lo, s4, v0
	v_add_co_ci_u32_e32 v3, vcc_lo, s5, v1, vcc_lo
	v_subrev_nc_u32_e32 v8, s27, v28
	s_mov_b32 s0, exec_lo
	global_load_b64 v[2:3], v[2:3], off
	s_waitcnt vmcnt(0)
	v_subrev_nc_u32_e32 v14, s27, v3
	v_add_nc_u32_e32 v2, v2, v8
	s_delay_alu instid0(VALU_DEP_1)
	v_cmpx_lt_i32_e64 v2, v14
	s_cbranch_execz .LBB68_63
; %bb.41:
	s_mov_b32 s2, 0
	s_branch .LBB68_43
.LBB68_42:                              ;   in Loop: Header=BB68_43 Depth=1
	s_or_b32 exec_lo, exec_lo, s3
	v_add_nc_u32_e32 v2, 16, v2
	s_delay_alu instid0(VALU_DEP_1) | instskip(SKIP_1) | instid1(SALU_CYCLE_1)
	v_cmp_ge_i32_e32 vcc_lo, v2, v14
	s_or_b32 s2, vcc_lo, s2
	s_and_not1_b32 exec_lo, exec_lo, s2
	s_cbranch_execz .LBB68_63
.LBB68_43:                              ; =>This Loop Header: Depth=1
                                        ;     Child Loop BB68_45 Depth 2
                                        ;       Child Loop BB68_51 Depth 3
                                        ;       Child Loop BB68_53 Depth 3
	;; [unrolled: 1-line block ×4, first 2 shown]
	v_ashrrev_i32_e32 v3, 31, v2
	s_mov_b32 s3, 0
	s_delay_alu instid0(VALU_DEP_1) | instskip(NEXT) | instid1(VALU_DEP_1)
	v_lshlrev_b64 v[8:9], 4, v[2:3]
	v_add_co_u32 v8, vcc_lo, s8, v8
	s_delay_alu instid0(VALU_DEP_2) | instskip(SKIP_2) | instid1(VALU_DEP_1)
	v_add_co_ci_u32_e32 v9, vcc_lo, s9, v9, vcc_lo
	global_load_b128 v[10:13], v[8:9], off
	v_lshlrev_b64 v[8:9], 2, v[2:3]
	v_add_co_u32 v8, vcc_lo, s6, v8
	s_delay_alu instid0(VALU_DEP_2)
	v_add_co_ci_u32_e32 v9, vcc_lo, s7, v9, vcc_lo
	global_load_b32 v3, v[8:9], off
	s_waitcnt vmcnt(1)
	v_mul_f64 v[8:9], v[12:13], -v[4:5]
	v_mul_f64 v[12:13], v[6:7], v[12:13]
	s_waitcnt vmcnt(0)
	v_subrev_nc_u32_e32 v3, s27, v3
	s_delay_alu instid0(VALU_DEP_3) | instskip(NEXT) | instid1(VALU_DEP_3)
	v_fma_f64 v[8:9], v[6:7], v[10:11], v[8:9]
	v_fma_f64 v[10:11], v[4:5], v[10:11], v[12:13]
	s_delay_alu instid0(VALU_DEP_3) | instskip(NEXT) | instid1(VALU_DEP_1)
	v_lshl_add_u32 v12, v3, 3, v3
	v_and_b32_e32 v15, 31, v12
	s_branch .LBB68_45
.LBB68_44:                              ;   in Loop: Header=BB68_45 Depth=2
	s_or_b32 exec_lo, exec_lo, s4
	s_xor_b32 s4, s5, -1
	s_delay_alu instid0(SALU_CYCLE_1) | instskip(NEXT) | instid1(SALU_CYCLE_1)
	s_and_b32 s4, exec_lo, s4
	s_or_b32 s3, s4, s3
	s_delay_alu instid0(SALU_CYCLE_1)
	s_and_not1_b32 exec_lo, exec_lo, s3
	s_cbranch_execz .LBB68_42
.LBB68_45:                              ;   Parent Loop BB68_43 Depth=1
                                        ; =>  This Loop Header: Depth=2
                                        ;       Child Loop BB68_51 Depth 3
                                        ;       Child Loop BB68_53 Depth 3
	;; [unrolled: 1-line block ×4, first 2 shown]
	s_delay_alu instid0(VALU_DEP_1)
	v_lshl_add_u32 v12, v15, 2, v26
	s_mov_b32 s4, exec_lo
                                        ; implicit-def: $sgpr5
	ds_load_b32 v13, v12
	s_waitcnt lgkmcnt(0)
	v_cmpx_ne_u32_e64 v13, v3
	s_xor_b32 s4, exec_lo, s4
	s_cbranch_execz .LBB68_57
; %bb.46:                               ;   in Loop: Header=BB68_45 Depth=2
	s_mov_b32 s12, exec_lo
                                        ; implicit-def: $sgpr5
	v_cmpx_ne_u32_e64 s1, v13
	s_xor_b32 s12, exec_lo, s12
; %bb.47:                               ;   in Loop: Header=BB68_45 Depth=2
	v_add_nc_u32_e32 v12, 1, v15
	s_mov_b32 s5, -1
	s_delay_alu instid0(VALU_DEP_1)
	v_and_b32_e32 v15, 31, v12
                                        ; implicit-def: $vgpr12
; %bb.48:                               ;   in Loop: Header=BB68_45 Depth=2
	s_and_not1_saveexec_b32 s12, s12
	s_cbranch_execz .LBB68_56
; %bb.49:                               ;   in Loop: Header=BB68_45 Depth=2
	v_mov_b32_e32 v13, s1
	s_mov_b32 s14, -1
	s_mov_b32 s13, exec_lo
	ds_cmpstore_rtn_b32 v12, v12, v3, v13
	s_waitcnt lgkmcnt(0)
	v_cmpx_eq_u32_e64 s1, v12
	s_cbranch_execz .LBB68_55
; %bb.50:                               ;   in Loop: Header=BB68_45 Depth=2
	v_lshl_add_u32 v16, v15, 4, v27
	s_mov_b32 s14, 0
	ds_load_b64 v[12:13], v16
.LBB68_51:                              ;   Parent Loop BB68_43 Depth=1
                                        ;     Parent Loop BB68_45 Depth=2
                                        ; =>    This Inner Loop Header: Depth=3
	s_waitcnt lgkmcnt(0)
	v_add_f64 v[17:18], v[12:13], v[8:9]
	ds_cmpstore_rtn_b64 v[17:18], v16, v[17:18], v[12:13]
	s_waitcnt lgkmcnt(0)
	v_cmp_eq_u64_e32 vcc_lo, v[17:18], v[12:13]
	v_dual_mov_b32 v12, v17 :: v_dual_mov_b32 v13, v18
	s_or_b32 s14, vcc_lo, s14
	s_delay_alu instid0(SALU_CYCLE_1)
	s_and_not1_b32 exec_lo, exec_lo, s14
	s_cbranch_execnz .LBB68_51
; %bb.52:                               ;   in Loop: Header=BB68_45 Depth=2
	s_or_b32 exec_lo, exec_lo, s14
	ds_load_b64 v[12:13], v16 offset:8
	s_mov_b32 s14, 0
.LBB68_53:                              ;   Parent Loop BB68_43 Depth=1
                                        ;     Parent Loop BB68_45 Depth=2
                                        ; =>    This Inner Loop Header: Depth=3
	s_waitcnt lgkmcnt(0)
	v_add_f64 v[17:18], v[12:13], v[10:11]
	ds_cmpstore_rtn_b64 v[17:18], v16, v[17:18], v[12:13] offset:8
	s_waitcnt lgkmcnt(0)
	v_cmp_eq_u64_e32 vcc_lo, v[17:18], v[12:13]
	v_dual_mov_b32 v12, v17 :: v_dual_mov_b32 v13, v18
	s_or_b32 s14, vcc_lo, s14
	s_delay_alu instid0(SALU_CYCLE_1)
	s_and_not1_b32 exec_lo, exec_lo, s14
	s_cbranch_execnz .LBB68_53
; %bb.54:                               ;   in Loop: Header=BB68_45 Depth=2
	s_or_b32 exec_lo, exec_lo, s14
	s_delay_alu instid0(SALU_CYCLE_1)
	s_xor_b32 s14, exec_lo, -1
.LBB68_55:                              ;   in Loop: Header=BB68_45 Depth=2
	s_or_b32 exec_lo, exec_lo, s13
	s_delay_alu instid0(SALU_CYCLE_1) | instskip(SKIP_1) | instid1(SALU_CYCLE_1)
	s_and_not1_b32 s5, s5, exec_lo
	s_and_b32 s13, s14, exec_lo
	s_or_b32 s5, s5, s13
.LBB68_56:                              ;   in Loop: Header=BB68_45 Depth=2
	s_or_b32 exec_lo, exec_lo, s12
	s_delay_alu instid0(SALU_CYCLE_1)
	s_and_b32 s5, s5, exec_lo
.LBB68_57:                              ;   in Loop: Header=BB68_45 Depth=2
	s_and_not1_saveexec_b32 s4, s4
	s_cbranch_execz .LBB68_44
; %bb.58:                               ;   in Loop: Header=BB68_45 Depth=2
	v_lshl_add_u32 v16, v15, 4, v27
	s_mov_b32 s12, 0
	ds_load_b64 v[12:13], v16
.LBB68_59:                              ;   Parent Loop BB68_43 Depth=1
                                        ;     Parent Loop BB68_45 Depth=2
                                        ; =>    This Inner Loop Header: Depth=3
	s_waitcnt lgkmcnt(0)
	v_add_f64 v[17:18], v[12:13], v[8:9]
	ds_cmpstore_rtn_b64 v[17:18], v16, v[17:18], v[12:13]
	s_waitcnt lgkmcnt(0)
	v_cmp_eq_u64_e32 vcc_lo, v[17:18], v[12:13]
	v_dual_mov_b32 v12, v17 :: v_dual_mov_b32 v13, v18
	s_or_b32 s12, vcc_lo, s12
	s_delay_alu instid0(SALU_CYCLE_1)
	s_and_not1_b32 exec_lo, exec_lo, s12
	s_cbranch_execnz .LBB68_59
; %bb.60:                               ;   in Loop: Header=BB68_45 Depth=2
	s_or_b32 exec_lo, exec_lo, s12
	ds_load_b64 v[12:13], v16 offset:8
	s_mov_b32 s12, 0
.LBB68_61:                              ;   Parent Loop BB68_43 Depth=1
                                        ;     Parent Loop BB68_45 Depth=2
                                        ; =>    This Inner Loop Header: Depth=3
	s_waitcnt lgkmcnt(0)
	v_add_f64 v[17:18], v[12:13], v[10:11]
	ds_cmpstore_rtn_b64 v[17:18], v16, v[17:18], v[12:13] offset:8
	s_waitcnt lgkmcnt(0)
	v_cmp_eq_u64_e32 vcc_lo, v[17:18], v[12:13]
	v_dual_mov_b32 v12, v17 :: v_dual_mov_b32 v13, v18
	s_or_b32 s12, vcc_lo, s12
	s_delay_alu instid0(SALU_CYCLE_1)
	s_and_not1_b32 exec_lo, exec_lo, s12
	s_cbranch_execnz .LBB68_61
; %bb.62:                               ;   in Loop: Header=BB68_45 Depth=2
	s_or_b32 exec_lo, exec_lo, s12
	s_delay_alu instid0(SALU_CYCLE_1)
	s_and_not1_b32 s5, s5, exec_lo
	s_branch .LBB68_44
.LBB68_63:
	s_or_b32 exec_lo, exec_lo, s0
.LBB68_64:
	s_delay_alu instid0(VALU_DEP_1) | instskip(NEXT) | instid1(VALU_DEP_2)
	v_add_co_u32 v0, vcc_lo, s10, v0
	v_add_co_ci_u32_e32 v1, vcc_lo, s11, v1, vcc_lo
	buffer_gl0_inv
	s_mov_b32 s0, 0
	global_load_b32 v0, v[0:1], off
	s_waitcnt vmcnt(0)
	v_subrev_nc_u32_e32 v0, s26, v0
	s_branch .LBB68_66
.LBB68_65:                              ;   in Loop: Header=BB68_66 Depth=1
	s_or_b32 exec_lo, exec_lo, s2
	v_add_co_u32 v23, s2, v23, 16
	s_delay_alu instid0(VALU_DEP_1) | instskip(SKIP_3) | instid1(SALU_CYCLE_1)
	s_xor_b32 s2, s2, -1
	v_add_nc_u32_e32 v25, 0x100, v25
	v_add_nc_u32_e32 v24, 64, v24
	s_and_b32 s2, exec_lo, s2
	s_or_b32 s0, s2, s0
	s_delay_alu instid0(SALU_CYCLE_1)
	s_and_not1_b32 exec_lo, exec_lo, s0
	s_cbranch_execz .LBB68_68
.LBB68_66:                              ; =>This Inner Loop Header: Depth=1
	ds_load_b32 v1, v24
	s_mov_b32 s2, exec_lo
	s_waitcnt lgkmcnt(0)
	v_cmpx_gt_i32_e64 s1, v1
	s_cbranch_execz .LBB68_65
; %bb.67:                               ;   in Loop: Header=BB68_66 Depth=1
	ds_load_b128 v[2:5], v26
	ds_load_b128 v[6:9], v26 offset:16
	ds_load_b128 v[10:13], v26 offset:32
	;; [unrolled: 1-line block ×7, first 2 shown]
	s_waitcnt lgkmcnt(7)
	v_cmp_gt_i32_e32 vcc_lo, v1, v2
	v_cndmask_b32_e64 v2, 0, 1, vcc_lo
	v_cmp_gt_i32_e32 vcc_lo, v1, v4
	v_cndmask_b32_e64 v4, 0, 1, vcc_lo
	v_cmp_gt_i32_e32 vcc_lo, v1, v3
	s_delay_alu instid0(VALU_DEP_4)
	v_add_co_ci_u32_e32 v2, vcc_lo, v0, v2, vcc_lo
	s_waitcnt lgkmcnt(6)
	v_cmp_gt_i32_e32 vcc_lo, v1, v6
	v_cndmask_b32_e64 v3, 0, 1, vcc_lo
	v_cmp_gt_i32_e32 vcc_lo, v1, v5
	v_add_co_ci_u32_e32 v2, vcc_lo, v2, v4, vcc_lo
	v_cmp_gt_i32_e32 vcc_lo, v1, v8
	v_cndmask_b32_e64 v4, 0, 1, vcc_lo
	v_cmp_gt_i32_e32 vcc_lo, v1, v7
	s_delay_alu instid0(VALU_DEP_4)
	v_add_co_ci_u32_e32 v2, vcc_lo, v2, v3, vcc_lo
	s_waitcnt lgkmcnt(5)
	v_cmp_gt_i32_e32 vcc_lo, v1, v10
	v_cndmask_b32_e64 v3, 0, 1, vcc_lo
	v_cmp_gt_i32_e32 vcc_lo, v1, v9
	v_add_co_ci_u32_e32 v2, vcc_lo, v2, v4, vcc_lo
	;; [unrolled: 10-line block ×7, first 2 shown]
	v_cmp_gt_i32_e32 vcc_lo, v1, v37
	v_cndmask_b32_e64 v4, 0, 1, vcc_lo
	v_cmp_gt_i32_e32 vcc_lo, v1, v36
	s_delay_alu instid0(VALU_DEP_4) | instskip(SKIP_2) | instid1(VALU_DEP_3)
	v_add_co_ci_u32_e32 v2, vcc_lo, v2, v3, vcc_lo
	v_cmp_gt_i32_e32 vcc_lo, v1, v38
	v_add_nc_u32_e32 v1, s26, v1
	v_add_co_ci_u32_e32 v6, vcc_lo, v2, v4, vcc_lo
	ds_load_2addr_b64 v[2:5], v25 offset1:1
	v_ashrrev_i32_e32 v7, 31, v6
	s_delay_alu instid0(VALU_DEP_1) | instskip(SKIP_1) | instid1(VALU_DEP_2)
	v_lshlrev_b64 v[8:9], 2, v[6:7]
	v_lshlrev_b64 v[6:7], 4, v[6:7]
	v_add_co_u32 v8, vcc_lo, s28, v8
	s_delay_alu instid0(VALU_DEP_3) | instskip(NEXT) | instid1(VALU_DEP_3)
	v_add_co_ci_u32_e32 v9, vcc_lo, s29, v9, vcc_lo
	v_add_co_u32 v6, vcc_lo, s30, v6
	s_delay_alu instid0(VALU_DEP_4)
	v_add_co_ci_u32_e32 v7, vcc_lo, s31, v7, vcc_lo
	global_store_b32 v[8:9], v1, off
	s_waitcnt lgkmcnt(0)
	global_store_b128 v[6:7], v[2:5], off
	s_branch .LBB68_65
.LBB68_68:
	s_nop 0
	s_sendmsg sendmsg(MSG_DEALLOC_VGPRS)
	s_endpgm
	.section	.rodata,"a",@progbits
	.p2align	6, 0x0
	.amdhsa_kernel _ZN9rocsparseL23csrgemm_fill_wf_per_rowILj256ELj16ELj32ELj137Eii21rocsparse_complex_numIdEEEvT4_S3_PKS3_S5_NS_24const_host_device_scalarIT5_EEPKT3_S5_PKS7_SB_S5_SD_S8_SB_S5_SD_SB_PS3_PS7_21rocsparse_index_base_SG_SG_SG_bbb
		.amdhsa_group_segment_fixed_size 14336
		.amdhsa_private_segment_fixed_size 0
		.amdhsa_kernarg_size 172
		.amdhsa_user_sgpr_count 15
		.amdhsa_user_sgpr_dispatch_ptr 1
		.amdhsa_user_sgpr_queue_ptr 0
		.amdhsa_user_sgpr_kernarg_segment_ptr 1
		.amdhsa_user_sgpr_dispatch_id 0
		.amdhsa_user_sgpr_private_segment_size 0
		.amdhsa_wavefront_size32 1
		.amdhsa_uses_dynamic_stack 0
		.amdhsa_enable_private_segment 0
		.amdhsa_system_sgpr_workgroup_id_x 1
		.amdhsa_system_sgpr_workgroup_id_y 0
		.amdhsa_system_sgpr_workgroup_id_z 0
		.amdhsa_system_sgpr_workgroup_info 0
		.amdhsa_system_vgpr_workitem_id 2
		.amdhsa_next_free_vgpr 39
		.amdhsa_next_free_sgpr 48
		.amdhsa_reserve_vcc 1
		.amdhsa_float_round_mode_32 0
		.amdhsa_float_round_mode_16_64 0
		.amdhsa_float_denorm_mode_32 3
		.amdhsa_float_denorm_mode_16_64 3
		.amdhsa_dx10_clamp 1
		.amdhsa_ieee_mode 1
		.amdhsa_fp16_overflow 0
		.amdhsa_workgroup_processor_mode 1
		.amdhsa_memory_ordered 1
		.amdhsa_forward_progress 0
		.amdhsa_shared_vgpr_count 0
		.amdhsa_exception_fp_ieee_invalid_op 0
		.amdhsa_exception_fp_denorm_src 0
		.amdhsa_exception_fp_ieee_div_zero 0
		.amdhsa_exception_fp_ieee_overflow 0
		.amdhsa_exception_fp_ieee_underflow 0
		.amdhsa_exception_fp_ieee_inexact 0
		.amdhsa_exception_int_div_zero 0
	.end_amdhsa_kernel
	.section	.text._ZN9rocsparseL23csrgemm_fill_wf_per_rowILj256ELj16ELj32ELj137Eii21rocsparse_complex_numIdEEEvT4_S3_PKS3_S5_NS_24const_host_device_scalarIT5_EEPKT3_S5_PKS7_SB_S5_SD_S8_SB_S5_SD_SB_PS3_PS7_21rocsparse_index_base_SG_SG_SG_bbb,"axG",@progbits,_ZN9rocsparseL23csrgemm_fill_wf_per_rowILj256ELj16ELj32ELj137Eii21rocsparse_complex_numIdEEEvT4_S3_PKS3_S5_NS_24const_host_device_scalarIT5_EEPKT3_S5_PKS7_SB_S5_SD_S8_SB_S5_SD_SB_PS3_PS7_21rocsparse_index_base_SG_SG_SG_bbb,comdat
.Lfunc_end68:
	.size	_ZN9rocsparseL23csrgemm_fill_wf_per_rowILj256ELj16ELj32ELj137Eii21rocsparse_complex_numIdEEEvT4_S3_PKS3_S5_NS_24const_host_device_scalarIT5_EEPKT3_S5_PKS7_SB_S5_SD_S8_SB_S5_SD_SB_PS3_PS7_21rocsparse_index_base_SG_SG_SG_bbb, .Lfunc_end68-_ZN9rocsparseL23csrgemm_fill_wf_per_rowILj256ELj16ELj32ELj137Eii21rocsparse_complex_numIdEEEvT4_S3_PKS3_S5_NS_24const_host_device_scalarIT5_EEPKT3_S5_PKS7_SB_S5_SD_S8_SB_S5_SD_SB_PS3_PS7_21rocsparse_index_base_SG_SG_SG_bbb
                                        ; -- End function
	.section	.AMDGPU.csdata,"",@progbits
; Kernel info:
; codeLenInByte = 3168
; NumSgprs: 50
; NumVgprs: 39
; ScratchSize: 0
; MemoryBound: 0
; FloatMode: 240
; IeeeMode: 1
; LDSByteSize: 14336 bytes/workgroup (compile time only)
; SGPRBlocks: 6
; VGPRBlocks: 4
; NumSGPRsForWavesPerEU: 50
; NumVGPRsForWavesPerEU: 39
; Occupancy: 16
; WaveLimiterHint : 1
; COMPUTE_PGM_RSRC2:SCRATCH_EN: 0
; COMPUTE_PGM_RSRC2:USER_SGPR: 15
; COMPUTE_PGM_RSRC2:TRAP_HANDLER: 0
; COMPUTE_PGM_RSRC2:TGID_X_EN: 1
; COMPUTE_PGM_RSRC2:TGID_Y_EN: 0
; COMPUTE_PGM_RSRC2:TGID_Z_EN: 0
; COMPUTE_PGM_RSRC2:TIDIG_COMP_CNT: 2
	.section	.text._ZN9rocsparseL26csrgemm_fill_block_per_rowILj128ELj16ELj256ELj137ELj32Eii21rocsparse_complex_numIdEEEvT5_PKS3_S5_NS_24const_host_device_scalarIT6_EEPKT4_S5_PKS7_SB_S5_SD_S8_SB_S5_SD_SB_PS3_PS7_21rocsparse_index_base_SG_SG_SG_bbb,"axG",@progbits,_ZN9rocsparseL26csrgemm_fill_block_per_rowILj128ELj16ELj256ELj137ELj32Eii21rocsparse_complex_numIdEEEvT5_PKS3_S5_NS_24const_host_device_scalarIT6_EEPKT4_S5_PKS7_SB_S5_SD_S8_SB_S5_SD_SB_PS3_PS7_21rocsparse_index_base_SG_SG_SG_bbb,comdat
	.globl	_ZN9rocsparseL26csrgemm_fill_block_per_rowILj128ELj16ELj256ELj137ELj32Eii21rocsparse_complex_numIdEEEvT5_PKS3_S5_NS_24const_host_device_scalarIT6_EEPKT4_S5_PKS7_SB_S5_SD_S8_SB_S5_SD_SB_PS3_PS7_21rocsparse_index_base_SG_SG_SG_bbb ; -- Begin function _ZN9rocsparseL26csrgemm_fill_block_per_rowILj128ELj16ELj256ELj137ELj32Eii21rocsparse_complex_numIdEEEvT5_PKS3_S5_NS_24const_host_device_scalarIT6_EEPKT4_S5_PKS7_SB_S5_SD_S8_SB_S5_SD_SB_PS3_PS7_21rocsparse_index_base_SG_SG_SG_bbb
	.p2align	8
	.type	_ZN9rocsparseL26csrgemm_fill_block_per_rowILj128ELj16ELj256ELj137ELj32Eii21rocsparse_complex_numIdEEEvT5_PKS3_S5_NS_24const_host_device_scalarIT6_EEPKT4_S5_PKS7_SB_S5_SD_S8_SB_S5_SD_SB_PS3_PS7_21rocsparse_index_base_SG_SG_SG_bbb,@function
_ZN9rocsparseL26csrgemm_fill_block_per_rowILj128ELj16ELj256ELj137ELj32Eii21rocsparse_complex_numIdEEEvT5_PKS3_S5_NS_24const_host_device_scalarIT6_EEPKT4_S5_PKS7_SB_S5_SD_S8_SB_S5_SD_SB_PS3_PS7_21rocsparse_index_base_SG_SG_SG_bbb: ; @_ZN9rocsparseL26csrgemm_fill_block_per_rowILj128ELj16ELj256ELj137ELj32Eii21rocsparse_complex_numIdEEEvT5_PKS3_S5_NS_24const_host_device_scalarIT6_EEPKT4_S5_PKS7_SB_S5_SD_S8_SB_S5_SD_SB_PS3_PS7_21rocsparse_index_base_SG_SG_SG_bbb
; %bb.0:
	s_clause 0x2
	s_load_b32 s12, s[0:1], 0xa8
	s_load_b128 s[8:11], s[0:1], 0x18
	s_load_b128 s[4:7], s[0:1], 0x58
	v_mov_b32_e32 v1, 0
	v_mov_b32_e32 v2, 0
	s_waitcnt lgkmcnt(0)
	s_bitcmp1_b32 s12, 0
	v_mov_b32_e32 v3, s8
	s_cselect_b32 s13, -1, 0
	s_bitcmp1_b32 s12, 16
	v_dual_mov_b32 v6, v2 :: v_dual_mov_b32 v5, v1
	s_cselect_b32 s2, -1, 0
	v_mov_b32_e32 v4, s9
	s_xor_b32 s3, s2, -1
	v_dual_mov_b32 v10, s5 :: v_dual_mov_b32 v9, s4
	v_cndmask_b32_e64 v7, 0, 1, s3
	s_bitcmp0_b32 s12, 0
	s_clause 0x1
	scratch_store_b64 off, v[3:4], off offset:16
	scratch_store_b64 off, v[9:10], off offset:24
	v_cmp_ne_u32_e32 vcc_lo, 1, v7
	v_dual_mov_b32 v8, v2 :: v_dual_mov_b32 v7, v1
	s_cbranch_scc1 .LBB69_3
; %bb.1:
	s_mov_b64 s[16:17], src_private_base
	s_and_b32 s14, s2, exec_lo
	s_cselect_b32 s14, s17, s9
	s_delay_alu instid0(SALU_CYCLE_1) | instskip(SKIP_2) | instid1(VALU_DEP_2)
	v_dual_mov_b32 v3, 16 :: v_dual_mov_b32 v4, s14
	v_dual_mov_b32 v7, s10 :: v_dual_mov_b32 v8, s11
	s_and_b32 vcc_lo, exec_lo, vcc_lo
	v_cndmask_b32_e64 v3, s8, v3, s2
	flat_load_b64 v[5:6], v[3:4]
	s_cbranch_vccnz .LBB69_3
; %bb.2:
	v_dual_mov_b32 v3, s8 :: v_dual_mov_b32 v4, s9
	flat_load_b64 v[7:8], v[3:4] offset:8
.LBB69_3:
	s_load_b128 s[24:27], s[0:1], 0x98
	s_bitcmp1_b32 s12, 8
	v_dual_mov_b32 v4, v2 :: v_dual_mov_b32 v3, v1
	s_cselect_b32 s33, -1, 0
	s_bfe_u32 s8, s12, 0x10008
	s_delay_alu instid0(SALU_CYCLE_1)
	s_cmp_eq_u32 s8, 0
	s_cbranch_scc1 .LBB69_6
; %bb.4:
	s_mov_b64 s[8:9], src_private_base
	s_and_b32 s8, s2, exec_lo
	s_cselect_b32 s8, s9, s5
	s_delay_alu instid0(SALU_CYCLE_1) | instskip(SKIP_1) | instid1(VALU_DEP_1)
	v_dual_mov_b32 v1, 24 :: v_dual_mov_b32 v2, s8
	s_and_not1_b32 vcc_lo, exec_lo, s3
	v_cndmask_b32_e64 v1, s4, v1, s2
	flat_load_b64 v[3:4], v[1:2]
	v_dual_mov_b32 v1, s6 :: v_dual_mov_b32 v2, s7
	s_cbranch_vccnz .LBB69_6
; %bb.5:
	v_dual_mov_b32 v1, s4 :: v_dual_mov_b32 v2, s5
	flat_load_b64 v[1:2], v[1:2] offset:8
.LBB69_6:
	s_clause 0x5
	s_load_b128 s[28:31], s[0:1], 0x88
	s_load_b256 s[4:11], s[0:1], 0x68
	s_load_b128 s[36:39], s[0:1], 0x48
	s_load_b256 s[16:23], s[0:1], 0x28
	s_load_b128 s[40:43], s[0:1], 0x8
	s_load_b32 s14, s[0:1], 0x0
	v_cmp_gt_u32_e64 s0, 0x100, v0
	v_lshlrev_b32_e32 v25, 4, v0
	v_or_b32_e32 v23, 0xffffff80, v0
	v_lshl_add_u32 v24, v0, 2, 0
	s_delay_alu instid0(VALU_DEP_4)
	s_and_saveexec_b32 s1, s0
	s_cbranch_execz .LBB69_9
; %bb.7:
	s_mov_b32 s2, 0
	v_add3_u32 v13, v25, 0, 0x400
	s_mov_b32 s3, s2
	s_mov_b32 s34, s2
	;; [unrolled: 1-line block ×3, first 2 shown]
	v_dual_mov_b32 v10, s3 :: v_dual_mov_b32 v11, s34
	v_or_b32_e32 v14, 0xffffff80, v0
	v_lshl_add_u32 v15, v0, 2, 0
	s_waitcnt lgkmcnt(0)
	v_dual_mov_b32 v16, s14 :: v_dual_mov_b32 v9, s2
	v_mov_b32_e32 v12, s35
.LBB69_8:                               ; =>This Inner Loop Header: Depth=1
	v_add_co_u32 v14, s3, 0x80, v14
	s_delay_alu instid0(VALU_DEP_1)
	s_xor_b32 s3, s3, -1
	ds_store_b32 v15, v16
	ds_store_2addr_b64 v13, v[9:10], v[11:12] offset1:1
	v_add_nc_u32_e32 v13, 0x800, v13
	v_add_nc_u32_e32 v15, 0x200, v15
	s_and_b32 s3, exec_lo, s3
	s_delay_alu instid0(SALU_CYCLE_1) | instskip(NEXT) | instid1(SALU_CYCLE_1)
	s_or_b32 s2, s3, s2
	s_and_not1_b32 exec_lo, exec_lo, s2
	s_cbranch_execnz .LBB69_8
.LBB69_9:
	s_or_b32 exec_lo, exec_lo, s1
	s_waitcnt vmcnt(0) lgkmcnt(0)
	s_waitcnt_vscnt null, 0x0
	s_barrier
	buffer_gl0_inv
	s_load_b32 s1, s[40:41], 0x0
	s_mov_b32 s3, 0
	s_waitcnt lgkmcnt(0)
	s_add_i32 s2, s1, s15
	s_delay_alu instid0(SALU_CYCLE_1) | instskip(NEXT) | instid1(SALU_CYCLE_1)
	s_lshl_b64 s[2:3], s[2:3], 2
	s_add_u32 s2, s42, s2
	s_addc_u32 s3, s43, s3
	s_and_b32 vcc_lo, exec_lo, s13
	s_load_b32 s12, s[2:3], 0x0
	s_cbranch_vccz .LBB69_37
; %bb.10:
	s_waitcnt lgkmcnt(0)
	s_ashr_i32 s13, s12, 31
	v_lshrrev_b32_e32 v9, 4, v0
	s_lshl_b64 s[2:3], s[12:13], 2
	s_delay_alu instid0(SALU_CYCLE_1) | instskip(SKIP_1) | instid1(VALU_DEP_1)
	s_add_u32 s2, s16, s2
	s_addc_u32 s3, s17, s3
	v_subrev_nc_u32_e32 v9, s24, v9
	s_load_b64 s[2:3], s[2:3], 0x0
	s_waitcnt lgkmcnt(0)
	s_delay_alu instid0(VALU_DEP_1) | instskip(SKIP_2) | instid1(VALU_DEP_1)
	v_add_nc_u32_e32 v9, s2, v9
	s_sub_i32 s1, s3, s24
	s_mov_b32 s2, exec_lo
	v_cmpx_gt_i32_e64 s1, v9
	s_cbranch_execz .LBB69_36
; %bb.11:
	v_and_b32_e32 v10, 15, v0
	s_mov_b32 s3, 0
	s_delay_alu instid0(VALU_DEP_1)
	v_subrev_nc_u32_e32 v26, s25, v10
	s_branch .LBB69_13
.LBB69_12:                              ;   in Loop: Header=BB69_13 Depth=1
	s_or_b32 exec_lo, exec_lo, s13
	v_add_nc_u32_e32 v9, 8, v9
	s_delay_alu instid0(VALU_DEP_1) | instskip(SKIP_1) | instid1(SALU_CYCLE_1)
	v_cmp_le_i32_e32 vcc_lo, s1, v9
	s_or_b32 s3, vcc_lo, s3
	s_and_not1_b32 exec_lo, exec_lo, s3
	s_cbranch_execz .LBB69_36
.LBB69_13:                              ; =>This Loop Header: Depth=1
                                        ;     Child Loop BB69_16 Depth 2
                                        ;       Child Loop BB69_18 Depth 3
                                        ;         Child Loop BB69_24 Depth 4
                                        ;         Child Loop BB69_26 Depth 4
	;; [unrolled: 1-line block ×4, first 2 shown]
	v_ashrrev_i32_e32 v10, 31, v9
	s_mov_b32 s13, exec_lo
	s_delay_alu instid0(VALU_DEP_1) | instskip(NEXT) | instid1(VALU_DEP_1)
	v_lshlrev_b64 v[11:12], 2, v[9:10]
	v_add_co_u32 v11, vcc_lo, s18, v11
	s_delay_alu instid0(VALU_DEP_2) | instskip(SKIP_3) | instid1(VALU_DEP_1)
	v_add_co_ci_u32_e32 v12, vcc_lo, s19, v12, vcc_lo
	global_load_b32 v11, v[11:12], off
	s_waitcnt vmcnt(0)
	v_subrev_nc_u32_e32 v11, s24, v11
	v_ashrrev_i32_e32 v12, 31, v11
	s_delay_alu instid0(VALU_DEP_1) | instskip(NEXT) | instid1(VALU_DEP_1)
	v_lshlrev_b64 v[11:12], 2, v[11:12]
	v_add_co_u32 v11, vcc_lo, s22, v11
	s_delay_alu instid0(VALU_DEP_2) | instskip(SKIP_4) | instid1(VALU_DEP_1)
	v_add_co_ci_u32_e32 v12, vcc_lo, s23, v12, vcc_lo
	global_load_b64 v[11:12], v[11:12], off
	s_waitcnt vmcnt(0)
	v_subrev_nc_u32_e32 v27, s25, v12
	v_add_nc_u32_e32 v11, v11, v26
	v_cmpx_lt_i32_e64 v11, v27
	s_cbranch_execz .LBB69_12
; %bb.14:                               ;   in Loop: Header=BB69_13 Depth=1
	v_lshlrev_b64 v[12:13], 4, v[9:10]
	s_mov_b32 s15, 0
	s_delay_alu instid0(VALU_DEP_1) | instskip(NEXT) | instid1(VALU_DEP_2)
	v_add_co_u32 v12, vcc_lo, s20, v12
	v_add_co_ci_u32_e32 v13, vcc_lo, s21, v13, vcc_lo
	global_load_b128 v[15:18], v[12:13], off
	s_waitcnt vmcnt(0)
	v_mul_f64 v[12:13], v[17:18], -v[7:8]
	v_mul_f64 v[17:18], v[5:6], v[17:18]
	s_delay_alu instid0(VALU_DEP_2) | instskip(NEXT) | instid1(VALU_DEP_2)
	v_fma_f64 v[13:14], v[5:6], v[15:16], v[12:13]
	v_fma_f64 v[15:16], v[7:8], v[15:16], v[17:18]
	s_branch .LBB69_16
.LBB69_15:                              ;   in Loop: Header=BB69_16 Depth=2
	s_or_b32 exec_lo, exec_lo, s16
	v_add_nc_u32_e32 v11, 16, v11
	s_delay_alu instid0(VALU_DEP_1) | instskip(SKIP_1) | instid1(SALU_CYCLE_1)
	v_cmp_ge_i32_e32 vcc_lo, v11, v27
	s_or_b32 s15, vcc_lo, s15
	s_and_not1_b32 exec_lo, exec_lo, s15
	s_cbranch_execz .LBB69_12
.LBB69_16:                              ;   Parent Loop BB69_13 Depth=1
                                        ; =>  This Loop Header: Depth=2
                                        ;       Child Loop BB69_18 Depth 3
                                        ;         Child Loop BB69_24 Depth 4
                                        ;         Child Loop BB69_26 Depth 4
	;; [unrolled: 1-line block ×4, first 2 shown]
	v_ashrrev_i32_e32 v12, 31, v11
	s_mov_b32 s16, 0
	s_delay_alu instid0(VALU_DEP_1) | instskip(NEXT) | instid1(VALU_DEP_1)
	v_lshlrev_b64 v[17:18], 4, v[11:12]
	v_add_co_u32 v17, vcc_lo, s38, v17
	s_delay_alu instid0(VALU_DEP_2) | instskip(SKIP_2) | instid1(VALU_DEP_1)
	v_add_co_ci_u32_e32 v18, vcc_lo, s39, v18, vcc_lo
	global_load_b128 v[19:22], v[17:18], off
	v_lshlrev_b64 v[17:18], 2, v[11:12]
	v_add_co_u32 v17, vcc_lo, s36, v17
	s_delay_alu instid0(VALU_DEP_2)
	v_add_co_ci_u32_e32 v18, vcc_lo, s37, v18, vcc_lo
	global_load_b32 v10, v[17:18], off
	s_waitcnt vmcnt(1)
	v_mul_f64 v[17:18], v[21:22], -v[15:16]
	v_mul_f64 v[21:22], v[13:14], v[21:22]
	s_waitcnt vmcnt(0)
	v_subrev_nc_u32_e32 v10, s25, v10
	s_delay_alu instid0(VALU_DEP_1) | instskip(NEXT) | instid1(VALU_DEP_1)
	v_mul_lo_u32 v12, 0x89, v10
	v_and_b32_e32 v12, 0xff, v12
	v_fma_f64 v[17:18], v[13:14], v[19:20], v[17:18]
	v_fma_f64 v[19:20], v[15:16], v[19:20], v[21:22]
	s_branch .LBB69_18
.LBB69_17:                              ;   in Loop: Header=BB69_18 Depth=3
	s_or_b32 exec_lo, exec_lo, s17
	s_xor_b32 s17, s34, -1
	s_delay_alu instid0(SALU_CYCLE_1) | instskip(NEXT) | instid1(SALU_CYCLE_1)
	s_and_b32 s17, exec_lo, s17
	s_or_b32 s16, s17, s16
	s_delay_alu instid0(SALU_CYCLE_1)
	s_and_not1_b32 exec_lo, exec_lo, s16
	s_cbranch_execz .LBB69_15
.LBB69_18:                              ;   Parent Loop BB69_13 Depth=1
                                        ;     Parent Loop BB69_16 Depth=2
                                        ; =>    This Loop Header: Depth=3
                                        ;         Child Loop BB69_24 Depth 4
                                        ;         Child Loop BB69_26 Depth 4
	;; [unrolled: 1-line block ×4, first 2 shown]
	s_delay_alu instid0(VALU_DEP_3)
	v_lshl_add_u32 v21, v12, 2, 0
	s_mov_b32 s17, exec_lo
                                        ; implicit-def: $sgpr34
	ds_load_b32 v22, v21
	s_waitcnt lgkmcnt(0)
	v_cmpx_ne_u32_e64 v22, v10
	s_xor_b32 s17, exec_lo, s17
	s_cbranch_execz .LBB69_30
; %bb.19:                               ;   in Loop: Header=BB69_18 Depth=3
	s_mov_b32 s35, exec_lo
                                        ; implicit-def: $sgpr34
	v_cmpx_ne_u32_e64 s14, v22
	s_xor_b32 s35, exec_lo, s35
; %bb.20:                               ;   in Loop: Header=BB69_18 Depth=3
	v_add_nc_u32_e32 v12, 1, v12
	s_mov_b32 s34, -1
                                        ; implicit-def: $vgpr21
	s_delay_alu instid0(VALU_DEP_1)
	v_and_b32_e32 v12, 0xff, v12
; %bb.21:                               ;   in Loop: Header=BB69_18 Depth=3
	s_and_not1_saveexec_b32 s35, s35
	s_cbranch_execz .LBB69_29
; %bb.22:                               ;   in Loop: Header=BB69_18 Depth=3
	v_mov_b32_e32 v22, s14
	s_mov_b32 s41, -1
	s_mov_b32 s40, exec_lo
	ds_cmpstore_rtn_b32 v22, v21, v10, v22
	s_waitcnt lgkmcnt(0)
	v_cmpx_eq_u32_e64 s14, v22
	s_cbranch_execz .LBB69_28
; %bb.23:                               ;   in Loop: Header=BB69_18 Depth=3
	v_mul_lo_u32 v22, v12, 12
	s_mov_b32 s41, 0
	s_delay_alu instid0(VALU_DEP_1)
	v_add_nc_u32_e32 v28, v21, v22
	ds_load_b64 v[21:22], v28 offset:1024
.LBB69_24:                              ;   Parent Loop BB69_13 Depth=1
                                        ;     Parent Loop BB69_16 Depth=2
                                        ;       Parent Loop BB69_18 Depth=3
                                        ; =>      This Inner Loop Header: Depth=4
	s_waitcnt lgkmcnt(0)
	v_add_f64 v[29:30], v[21:22], v[17:18]
	ds_cmpstore_rtn_b64 v[29:30], v28, v[29:30], v[21:22] offset:1024
	s_waitcnt lgkmcnt(0)
	v_cmp_eq_u64_e32 vcc_lo, v[29:30], v[21:22]
	v_dual_mov_b32 v21, v29 :: v_dual_mov_b32 v22, v30
	s_or_b32 s41, vcc_lo, s41
	s_delay_alu instid0(SALU_CYCLE_1)
	s_and_not1_b32 exec_lo, exec_lo, s41
	s_cbranch_execnz .LBB69_24
; %bb.25:                               ;   in Loop: Header=BB69_18 Depth=3
	s_or_b32 exec_lo, exec_lo, s41
	ds_load_b64 v[21:22], v28 offset:1032
	s_mov_b32 s41, 0
.LBB69_26:                              ;   Parent Loop BB69_13 Depth=1
                                        ;     Parent Loop BB69_16 Depth=2
                                        ;       Parent Loop BB69_18 Depth=3
                                        ; =>      This Inner Loop Header: Depth=4
	s_waitcnt lgkmcnt(0)
	v_add_f64 v[29:30], v[21:22], v[19:20]
	ds_cmpstore_rtn_b64 v[29:30], v28, v[29:30], v[21:22] offset:1032
	s_waitcnt lgkmcnt(0)
	v_cmp_eq_u64_e32 vcc_lo, v[29:30], v[21:22]
	v_dual_mov_b32 v21, v29 :: v_dual_mov_b32 v22, v30
	s_or_b32 s41, vcc_lo, s41
	s_delay_alu instid0(SALU_CYCLE_1)
	s_and_not1_b32 exec_lo, exec_lo, s41
	s_cbranch_execnz .LBB69_26
; %bb.27:                               ;   in Loop: Header=BB69_18 Depth=3
	s_or_b32 exec_lo, exec_lo, s41
	s_delay_alu instid0(SALU_CYCLE_1)
	s_xor_b32 s41, exec_lo, -1
.LBB69_28:                              ;   in Loop: Header=BB69_18 Depth=3
	s_or_b32 exec_lo, exec_lo, s40
	s_delay_alu instid0(SALU_CYCLE_1) | instskip(SKIP_1) | instid1(SALU_CYCLE_1)
	s_and_not1_b32 s34, s34, exec_lo
	s_and_b32 s40, s41, exec_lo
	s_or_b32 s34, s34, s40
.LBB69_29:                              ;   in Loop: Header=BB69_18 Depth=3
	s_or_b32 exec_lo, exec_lo, s35
	s_delay_alu instid0(SALU_CYCLE_1)
	s_and_b32 s34, s34, exec_lo
                                        ; implicit-def: $vgpr21
.LBB69_30:                              ;   in Loop: Header=BB69_18 Depth=3
	s_and_not1_saveexec_b32 s17, s17
	s_cbranch_execz .LBB69_17
; %bb.31:                               ;   in Loop: Header=BB69_18 Depth=3
	v_mul_lo_u32 v22, v12, 12
	s_mov_b32 s35, 0
	s_delay_alu instid0(VALU_DEP_1)
	v_add_nc_u32_e32 v28, v21, v22
	ds_load_b64 v[21:22], v28 offset:1024
.LBB69_32:                              ;   Parent Loop BB69_13 Depth=1
                                        ;     Parent Loop BB69_16 Depth=2
                                        ;       Parent Loop BB69_18 Depth=3
                                        ; =>      This Inner Loop Header: Depth=4
	s_waitcnt lgkmcnt(0)
	v_add_f64 v[29:30], v[21:22], v[17:18]
	ds_cmpstore_rtn_b64 v[29:30], v28, v[29:30], v[21:22] offset:1024
	s_waitcnt lgkmcnt(0)
	v_cmp_eq_u64_e32 vcc_lo, v[29:30], v[21:22]
	v_dual_mov_b32 v21, v29 :: v_dual_mov_b32 v22, v30
	s_or_b32 s35, vcc_lo, s35
	s_delay_alu instid0(SALU_CYCLE_1)
	s_and_not1_b32 exec_lo, exec_lo, s35
	s_cbranch_execnz .LBB69_32
; %bb.33:                               ;   in Loop: Header=BB69_18 Depth=3
	s_or_b32 exec_lo, exec_lo, s35
	ds_load_b64 v[21:22], v28 offset:1032
	s_mov_b32 s35, 0
.LBB69_34:                              ;   Parent Loop BB69_13 Depth=1
                                        ;     Parent Loop BB69_16 Depth=2
                                        ;       Parent Loop BB69_18 Depth=3
                                        ; =>      This Inner Loop Header: Depth=4
	s_waitcnt lgkmcnt(0)
	v_add_f64 v[29:30], v[21:22], v[19:20]
	ds_cmpstore_rtn_b64 v[29:30], v28, v[29:30], v[21:22] offset:1032
	s_waitcnt lgkmcnt(0)
	v_cmp_eq_u64_e32 vcc_lo, v[29:30], v[21:22]
	v_dual_mov_b32 v21, v29 :: v_dual_mov_b32 v22, v30
	s_or_b32 s35, vcc_lo, s35
	s_delay_alu instid0(SALU_CYCLE_1)
	s_and_not1_b32 exec_lo, exec_lo, s35
	s_cbranch_execnz .LBB69_34
; %bb.35:                               ;   in Loop: Header=BB69_18 Depth=3
	s_or_b32 exec_lo, exec_lo, s35
	s_delay_alu instid0(SALU_CYCLE_1)
	s_and_not1_b32 s34, s34, exec_lo
	s_branch .LBB69_17
.LBB69_36:
	s_or_b32 exec_lo, exec_lo, s2
.LBB69_37:
	s_delay_alu instid0(SALU_CYCLE_1)
	s_and_not1_b32 vcc_lo, exec_lo, s33
	s_cbranch_vccnz .LBB69_62
; %bb.38:
	s_waitcnt lgkmcnt(0)
	s_ashr_i32 s13, s12, 31
	v_subrev_nc_u32_e32 v5, s27, v0
	s_lshl_b64 s[2:3], s[12:13], 2
	s_delay_alu instid0(SALU_CYCLE_1)
	s_add_u32 s2, s4, s2
	s_addc_u32 s3, s5, s3
	s_load_b64 s[2:3], s[2:3], 0x0
	s_waitcnt lgkmcnt(0)
	v_add_nc_u32_e32 v5, s2, v5
	s_sub_i32 s1, s3, s27
	s_mov_b32 s2, exec_lo
	s_delay_alu instid0(VALU_DEP_1)
	v_cmpx_gt_i32_e64 s1, v5
	s_cbranch_execz .LBB69_61
; %bb.39:
	s_mov_b32 s3, 0
	s_branch .LBB69_41
.LBB69_40:                              ;   in Loop: Header=BB69_41 Depth=1
	s_or_b32 exec_lo, exec_lo, s4
	v_add_nc_u32_e32 v5, 0x80, v5
	s_delay_alu instid0(VALU_DEP_1) | instskip(SKIP_1) | instid1(SALU_CYCLE_1)
	v_cmp_le_i32_e32 vcc_lo, s1, v5
	s_or_b32 s3, vcc_lo, s3
	s_and_not1_b32 exec_lo, exec_lo, s3
	s_cbranch_execz .LBB69_61
.LBB69_41:                              ; =>This Loop Header: Depth=1
                                        ;     Child Loop BB69_43 Depth 2
                                        ;       Child Loop BB69_49 Depth 3
                                        ;       Child Loop BB69_51 Depth 3
	;; [unrolled: 1-line block ×4, first 2 shown]
	v_ashrrev_i32_e32 v6, 31, v5
	s_mov_b32 s4, 0
	s_delay_alu instid0(VALU_DEP_1) | instskip(NEXT) | instid1(VALU_DEP_1)
	v_lshlrev_b64 v[7:8], 4, v[5:6]
	v_add_co_u32 v7, vcc_lo, s8, v7
	s_delay_alu instid0(VALU_DEP_2) | instskip(SKIP_2) | instid1(VALU_DEP_1)
	v_add_co_ci_u32_e32 v8, vcc_lo, s9, v8, vcc_lo
	global_load_b128 v[8:11], v[7:8], off
	v_lshlrev_b64 v[6:7], 2, v[5:6]
	v_add_co_u32 v6, vcc_lo, s6, v6
	s_delay_alu instid0(VALU_DEP_2)
	v_add_co_ci_u32_e32 v7, vcc_lo, s7, v7, vcc_lo
	global_load_b32 v12, v[6:7], off
	s_waitcnt vmcnt(1)
	v_mul_f64 v[6:7], v[10:11], -v[1:2]
	v_mul_f64 v[10:11], v[3:4], v[10:11]
	s_waitcnt vmcnt(0)
	v_subrev_nc_u32_e32 v12, s27, v12
	s_delay_alu instid0(VALU_DEP_3) | instskip(NEXT) | instid1(VALU_DEP_3)
	v_fma_f64 v[6:7], v[3:4], v[8:9], v[6:7]
	v_fma_f64 v[8:9], v[1:2], v[8:9], v[10:11]
	s_delay_alu instid0(VALU_DEP_3) | instskip(NEXT) | instid1(VALU_DEP_1)
	v_mul_lo_u32 v10, 0x89, v12
	v_and_b32_e32 v13, 0xff, v10
	s_branch .LBB69_43
.LBB69_42:                              ;   in Loop: Header=BB69_43 Depth=2
	s_or_b32 exec_lo, exec_lo, s5
	s_xor_b32 s5, s13, -1
	s_delay_alu instid0(SALU_CYCLE_1) | instskip(NEXT) | instid1(SALU_CYCLE_1)
	s_and_b32 s5, exec_lo, s5
	s_or_b32 s4, s5, s4
	s_delay_alu instid0(SALU_CYCLE_1)
	s_and_not1_b32 exec_lo, exec_lo, s4
	s_cbranch_execz .LBB69_40
.LBB69_43:                              ;   Parent Loop BB69_41 Depth=1
                                        ; =>  This Loop Header: Depth=2
                                        ;       Child Loop BB69_49 Depth 3
                                        ;       Child Loop BB69_51 Depth 3
                                        ;       Child Loop BB69_57 Depth 3
                                        ;       Child Loop BB69_59 Depth 3
	s_delay_alu instid0(VALU_DEP_1)
	v_lshl_add_u32 v10, v13, 2, 0
	s_mov_b32 s5, exec_lo
                                        ; implicit-def: $sgpr13
	ds_load_b32 v11, v10
	s_waitcnt lgkmcnt(0)
	v_cmpx_ne_u32_e64 v11, v12
	s_xor_b32 s5, exec_lo, s5
	s_cbranch_execz .LBB69_55
; %bb.44:                               ;   in Loop: Header=BB69_43 Depth=2
	s_mov_b32 s15, exec_lo
                                        ; implicit-def: $sgpr13
	v_cmpx_ne_u32_e64 s14, v11
	s_xor_b32 s15, exec_lo, s15
; %bb.45:                               ;   in Loop: Header=BB69_43 Depth=2
	v_add_nc_u32_e32 v10, 1, v13
	s_mov_b32 s13, -1
	s_delay_alu instid0(VALU_DEP_1)
	v_and_b32_e32 v13, 0xff, v10
                                        ; implicit-def: $vgpr10
; %bb.46:                               ;   in Loop: Header=BB69_43 Depth=2
	s_and_not1_saveexec_b32 s15, s15
	s_cbranch_execz .LBB69_54
; %bb.47:                               ;   in Loop: Header=BB69_43 Depth=2
	v_mov_b32_e32 v11, s14
	s_mov_b32 s17, -1
	s_mov_b32 s16, exec_lo
	ds_cmpstore_rtn_b32 v11, v10, v12, v11
	s_waitcnt lgkmcnt(0)
	v_cmpx_eq_u32_e64 s14, v11
	s_cbranch_execz .LBB69_53
; %bb.48:                               ;   in Loop: Header=BB69_43 Depth=2
	v_mul_lo_u32 v11, v13, 12
	s_mov_b32 s17, 0
	s_delay_alu instid0(VALU_DEP_1)
	v_add_nc_u32_e32 v14, v10, v11
	ds_load_b64 v[10:11], v14 offset:1024
.LBB69_49:                              ;   Parent Loop BB69_41 Depth=1
                                        ;     Parent Loop BB69_43 Depth=2
                                        ; =>    This Inner Loop Header: Depth=3
	s_waitcnt lgkmcnt(0)
	v_add_f64 v[15:16], v[10:11], v[6:7]
	ds_cmpstore_rtn_b64 v[15:16], v14, v[15:16], v[10:11] offset:1024
	s_waitcnt lgkmcnt(0)
	v_cmp_eq_u64_e32 vcc_lo, v[15:16], v[10:11]
	v_dual_mov_b32 v10, v15 :: v_dual_mov_b32 v11, v16
	s_or_b32 s17, vcc_lo, s17
	s_delay_alu instid0(SALU_CYCLE_1)
	s_and_not1_b32 exec_lo, exec_lo, s17
	s_cbranch_execnz .LBB69_49
; %bb.50:                               ;   in Loop: Header=BB69_43 Depth=2
	s_or_b32 exec_lo, exec_lo, s17
	ds_load_b64 v[10:11], v14 offset:1032
	s_mov_b32 s17, 0
.LBB69_51:                              ;   Parent Loop BB69_41 Depth=1
                                        ;     Parent Loop BB69_43 Depth=2
                                        ; =>    This Inner Loop Header: Depth=3
	s_waitcnt lgkmcnt(0)
	v_add_f64 v[15:16], v[10:11], v[8:9]
	ds_cmpstore_rtn_b64 v[15:16], v14, v[15:16], v[10:11] offset:1032
	s_waitcnt lgkmcnt(0)
	v_cmp_eq_u64_e32 vcc_lo, v[15:16], v[10:11]
	v_dual_mov_b32 v10, v15 :: v_dual_mov_b32 v11, v16
	s_or_b32 s17, vcc_lo, s17
	s_delay_alu instid0(SALU_CYCLE_1)
	s_and_not1_b32 exec_lo, exec_lo, s17
	s_cbranch_execnz .LBB69_51
; %bb.52:                               ;   in Loop: Header=BB69_43 Depth=2
	s_or_b32 exec_lo, exec_lo, s17
	s_delay_alu instid0(SALU_CYCLE_1)
	s_xor_b32 s17, exec_lo, -1
.LBB69_53:                              ;   in Loop: Header=BB69_43 Depth=2
	s_or_b32 exec_lo, exec_lo, s16
	s_delay_alu instid0(SALU_CYCLE_1) | instskip(SKIP_1) | instid1(SALU_CYCLE_1)
	s_and_not1_b32 s13, s13, exec_lo
	s_and_b32 s16, s17, exec_lo
	s_or_b32 s13, s13, s16
.LBB69_54:                              ;   in Loop: Header=BB69_43 Depth=2
	s_or_b32 exec_lo, exec_lo, s15
	s_delay_alu instid0(SALU_CYCLE_1)
	s_and_b32 s13, s13, exec_lo
                                        ; implicit-def: $vgpr10
.LBB69_55:                              ;   in Loop: Header=BB69_43 Depth=2
	s_and_not1_saveexec_b32 s5, s5
	s_cbranch_execz .LBB69_42
; %bb.56:                               ;   in Loop: Header=BB69_43 Depth=2
	v_mul_lo_u32 v11, v13, 12
	s_mov_b32 s15, 0
	s_delay_alu instid0(VALU_DEP_1)
	v_add_nc_u32_e32 v14, v10, v11
	ds_load_b64 v[10:11], v14 offset:1024
.LBB69_57:                              ;   Parent Loop BB69_41 Depth=1
                                        ;     Parent Loop BB69_43 Depth=2
                                        ; =>    This Inner Loop Header: Depth=3
	s_waitcnt lgkmcnt(0)
	v_add_f64 v[15:16], v[10:11], v[6:7]
	ds_cmpstore_rtn_b64 v[15:16], v14, v[15:16], v[10:11] offset:1024
	s_waitcnt lgkmcnt(0)
	v_cmp_eq_u64_e32 vcc_lo, v[15:16], v[10:11]
	v_dual_mov_b32 v10, v15 :: v_dual_mov_b32 v11, v16
	s_or_b32 s15, vcc_lo, s15
	s_delay_alu instid0(SALU_CYCLE_1)
	s_and_not1_b32 exec_lo, exec_lo, s15
	s_cbranch_execnz .LBB69_57
; %bb.58:                               ;   in Loop: Header=BB69_43 Depth=2
	s_or_b32 exec_lo, exec_lo, s15
	ds_load_b64 v[10:11], v14 offset:1032
	s_mov_b32 s15, 0
.LBB69_59:                              ;   Parent Loop BB69_41 Depth=1
                                        ;     Parent Loop BB69_43 Depth=2
                                        ; =>    This Inner Loop Header: Depth=3
	s_waitcnt lgkmcnt(0)
	v_add_f64 v[15:16], v[10:11], v[8:9]
	ds_cmpstore_rtn_b64 v[15:16], v14, v[15:16], v[10:11] offset:1032
	s_waitcnt lgkmcnt(0)
	v_cmp_eq_u64_e32 vcc_lo, v[15:16], v[10:11]
	v_dual_mov_b32 v10, v15 :: v_dual_mov_b32 v11, v16
	s_or_b32 s15, vcc_lo, s15
	s_delay_alu instid0(SALU_CYCLE_1)
	s_and_not1_b32 exec_lo, exec_lo, s15
	s_cbranch_execnz .LBB69_59
; %bb.60:                               ;   in Loop: Header=BB69_43 Depth=2
	s_or_b32 exec_lo, exec_lo, s15
	s_delay_alu instid0(SALU_CYCLE_1)
	s_and_not1_b32 s13, s13, exec_lo
	s_branch .LBB69_42
.LBB69_61:
	s_or_b32 exec_lo, exec_lo, s2
.LBB69_62:
	s_waitcnt lgkmcnt(0)
	s_barrier
	buffer_gl0_inv
	s_and_saveexec_b32 s4, s0
	s_cbranch_execz .LBB69_75
; %bb.63:
	v_mbcnt_lo_u32_b32 v1, -1, 0
	v_lshrrev_b32_e32 v2, 3, v0
	v_cmp_eq_u32_e32 vcc_lo, 0x7f, v0
	v_cmp_lt_u32_e64 s0, 31, v0
	v_cmp_lt_u32_e64 s1, 63, v0
	v_xor_b32_e32 v1, 63, v1
	v_dual_mov_b32 v5, 0 :: v_dual_and_b32 v4, 12, v2
	v_cmp_lt_u32_e64 s2, 0x5f, v0
	v_add3_u32 v3, v25, 0, 0x400
	s_delay_alu instid0(VALU_DEP_4) | instskip(NEXT) | instid1(VALU_DEP_4)
	v_lshrrev_b64 v[1:2], v1, -1
	v_add_nc_u32_e32 v2, 0, v4
	v_mov_b32_e32 v4, 0
	s_mov_b32 s5, 0
	s_branch .LBB69_65
.LBB69_64:                              ;   in Loop: Header=BB69_65 Depth=1
	s_or_b32 exec_lo, exec_lo, s3
	s_waitcnt lgkmcnt(0)
	s_barrier
	buffer_gl0_inv
	ds_load_b32 v6, v4 offset:5132
	v_add_co_u32 v23, s3, 0x80, v23
	s_delay_alu instid0(VALU_DEP_1) | instskip(SKIP_3) | instid1(SALU_CYCLE_1)
	s_xor_b32 s3, s3, -1
	v_add_nc_u32_e32 v3, 0x800, v3
	v_add_nc_u32_e32 v24, 0x200, v24
	s_and_b32 s3, exec_lo, s3
	s_or_b32 s5, s3, s5
	s_waitcnt lgkmcnt(0)
	v_add_nc_u32_e32 v5, v6, v5
	s_and_not1_b32 exec_lo, exec_lo, s5
	s_cbranch_execz .LBB69_75
.LBB69_65:                              ; =>This Inner Loop Header: Depth=1
	ds_load_b32 v6, v24
	ds_load_2addr_b64 v[7:10], v3 offset1:1
	s_waitcnt lgkmcnt(1)
	v_cmp_gt_i32_e64 s3, s14, v6
	s_waitcnt lgkmcnt(0)
	scratch_store_b128 off, v[7:10], off
	s_waitcnt_vscnt null, 0x0
	s_barrier
	buffer_gl0_inv
	s_bcnt1_i32_b32 s6, s3
	s_delay_alu instid0(SALU_CYCLE_1) | instskip(NEXT) | instid1(VALU_DEP_1)
	v_dual_mov_b32 v8, s6 :: v_dual_and_b32 v7, s3, v1
	v_bcnt_u32_b32 v7, v7, 0
	ds_store_b32 v2, v8 offset:5120
	s_waitcnt lgkmcnt(0)
	s_barrier
	buffer_gl0_inv
	s_and_saveexec_b32 s6, s0
	s_cbranch_execnz .LBB69_70
; %bb.66:                               ;   in Loop: Header=BB69_65 Depth=1
	s_or_b32 exec_lo, exec_lo, s6
	s_and_saveexec_b32 s6, s1
	s_cbranch_execnz .LBB69_71
.LBB69_67:                              ;   in Loop: Header=BB69_65 Depth=1
	s_or_b32 exec_lo, exec_lo, s6
	s_and_saveexec_b32 s6, s2
	s_cbranch_execnz .LBB69_72
.LBB69_68:                              ;   in Loop: Header=BB69_65 Depth=1
	s_or_b32 exec_lo, exec_lo, s6
	s_and_saveexec_b32 s6, s3
	s_cbranch_execnz .LBB69_73
.LBB69_69:                              ;   in Loop: Header=BB69_65 Depth=1
	s_or_b32 exec_lo, exec_lo, s6
	s_and_saveexec_b32 s3, vcc_lo
	s_cbranch_execz .LBB69_64
	s_branch .LBB69_74
.LBB69_70:                              ;   in Loop: Header=BB69_65 Depth=1
	ds_load_b32 v8, v4 offset:5120
	s_waitcnt lgkmcnt(0)
	v_add_nc_u32_e32 v7, v8, v7
	s_or_b32 exec_lo, exec_lo, s6
	s_and_saveexec_b32 s6, s1
	s_cbranch_execz .LBB69_67
.LBB69_71:                              ;   in Loop: Header=BB69_65 Depth=1
	ds_load_b32 v8, v4 offset:5124
	s_waitcnt lgkmcnt(0)
	v_add_nc_u32_e32 v7, v8, v7
	s_or_b32 exec_lo, exec_lo, s6
	s_and_saveexec_b32 s6, s2
	s_cbranch_execz .LBB69_68
.LBB69_72:                              ;   in Loop: Header=BB69_65 Depth=1
	ds_load_b32 v8, v4 offset:5128
	s_waitcnt lgkmcnt(0)
	v_add_nc_u32_e32 v7, v8, v7
	s_or_b32 exec_lo, exec_lo, s6
	s_and_saveexec_b32 s6, s3
	s_cbranch_execz .LBB69_69
.LBB69_73:                              ;   in Loop: Header=BB69_65 Depth=1
	scratch_load_b128 v[8:11], off, off
	v_add3_u32 v12, v5, -1, v7
	s_delay_alu instid0(VALU_DEP_1)
	v_lshl_add_u32 v13, v12, 2, 0
	v_lshl_add_u32 v12, v12, 4, 0
	ds_store_b32 v13, v6
	s_waitcnt vmcnt(0)
	ds_store_2addr_b64 v12, v[8:9], v[10:11] offset0:128 offset1:129
	s_or_b32 exec_lo, exec_lo, s6
	s_and_saveexec_b32 s3, vcc_lo
	s_cbranch_execz .LBB69_64
.LBB69_74:                              ;   in Loop: Header=BB69_65 Depth=1
	ds_store_b32 v4, v7 offset:5132
	s_branch .LBB69_64
.LBB69_75:
	s_or_b32 exec_lo, exec_lo, s4
	s_ashr_i32 s13, s12, 31
	s_mov_b32 s3, exec_lo
	s_lshl_b64 s[0:1], s[12:13], 2
	s_delay_alu instid0(SALU_CYCLE_1) | instskip(SKIP_4) | instid1(SALU_CYCLE_1)
	s_add_u32 s0, s10, s0
	s_addc_u32 s1, s11, s1
	s_load_b64 s[0:1], s[0:1], 0x0
	s_waitcnt lgkmcnt(0)
	s_sub_i32 s2, s1, s0
	v_cmpx_gt_i32_e64 s2, v0
	s_cbranch_execz .LBB69_85
; %bb.76:
	s_sub_i32 s3, s0, s26
	s_sub_i32 s0, s0, s1
	s_and_b32 s1, s2, 7
	s_cmp_lt_u32 s0, -7
	s_mov_b32 s7, 0
	s_cselect_b32 s4, -1, 0
	s_and_b32 s5, s2, -8
	s_cmp_lg_u32 s1, 0
	s_cselect_b32 s6, -1, 0
	s_branch .LBB69_78
.LBB69_77:                              ;   in Loop: Header=BB69_78 Depth=1
	s_delay_alu instid0(VALU_DEP_1) | instskip(SKIP_4) | instid1(VALU_DEP_3)
	v_mad_u64_u32 v[5:6], null, v0, 12, v[1:2]
	v_ashrrev_i32_e32 v3, 31, v2
	v_add_nc_u32_e32 v0, 0x80, v0
	s_waitcnt lgkmcnt(0)
	v_add_nc_u32_e32 v11, s26, v4
	v_lshlrev_b64 v[9:10], 2, v[2:3]
	ds_load_2addr_b64 v[5:8], v5 offset0:128 offset1:129
	v_lshlrev_b64 v[1:2], 4, v[2:3]
	v_add_co_u32 v3, vcc_lo, s28, v9
	v_add_co_ci_u32_e32 v4, vcc_lo, s29, v10, vcc_lo
	v_cmp_le_i32_e32 vcc_lo, s2, v0
	s_delay_alu instid0(VALU_DEP_4) | instskip(NEXT) | instid1(VALU_DEP_1)
	v_add_co_u32 v1, s0, s30, v1
	v_add_co_ci_u32_e64 v2, s0, s31, v2, s0
	s_or_b32 s7, vcc_lo, s7
	global_store_b32 v[3:4], v11, off
	s_waitcnt lgkmcnt(0)
	global_store_b128 v[1:2], v[5:8], off
	s_and_not1_b32 exec_lo, exec_lo, s7
	s_cbranch_execz .LBB69_85
.LBB69_78:                              ; =>This Loop Header: Depth=1
                                        ;     Child Loop BB69_80 Depth 2
                                        ;     Child Loop BB69_84 Depth 2
	v_lshl_add_u32 v1, v0, 2, 0
	v_mov_b32_e32 v2, s3
	s_and_not1_b32 vcc_lo, exec_lo, s4
	s_mov_b32 s0, 0
	ds_load_b32 v4, v1
	s_cbranch_vccnz .LBB69_82
; %bb.79:                               ;   in Loop: Header=BB69_78 Depth=1
	v_mov_b32_e32 v2, s3
	s_mov_b32 s8, 0
	s_set_inst_prefetch_distance 0x1
	.p2align	6
.LBB69_80:                              ;   Parent Loop BB69_78 Depth=1
                                        ; =>  This Inner Loop Header: Depth=2
	v_mov_b32_e32 v3, s8
	s_add_i32 s0, s0, 8
	s_add_i32 s8, s8, 32
	s_cmp_eq_u32 s5, s0
	ds_load_2addr_b32 v[5:6], v3 offset1:1
	ds_load_2addr_b32 v[7:8], v3 offset0:2 offset1:3
	ds_load_2addr_b32 v[9:10], v3 offset0:4 offset1:5
	;; [unrolled: 1-line block ×3, first 2 shown]
	s_waitcnt lgkmcnt(3)
	v_cmp_gt_i32_e32 vcc_lo, v4, v5
	v_cndmask_b32_e64 v3, 0, 1, vcc_lo
	s_waitcnt lgkmcnt(2)
	v_cmp_gt_i32_e32 vcc_lo, v4, v7
	v_cndmask_b32_e64 v5, 0, 1, vcc_lo
	v_cmp_gt_i32_e32 vcc_lo, v4, v6
	v_add_co_ci_u32_e32 v2, vcc_lo, v2, v3, vcc_lo
	s_waitcnt lgkmcnt(1)
	v_cmp_gt_i32_e32 vcc_lo, v4, v9
	v_cndmask_b32_e64 v3, 0, 1, vcc_lo
	v_cmp_gt_i32_e32 vcc_lo, v4, v8
	v_add_co_ci_u32_e32 v2, vcc_lo, v2, v5, vcc_lo
	;; [unrolled: 5-line block ×3, first 2 shown]
	v_cmp_gt_i32_e32 vcc_lo, v4, v12
	s_delay_alu instid0(VALU_DEP_2)
	v_add_co_ci_u32_e32 v2, vcc_lo, v2, v5, vcc_lo
	s_cbranch_scc0 .LBB69_80
; %bb.81:                               ;   in Loop: Header=BB69_78 Depth=1
	s_set_inst_prefetch_distance 0x2
	s_mov_b32 s0, s5
.LBB69_82:                              ;   in Loop: Header=BB69_78 Depth=1
	s_and_not1_b32 vcc_lo, exec_lo, s6
	s_cbranch_vccnz .LBB69_77
; %bb.83:                               ;   in Loop: Header=BB69_78 Depth=1
	s_lshl_b32 s0, s0, 2
	s_mov_b32 s8, s1
	s_add_i32 s0, s0, 0
.LBB69_84:                              ;   Parent Loop BB69_78 Depth=1
                                        ; =>  This Inner Loop Header: Depth=2
	s_delay_alu instid0(SALU_CYCLE_1)
	v_mov_b32_e32 v3, s0
	s_add_i32 s8, s8, -1
	s_add_i32 s0, s0, 4
	s_cmp_lg_u32 s8, 0
	ds_load_b32 v3, v3
	s_waitcnt lgkmcnt(0)
	v_cmp_gt_i32_e32 vcc_lo, v4, v3
	v_add_co_ci_u32_e32 v2, vcc_lo, 0, v2, vcc_lo
	s_cbranch_scc1 .LBB69_84
	s_branch .LBB69_77
.LBB69_85:
	s_nop 0
	s_sendmsg sendmsg(MSG_DEALLOC_VGPRS)
	s_endpgm
	.section	.rodata,"a",@progbits
	.p2align	6, 0x0
	.amdhsa_kernel _ZN9rocsparseL26csrgemm_fill_block_per_rowILj128ELj16ELj256ELj137ELj32Eii21rocsparse_complex_numIdEEEvT5_PKS3_S5_NS_24const_host_device_scalarIT6_EEPKT4_S5_PKS7_SB_S5_SD_S8_SB_S5_SD_SB_PS3_PS7_21rocsparse_index_base_SG_SG_SG_bbb
		.amdhsa_group_segment_fixed_size 0
		.amdhsa_private_segment_fixed_size 40
		.amdhsa_kernarg_size 172
		.amdhsa_user_sgpr_count 15
		.amdhsa_user_sgpr_dispatch_ptr 0
		.amdhsa_user_sgpr_queue_ptr 0
		.amdhsa_user_sgpr_kernarg_segment_ptr 1
		.amdhsa_user_sgpr_dispatch_id 0
		.amdhsa_user_sgpr_private_segment_size 0
		.amdhsa_wavefront_size32 1
		.amdhsa_uses_dynamic_stack 0
		.amdhsa_enable_private_segment 1
		.amdhsa_system_sgpr_workgroup_id_x 1
		.amdhsa_system_sgpr_workgroup_id_y 0
		.amdhsa_system_sgpr_workgroup_id_z 0
		.amdhsa_system_sgpr_workgroup_info 0
		.amdhsa_system_vgpr_workitem_id 0
		.amdhsa_next_free_vgpr 31
		.amdhsa_next_free_sgpr 44
		.amdhsa_reserve_vcc 1
		.amdhsa_float_round_mode_32 0
		.amdhsa_float_round_mode_16_64 0
		.amdhsa_float_denorm_mode_32 3
		.amdhsa_float_denorm_mode_16_64 3
		.amdhsa_dx10_clamp 1
		.amdhsa_ieee_mode 1
		.amdhsa_fp16_overflow 0
		.amdhsa_workgroup_processor_mode 1
		.amdhsa_memory_ordered 1
		.amdhsa_forward_progress 0
		.amdhsa_shared_vgpr_count 0
		.amdhsa_exception_fp_ieee_invalid_op 0
		.amdhsa_exception_fp_denorm_src 0
		.amdhsa_exception_fp_ieee_div_zero 0
		.amdhsa_exception_fp_ieee_overflow 0
		.amdhsa_exception_fp_ieee_underflow 0
		.amdhsa_exception_fp_ieee_inexact 0
		.amdhsa_exception_int_div_zero 0
	.end_amdhsa_kernel
	.section	.text._ZN9rocsparseL26csrgemm_fill_block_per_rowILj128ELj16ELj256ELj137ELj32Eii21rocsparse_complex_numIdEEEvT5_PKS3_S5_NS_24const_host_device_scalarIT6_EEPKT4_S5_PKS7_SB_S5_SD_S8_SB_S5_SD_SB_PS3_PS7_21rocsparse_index_base_SG_SG_SG_bbb,"axG",@progbits,_ZN9rocsparseL26csrgemm_fill_block_per_rowILj128ELj16ELj256ELj137ELj32Eii21rocsparse_complex_numIdEEEvT5_PKS3_S5_NS_24const_host_device_scalarIT6_EEPKT4_S5_PKS7_SB_S5_SD_S8_SB_S5_SD_SB_PS3_PS7_21rocsparse_index_base_SG_SG_SG_bbb,comdat
.Lfunc_end69:
	.size	_ZN9rocsparseL26csrgemm_fill_block_per_rowILj128ELj16ELj256ELj137ELj32Eii21rocsparse_complex_numIdEEEvT5_PKS3_S5_NS_24const_host_device_scalarIT6_EEPKT4_S5_PKS7_SB_S5_SD_S8_SB_S5_SD_SB_PS3_PS7_21rocsparse_index_base_SG_SG_SG_bbb, .Lfunc_end69-_ZN9rocsparseL26csrgemm_fill_block_per_rowILj128ELj16ELj256ELj137ELj32Eii21rocsparse_complex_numIdEEEvT5_PKS3_S5_NS_24const_host_device_scalarIT6_EEPKT4_S5_PKS7_SB_S5_SD_S8_SB_S5_SD_SB_PS3_PS7_21rocsparse_index_base_SG_SG_SG_bbb
                                        ; -- End function
	.section	.AMDGPU.csdata,"",@progbits
; Kernel info:
; codeLenInByte = 3488
; NumSgprs: 46
; NumVgprs: 31
; ScratchSize: 40
; MemoryBound: 0
; FloatMode: 240
; IeeeMode: 1
; LDSByteSize: 0 bytes/workgroup (compile time only)
; SGPRBlocks: 5
; VGPRBlocks: 3
; NumSGPRsForWavesPerEU: 46
; NumVGPRsForWavesPerEU: 31
; Occupancy: 16
; WaveLimiterHint : 1
; COMPUTE_PGM_RSRC2:SCRATCH_EN: 1
; COMPUTE_PGM_RSRC2:USER_SGPR: 15
; COMPUTE_PGM_RSRC2:TRAP_HANDLER: 0
; COMPUTE_PGM_RSRC2:TGID_X_EN: 1
; COMPUTE_PGM_RSRC2:TGID_Y_EN: 0
; COMPUTE_PGM_RSRC2:TGID_Z_EN: 0
; COMPUTE_PGM_RSRC2:TIDIG_COMP_CNT: 0
	.section	.text._ZN9rocsparseL26csrgemm_fill_block_per_rowILj128ELj16ELj256ELj137ELj64Eii21rocsparse_complex_numIdEEEvT5_PKS3_S5_NS_24const_host_device_scalarIT6_EEPKT4_S5_PKS7_SB_S5_SD_S8_SB_S5_SD_SB_PS3_PS7_21rocsparse_index_base_SG_SG_SG_bbb,"axG",@progbits,_ZN9rocsparseL26csrgemm_fill_block_per_rowILj128ELj16ELj256ELj137ELj64Eii21rocsparse_complex_numIdEEEvT5_PKS3_S5_NS_24const_host_device_scalarIT6_EEPKT4_S5_PKS7_SB_S5_SD_S8_SB_S5_SD_SB_PS3_PS7_21rocsparse_index_base_SG_SG_SG_bbb,comdat
	.globl	_ZN9rocsparseL26csrgemm_fill_block_per_rowILj128ELj16ELj256ELj137ELj64Eii21rocsparse_complex_numIdEEEvT5_PKS3_S5_NS_24const_host_device_scalarIT6_EEPKT4_S5_PKS7_SB_S5_SD_S8_SB_S5_SD_SB_PS3_PS7_21rocsparse_index_base_SG_SG_SG_bbb ; -- Begin function _ZN9rocsparseL26csrgemm_fill_block_per_rowILj128ELj16ELj256ELj137ELj64Eii21rocsparse_complex_numIdEEEvT5_PKS3_S5_NS_24const_host_device_scalarIT6_EEPKT4_S5_PKS7_SB_S5_SD_S8_SB_S5_SD_SB_PS3_PS7_21rocsparse_index_base_SG_SG_SG_bbb
	.p2align	8
	.type	_ZN9rocsparseL26csrgemm_fill_block_per_rowILj128ELj16ELj256ELj137ELj64Eii21rocsparse_complex_numIdEEEvT5_PKS3_S5_NS_24const_host_device_scalarIT6_EEPKT4_S5_PKS7_SB_S5_SD_S8_SB_S5_SD_SB_PS3_PS7_21rocsparse_index_base_SG_SG_SG_bbb,@function
_ZN9rocsparseL26csrgemm_fill_block_per_rowILj128ELj16ELj256ELj137ELj64Eii21rocsparse_complex_numIdEEEvT5_PKS3_S5_NS_24const_host_device_scalarIT6_EEPKT4_S5_PKS7_SB_S5_SD_S8_SB_S5_SD_SB_PS3_PS7_21rocsparse_index_base_SG_SG_SG_bbb: ; @_ZN9rocsparseL26csrgemm_fill_block_per_rowILj128ELj16ELj256ELj137ELj64Eii21rocsparse_complex_numIdEEEvT5_PKS3_S5_NS_24const_host_device_scalarIT6_EEPKT4_S5_PKS7_SB_S5_SD_S8_SB_S5_SD_SB_PS3_PS7_21rocsparse_index_base_SG_SG_SG_bbb
; %bb.0:
	s_clause 0x2
	s_load_b32 s12, s[0:1], 0xa8
	s_load_b128 s[8:11], s[0:1], 0x18
	s_load_b128 s[4:7], s[0:1], 0x58
	v_mov_b32_e32 v1, 0
	v_mov_b32_e32 v2, 0
	s_waitcnt lgkmcnt(0)
	s_bitcmp1_b32 s12, 0
	v_mov_b32_e32 v3, s8
	s_cselect_b32 s14, -1, 0
	s_bitcmp1_b32 s12, 16
	v_dual_mov_b32 v6, v2 :: v_dual_mov_b32 v5, v1
	s_cselect_b32 s2, -1, 0
	v_mov_b32_e32 v4, s9
	s_xor_b32 s3, s2, -1
	v_dual_mov_b32 v10, s5 :: v_dual_mov_b32 v9, s4
	v_cndmask_b32_e64 v7, 0, 1, s3
	s_bitcmp0_b32 s12, 0
	s_clause 0x1
	scratch_store_b64 off, v[3:4], off offset:16
	scratch_store_b64 off, v[9:10], off offset:24
	v_cmp_ne_u32_e32 vcc_lo, 1, v7
	v_dual_mov_b32 v8, v2 :: v_dual_mov_b32 v7, v1
	s_cbranch_scc1 .LBB70_3
; %bb.1:
	s_mov_b64 s[16:17], src_private_base
	s_and_b32 s13, s2, exec_lo
	s_cselect_b32 s13, s17, s9
	s_delay_alu instid0(SALU_CYCLE_1) | instskip(SKIP_2) | instid1(VALU_DEP_2)
	v_dual_mov_b32 v3, 16 :: v_dual_mov_b32 v4, s13
	v_dual_mov_b32 v7, s10 :: v_dual_mov_b32 v8, s11
	s_and_b32 vcc_lo, exec_lo, vcc_lo
	v_cndmask_b32_e64 v3, s8, v3, s2
	flat_load_b64 v[5:6], v[3:4]
	s_cbranch_vccnz .LBB70_3
; %bb.2:
	v_dual_mov_b32 v3, s8 :: v_dual_mov_b32 v4, s9
	flat_load_b64 v[7:8], v[3:4] offset:8
.LBB70_3:
	s_load_b128 s[24:27], s[0:1], 0x98
	s_bitcmp1_b32 s12, 8
	v_dual_mov_b32 v4, v2 :: v_dual_mov_b32 v3, v1
	s_cselect_b32 s13, -1, 0
	s_bfe_u32 s8, s12, 0x10008
	s_delay_alu instid0(SALU_CYCLE_1)
	s_cmp_eq_u32 s8, 0
	s_cbranch_scc1 .LBB70_6
; %bb.4:
	s_mov_b64 s[8:9], src_private_base
	s_and_b32 s8, s2, exec_lo
	s_cselect_b32 s8, s9, s5
	s_delay_alu instid0(SALU_CYCLE_1) | instskip(SKIP_1) | instid1(VALU_DEP_1)
	v_dual_mov_b32 v1, 24 :: v_dual_mov_b32 v2, s8
	s_and_not1_b32 vcc_lo, exec_lo, s3
	v_cndmask_b32_e64 v1, s4, v1, s2
	flat_load_b64 v[3:4], v[1:2]
	v_dual_mov_b32 v1, s6 :: v_dual_mov_b32 v2, s7
	s_cbranch_vccnz .LBB70_6
; %bb.5:
	v_dual_mov_b32 v1, s4 :: v_dual_mov_b32 v2, s5
	flat_load_b64 v[1:2], v[1:2] offset:8
.LBB70_6:
	s_clause 0x5
	s_load_b128 s[28:31], s[0:1], 0x88
	s_load_b256 s[4:11], s[0:1], 0x68
	s_load_b128 s[36:39], s[0:1], 0x48
	s_load_b256 s[16:23], s[0:1], 0x28
	s_load_b128 s[40:43], s[0:1], 0x8
	s_load_b32 s12, s[0:1], 0x0
	v_cmp_gt_u32_e64 s0, 0x100, v0
	v_lshlrev_b32_e32 v25, 4, v0
	v_or_b32_e32 v23, 0xffffff80, v0
	v_lshl_add_u32 v24, v0, 2, 0
	s_delay_alu instid0(VALU_DEP_4)
	s_and_saveexec_b32 s1, s0
	s_cbranch_execz .LBB70_9
; %bb.7:
	s_mov_b32 s2, 0
	v_add3_u32 v13, v25, 0, 0x400
	s_mov_b32 s3, s2
	s_mov_b32 s34, s2
	;; [unrolled: 1-line block ×3, first 2 shown]
	v_dual_mov_b32 v10, s3 :: v_dual_mov_b32 v11, s34
	v_or_b32_e32 v14, 0xffffff80, v0
	v_lshl_add_u32 v15, v0, 2, 0
	s_waitcnt lgkmcnt(0)
	v_dual_mov_b32 v16, s12 :: v_dual_mov_b32 v9, s2
	v_mov_b32_e32 v12, s35
.LBB70_8:                               ; =>This Inner Loop Header: Depth=1
	v_add_co_u32 v14, s3, 0x80, v14
	s_delay_alu instid0(VALU_DEP_1)
	s_xor_b32 s3, s3, -1
	ds_store_b32 v15, v16
	ds_store_2addr_b64 v13, v[9:10], v[11:12] offset1:1
	v_add_nc_u32_e32 v13, 0x800, v13
	v_add_nc_u32_e32 v15, 0x200, v15
	s_and_b32 s3, exec_lo, s3
	s_delay_alu instid0(SALU_CYCLE_1) | instskip(NEXT) | instid1(SALU_CYCLE_1)
	s_or_b32 s2, s3, s2
	s_and_not1_b32 exec_lo, exec_lo, s2
	s_cbranch_execnz .LBB70_8
.LBB70_9:
	s_or_b32 exec_lo, exec_lo, s1
	s_waitcnt vmcnt(0) lgkmcnt(0)
	s_waitcnt_vscnt null, 0x0
	s_barrier
	buffer_gl0_inv
	s_load_b32 s1, s[40:41], 0x0
	s_mov_b32 s3, 0
	v_lshrrev_b32_e32 v26, 4, v0
	s_waitcnt lgkmcnt(0)
	s_add_i32 s2, s1, s15
	s_delay_alu instid0(SALU_CYCLE_1) | instskip(NEXT) | instid1(SALU_CYCLE_1)
	s_lshl_b64 s[2:3], s[2:3], 2
	s_add_u32 s2, s42, s2
	s_addc_u32 s3, s43, s3
	s_and_b32 vcc_lo, exec_lo, s14
	s_load_b32 s2, s[2:3], 0x0
	s_cbranch_vccz .LBB70_37
; %bb.10:
	s_waitcnt lgkmcnt(0)
	s_ashr_i32 s3, s2, 31
	v_subrev_nc_u32_e32 v9, s24, v26
	s_lshl_b64 s[14:15], s[2:3], 2
	s_mov_b32 s3, exec_lo
	s_add_u32 s14, s16, s14
	s_addc_u32 s15, s17, s15
	s_load_b64 s[14:15], s[14:15], 0x0
	s_waitcnt lgkmcnt(0)
	v_add_nc_u32_e32 v9, s14, v9
	s_sub_i32 s1, s15, s24
	s_delay_alu instid0(VALU_DEP_1) | instid1(SALU_CYCLE_1)
	v_cmpx_gt_i32_e64 s1, v9
	s_cbranch_execz .LBB70_36
; %bb.11:
	v_and_b32_e32 v10, 15, v0
	s_mov_b32 s14, 0
	s_delay_alu instid0(VALU_DEP_1)
	v_subrev_nc_u32_e32 v27, s25, v10
	s_branch .LBB70_13
.LBB70_12:                              ;   in Loop: Header=BB70_13 Depth=1
	s_or_b32 exec_lo, exec_lo, s15
	v_add_nc_u32_e32 v9, 8, v9
	s_delay_alu instid0(VALU_DEP_1) | instskip(SKIP_1) | instid1(SALU_CYCLE_1)
	v_cmp_le_i32_e32 vcc_lo, s1, v9
	s_or_b32 s14, vcc_lo, s14
	s_and_not1_b32 exec_lo, exec_lo, s14
	s_cbranch_execz .LBB70_36
.LBB70_13:                              ; =>This Loop Header: Depth=1
                                        ;     Child Loop BB70_16 Depth 2
                                        ;       Child Loop BB70_18 Depth 3
                                        ;         Child Loop BB70_24 Depth 4
                                        ;         Child Loop BB70_26 Depth 4
	;; [unrolled: 1-line block ×4, first 2 shown]
	v_ashrrev_i32_e32 v10, 31, v9
	s_mov_b32 s15, exec_lo
	s_delay_alu instid0(VALU_DEP_1) | instskip(NEXT) | instid1(VALU_DEP_1)
	v_lshlrev_b64 v[11:12], 2, v[9:10]
	v_add_co_u32 v11, vcc_lo, s18, v11
	s_delay_alu instid0(VALU_DEP_2) | instskip(SKIP_3) | instid1(VALU_DEP_1)
	v_add_co_ci_u32_e32 v12, vcc_lo, s19, v12, vcc_lo
	global_load_b32 v11, v[11:12], off
	s_waitcnt vmcnt(0)
	v_subrev_nc_u32_e32 v11, s24, v11
	v_ashrrev_i32_e32 v12, 31, v11
	s_delay_alu instid0(VALU_DEP_1) | instskip(NEXT) | instid1(VALU_DEP_1)
	v_lshlrev_b64 v[11:12], 2, v[11:12]
	v_add_co_u32 v11, vcc_lo, s22, v11
	s_delay_alu instid0(VALU_DEP_2) | instskip(SKIP_4) | instid1(VALU_DEP_1)
	v_add_co_ci_u32_e32 v12, vcc_lo, s23, v12, vcc_lo
	global_load_b64 v[11:12], v[11:12], off
	s_waitcnt vmcnt(0)
	v_subrev_nc_u32_e32 v28, s25, v12
	v_add_nc_u32_e32 v11, v11, v27
	v_cmpx_lt_i32_e64 v11, v28
	s_cbranch_execz .LBB70_12
; %bb.14:                               ;   in Loop: Header=BB70_13 Depth=1
	v_lshlrev_b64 v[12:13], 4, v[9:10]
	s_mov_b32 s16, 0
	s_delay_alu instid0(VALU_DEP_1) | instskip(NEXT) | instid1(VALU_DEP_2)
	v_add_co_u32 v12, vcc_lo, s20, v12
	v_add_co_ci_u32_e32 v13, vcc_lo, s21, v13, vcc_lo
	global_load_b128 v[15:18], v[12:13], off
	s_waitcnt vmcnt(0)
	v_mul_f64 v[12:13], v[17:18], -v[7:8]
	v_mul_f64 v[17:18], v[5:6], v[17:18]
	s_delay_alu instid0(VALU_DEP_2) | instskip(NEXT) | instid1(VALU_DEP_2)
	v_fma_f64 v[13:14], v[5:6], v[15:16], v[12:13]
	v_fma_f64 v[15:16], v[7:8], v[15:16], v[17:18]
	s_branch .LBB70_16
.LBB70_15:                              ;   in Loop: Header=BB70_16 Depth=2
	s_or_b32 exec_lo, exec_lo, s17
	v_add_nc_u32_e32 v11, 16, v11
	s_delay_alu instid0(VALU_DEP_1) | instskip(SKIP_1) | instid1(SALU_CYCLE_1)
	v_cmp_ge_i32_e32 vcc_lo, v11, v28
	s_or_b32 s16, vcc_lo, s16
	s_and_not1_b32 exec_lo, exec_lo, s16
	s_cbranch_execz .LBB70_12
.LBB70_16:                              ;   Parent Loop BB70_13 Depth=1
                                        ; =>  This Loop Header: Depth=2
                                        ;       Child Loop BB70_18 Depth 3
                                        ;         Child Loop BB70_24 Depth 4
                                        ;         Child Loop BB70_26 Depth 4
	;; [unrolled: 1-line block ×4, first 2 shown]
	v_ashrrev_i32_e32 v12, 31, v11
	s_mov_b32 s17, 0
	s_delay_alu instid0(VALU_DEP_1) | instskip(NEXT) | instid1(VALU_DEP_1)
	v_lshlrev_b64 v[17:18], 4, v[11:12]
	v_add_co_u32 v17, vcc_lo, s38, v17
	s_delay_alu instid0(VALU_DEP_2) | instskip(SKIP_2) | instid1(VALU_DEP_1)
	v_add_co_ci_u32_e32 v18, vcc_lo, s39, v18, vcc_lo
	global_load_b128 v[19:22], v[17:18], off
	v_lshlrev_b64 v[17:18], 2, v[11:12]
	v_add_co_u32 v17, vcc_lo, s36, v17
	s_delay_alu instid0(VALU_DEP_2)
	v_add_co_ci_u32_e32 v18, vcc_lo, s37, v18, vcc_lo
	global_load_b32 v10, v[17:18], off
	s_waitcnt vmcnt(1)
	v_mul_f64 v[17:18], v[21:22], -v[15:16]
	v_mul_f64 v[21:22], v[13:14], v[21:22]
	s_waitcnt vmcnt(0)
	v_subrev_nc_u32_e32 v10, s25, v10
	s_delay_alu instid0(VALU_DEP_1) | instskip(NEXT) | instid1(VALU_DEP_1)
	v_mul_lo_u32 v12, 0x89, v10
	v_and_b32_e32 v12, 0xff, v12
	v_fma_f64 v[17:18], v[13:14], v[19:20], v[17:18]
	v_fma_f64 v[19:20], v[15:16], v[19:20], v[21:22]
	s_branch .LBB70_18
.LBB70_17:                              ;   in Loop: Header=BB70_18 Depth=3
	s_or_b32 exec_lo, exec_lo, s33
	s_xor_b32 s33, s34, -1
	s_delay_alu instid0(SALU_CYCLE_1) | instskip(NEXT) | instid1(SALU_CYCLE_1)
	s_and_b32 s33, exec_lo, s33
	s_or_b32 s17, s33, s17
	s_delay_alu instid0(SALU_CYCLE_1)
	s_and_not1_b32 exec_lo, exec_lo, s17
	s_cbranch_execz .LBB70_15
.LBB70_18:                              ;   Parent Loop BB70_13 Depth=1
                                        ;     Parent Loop BB70_16 Depth=2
                                        ; =>    This Loop Header: Depth=3
                                        ;         Child Loop BB70_24 Depth 4
                                        ;         Child Loop BB70_26 Depth 4
	;; [unrolled: 1-line block ×4, first 2 shown]
	s_delay_alu instid0(VALU_DEP_3)
	v_lshl_add_u32 v21, v12, 2, 0
	s_mov_b32 s33, exec_lo
                                        ; implicit-def: $sgpr34
	ds_load_b32 v22, v21
	s_waitcnt lgkmcnt(0)
	v_cmpx_ne_u32_e64 v22, v10
	s_xor_b32 s33, exec_lo, s33
	s_cbranch_execz .LBB70_30
; %bb.19:                               ;   in Loop: Header=BB70_18 Depth=3
	s_mov_b32 s35, exec_lo
                                        ; implicit-def: $sgpr34
	v_cmpx_ne_u32_e64 s12, v22
	s_xor_b32 s35, exec_lo, s35
; %bb.20:                               ;   in Loop: Header=BB70_18 Depth=3
	v_add_nc_u32_e32 v12, 1, v12
	s_mov_b32 s34, -1
                                        ; implicit-def: $vgpr21
	s_delay_alu instid0(VALU_DEP_1)
	v_and_b32_e32 v12, 0xff, v12
; %bb.21:                               ;   in Loop: Header=BB70_18 Depth=3
	s_and_not1_saveexec_b32 s35, s35
	s_cbranch_execz .LBB70_29
; %bb.22:                               ;   in Loop: Header=BB70_18 Depth=3
	v_mov_b32_e32 v22, s12
	s_mov_b32 s41, -1
	s_mov_b32 s40, exec_lo
	ds_cmpstore_rtn_b32 v22, v21, v10, v22
	s_waitcnt lgkmcnt(0)
	v_cmpx_eq_u32_e64 s12, v22
	s_cbranch_execz .LBB70_28
; %bb.23:                               ;   in Loop: Header=BB70_18 Depth=3
	v_mul_lo_u32 v22, v12, 12
	s_mov_b32 s41, 0
	s_delay_alu instid0(VALU_DEP_1)
	v_add_nc_u32_e32 v29, v21, v22
	ds_load_b64 v[21:22], v29 offset:1024
.LBB70_24:                              ;   Parent Loop BB70_13 Depth=1
                                        ;     Parent Loop BB70_16 Depth=2
                                        ;       Parent Loop BB70_18 Depth=3
                                        ; =>      This Inner Loop Header: Depth=4
	s_waitcnt lgkmcnt(0)
	v_add_f64 v[30:31], v[21:22], v[17:18]
	ds_cmpstore_rtn_b64 v[30:31], v29, v[30:31], v[21:22] offset:1024
	s_waitcnt lgkmcnt(0)
	v_cmp_eq_u64_e32 vcc_lo, v[30:31], v[21:22]
	v_dual_mov_b32 v21, v30 :: v_dual_mov_b32 v22, v31
	s_or_b32 s41, vcc_lo, s41
	s_delay_alu instid0(SALU_CYCLE_1)
	s_and_not1_b32 exec_lo, exec_lo, s41
	s_cbranch_execnz .LBB70_24
; %bb.25:                               ;   in Loop: Header=BB70_18 Depth=3
	s_or_b32 exec_lo, exec_lo, s41
	ds_load_b64 v[21:22], v29 offset:1032
	s_mov_b32 s41, 0
.LBB70_26:                              ;   Parent Loop BB70_13 Depth=1
                                        ;     Parent Loop BB70_16 Depth=2
                                        ;       Parent Loop BB70_18 Depth=3
                                        ; =>      This Inner Loop Header: Depth=4
	s_waitcnt lgkmcnt(0)
	v_add_f64 v[30:31], v[21:22], v[19:20]
	ds_cmpstore_rtn_b64 v[30:31], v29, v[30:31], v[21:22] offset:1032
	s_waitcnt lgkmcnt(0)
	v_cmp_eq_u64_e32 vcc_lo, v[30:31], v[21:22]
	v_dual_mov_b32 v21, v30 :: v_dual_mov_b32 v22, v31
	s_or_b32 s41, vcc_lo, s41
	s_delay_alu instid0(SALU_CYCLE_1)
	s_and_not1_b32 exec_lo, exec_lo, s41
	s_cbranch_execnz .LBB70_26
; %bb.27:                               ;   in Loop: Header=BB70_18 Depth=3
	s_or_b32 exec_lo, exec_lo, s41
	s_delay_alu instid0(SALU_CYCLE_1)
	s_xor_b32 s41, exec_lo, -1
.LBB70_28:                              ;   in Loop: Header=BB70_18 Depth=3
	s_or_b32 exec_lo, exec_lo, s40
	s_delay_alu instid0(SALU_CYCLE_1) | instskip(SKIP_1) | instid1(SALU_CYCLE_1)
	s_and_not1_b32 s34, s34, exec_lo
	s_and_b32 s40, s41, exec_lo
	s_or_b32 s34, s34, s40
.LBB70_29:                              ;   in Loop: Header=BB70_18 Depth=3
	s_or_b32 exec_lo, exec_lo, s35
	s_delay_alu instid0(SALU_CYCLE_1)
	s_and_b32 s34, s34, exec_lo
                                        ; implicit-def: $vgpr21
.LBB70_30:                              ;   in Loop: Header=BB70_18 Depth=3
	s_and_not1_saveexec_b32 s33, s33
	s_cbranch_execz .LBB70_17
; %bb.31:                               ;   in Loop: Header=BB70_18 Depth=3
	v_mul_lo_u32 v22, v12, 12
	s_mov_b32 s35, 0
	s_delay_alu instid0(VALU_DEP_1)
	v_add_nc_u32_e32 v29, v21, v22
	ds_load_b64 v[21:22], v29 offset:1024
.LBB70_32:                              ;   Parent Loop BB70_13 Depth=1
                                        ;     Parent Loop BB70_16 Depth=2
                                        ;       Parent Loop BB70_18 Depth=3
                                        ; =>      This Inner Loop Header: Depth=4
	s_waitcnt lgkmcnt(0)
	v_add_f64 v[30:31], v[21:22], v[17:18]
	ds_cmpstore_rtn_b64 v[30:31], v29, v[30:31], v[21:22] offset:1024
	s_waitcnt lgkmcnt(0)
	v_cmp_eq_u64_e32 vcc_lo, v[30:31], v[21:22]
	v_dual_mov_b32 v21, v30 :: v_dual_mov_b32 v22, v31
	s_or_b32 s35, vcc_lo, s35
	s_delay_alu instid0(SALU_CYCLE_1)
	s_and_not1_b32 exec_lo, exec_lo, s35
	s_cbranch_execnz .LBB70_32
; %bb.33:                               ;   in Loop: Header=BB70_18 Depth=3
	s_or_b32 exec_lo, exec_lo, s35
	ds_load_b64 v[21:22], v29 offset:1032
	s_mov_b32 s35, 0
.LBB70_34:                              ;   Parent Loop BB70_13 Depth=1
                                        ;     Parent Loop BB70_16 Depth=2
                                        ;       Parent Loop BB70_18 Depth=3
                                        ; =>      This Inner Loop Header: Depth=4
	s_waitcnt lgkmcnt(0)
	v_add_f64 v[30:31], v[21:22], v[19:20]
	ds_cmpstore_rtn_b64 v[30:31], v29, v[30:31], v[21:22] offset:1032
	s_waitcnt lgkmcnt(0)
	v_cmp_eq_u64_e32 vcc_lo, v[30:31], v[21:22]
	v_dual_mov_b32 v21, v30 :: v_dual_mov_b32 v22, v31
	s_or_b32 s35, vcc_lo, s35
	s_delay_alu instid0(SALU_CYCLE_1)
	s_and_not1_b32 exec_lo, exec_lo, s35
	s_cbranch_execnz .LBB70_34
; %bb.35:                               ;   in Loop: Header=BB70_18 Depth=3
	s_or_b32 exec_lo, exec_lo, s35
	s_delay_alu instid0(SALU_CYCLE_1)
	s_and_not1_b32 s34, s34, exec_lo
	s_branch .LBB70_17
.LBB70_36:
	s_or_b32 exec_lo, exec_lo, s3
.LBB70_37:
	s_delay_alu instid0(SALU_CYCLE_1)
	s_and_not1_b32 vcc_lo, exec_lo, s13
	s_cbranch_vccnz .LBB70_62
; %bb.38:
	s_waitcnt lgkmcnt(0)
	s_ashr_i32 s3, s2, 31
	v_subrev_nc_u32_e32 v5, s27, v0
	s_lshl_b64 s[14:15], s[2:3], 2
	s_mov_b32 s3, exec_lo
	s_add_u32 s4, s4, s14
	s_addc_u32 s5, s5, s15
	s_load_b64 s[4:5], s[4:5], 0x0
	s_waitcnt lgkmcnt(0)
	v_add_nc_u32_e32 v5, s4, v5
	s_sub_i32 s1, s5, s27
	s_delay_alu instid0(VALU_DEP_1) | instid1(SALU_CYCLE_1)
	v_cmpx_gt_i32_e64 s1, v5
	s_cbranch_execz .LBB70_61
; %bb.39:
	s_mov_b32 s4, 0
	s_branch .LBB70_41
.LBB70_40:                              ;   in Loop: Header=BB70_41 Depth=1
	s_or_b32 exec_lo, exec_lo, s5
	v_add_nc_u32_e32 v5, 0x80, v5
	s_delay_alu instid0(VALU_DEP_1) | instskip(SKIP_1) | instid1(SALU_CYCLE_1)
	v_cmp_le_i32_e32 vcc_lo, s1, v5
	s_or_b32 s4, vcc_lo, s4
	s_and_not1_b32 exec_lo, exec_lo, s4
	s_cbranch_execz .LBB70_61
.LBB70_41:                              ; =>This Loop Header: Depth=1
                                        ;     Child Loop BB70_43 Depth 2
                                        ;       Child Loop BB70_49 Depth 3
                                        ;       Child Loop BB70_51 Depth 3
	;; [unrolled: 1-line block ×4, first 2 shown]
	v_ashrrev_i32_e32 v6, 31, v5
	s_mov_b32 s5, 0
	s_delay_alu instid0(VALU_DEP_1) | instskip(NEXT) | instid1(VALU_DEP_1)
	v_lshlrev_b64 v[7:8], 4, v[5:6]
	v_add_co_u32 v7, vcc_lo, s8, v7
	s_delay_alu instid0(VALU_DEP_2) | instskip(SKIP_2) | instid1(VALU_DEP_1)
	v_add_co_ci_u32_e32 v8, vcc_lo, s9, v8, vcc_lo
	global_load_b128 v[8:11], v[7:8], off
	v_lshlrev_b64 v[6:7], 2, v[5:6]
	v_add_co_u32 v6, vcc_lo, s6, v6
	s_delay_alu instid0(VALU_DEP_2)
	v_add_co_ci_u32_e32 v7, vcc_lo, s7, v7, vcc_lo
	global_load_b32 v12, v[6:7], off
	s_waitcnt vmcnt(1)
	v_mul_f64 v[6:7], v[10:11], -v[1:2]
	v_mul_f64 v[10:11], v[3:4], v[10:11]
	s_waitcnt vmcnt(0)
	v_subrev_nc_u32_e32 v12, s27, v12
	s_delay_alu instid0(VALU_DEP_3) | instskip(NEXT) | instid1(VALU_DEP_3)
	v_fma_f64 v[6:7], v[3:4], v[8:9], v[6:7]
	v_fma_f64 v[8:9], v[1:2], v[8:9], v[10:11]
	s_delay_alu instid0(VALU_DEP_3) | instskip(NEXT) | instid1(VALU_DEP_1)
	v_mul_lo_u32 v10, 0x89, v12
	v_and_b32_e32 v13, 0xff, v10
	s_branch .LBB70_43
.LBB70_42:                              ;   in Loop: Header=BB70_43 Depth=2
	s_or_b32 exec_lo, exec_lo, s13
	s_xor_b32 s13, s14, -1
	s_delay_alu instid0(SALU_CYCLE_1) | instskip(NEXT) | instid1(SALU_CYCLE_1)
	s_and_b32 s13, exec_lo, s13
	s_or_b32 s5, s13, s5
	s_delay_alu instid0(SALU_CYCLE_1)
	s_and_not1_b32 exec_lo, exec_lo, s5
	s_cbranch_execz .LBB70_40
.LBB70_43:                              ;   Parent Loop BB70_41 Depth=1
                                        ; =>  This Loop Header: Depth=2
                                        ;       Child Loop BB70_49 Depth 3
                                        ;       Child Loop BB70_51 Depth 3
	;; [unrolled: 1-line block ×4, first 2 shown]
	s_delay_alu instid0(VALU_DEP_1)
	v_lshl_add_u32 v10, v13, 2, 0
	s_mov_b32 s13, exec_lo
                                        ; implicit-def: $sgpr14
	ds_load_b32 v11, v10
	s_waitcnt lgkmcnt(0)
	v_cmpx_ne_u32_e64 v11, v12
	s_xor_b32 s13, exec_lo, s13
	s_cbranch_execz .LBB70_55
; %bb.44:                               ;   in Loop: Header=BB70_43 Depth=2
	s_mov_b32 s15, exec_lo
                                        ; implicit-def: $sgpr14
	v_cmpx_ne_u32_e64 s12, v11
	s_xor_b32 s15, exec_lo, s15
; %bb.45:                               ;   in Loop: Header=BB70_43 Depth=2
	v_add_nc_u32_e32 v10, 1, v13
	s_mov_b32 s14, -1
	s_delay_alu instid0(VALU_DEP_1)
	v_and_b32_e32 v13, 0xff, v10
                                        ; implicit-def: $vgpr10
; %bb.46:                               ;   in Loop: Header=BB70_43 Depth=2
	s_and_not1_saveexec_b32 s15, s15
	s_cbranch_execz .LBB70_54
; %bb.47:                               ;   in Loop: Header=BB70_43 Depth=2
	v_mov_b32_e32 v11, s12
	s_mov_b32 s17, -1
	s_mov_b32 s16, exec_lo
	ds_cmpstore_rtn_b32 v11, v10, v12, v11
	s_waitcnt lgkmcnt(0)
	v_cmpx_eq_u32_e64 s12, v11
	s_cbranch_execz .LBB70_53
; %bb.48:                               ;   in Loop: Header=BB70_43 Depth=2
	v_mul_lo_u32 v11, v13, 12
	s_mov_b32 s17, 0
	s_delay_alu instid0(VALU_DEP_1)
	v_add_nc_u32_e32 v14, v10, v11
	ds_load_b64 v[10:11], v14 offset:1024
.LBB70_49:                              ;   Parent Loop BB70_41 Depth=1
                                        ;     Parent Loop BB70_43 Depth=2
                                        ; =>    This Inner Loop Header: Depth=3
	s_waitcnt lgkmcnt(0)
	v_add_f64 v[15:16], v[10:11], v[6:7]
	ds_cmpstore_rtn_b64 v[15:16], v14, v[15:16], v[10:11] offset:1024
	s_waitcnt lgkmcnt(0)
	v_cmp_eq_u64_e32 vcc_lo, v[15:16], v[10:11]
	v_dual_mov_b32 v10, v15 :: v_dual_mov_b32 v11, v16
	s_or_b32 s17, vcc_lo, s17
	s_delay_alu instid0(SALU_CYCLE_1)
	s_and_not1_b32 exec_lo, exec_lo, s17
	s_cbranch_execnz .LBB70_49
; %bb.50:                               ;   in Loop: Header=BB70_43 Depth=2
	s_or_b32 exec_lo, exec_lo, s17
	ds_load_b64 v[10:11], v14 offset:1032
	s_mov_b32 s17, 0
.LBB70_51:                              ;   Parent Loop BB70_41 Depth=1
                                        ;     Parent Loop BB70_43 Depth=2
                                        ; =>    This Inner Loop Header: Depth=3
	s_waitcnt lgkmcnt(0)
	v_add_f64 v[15:16], v[10:11], v[8:9]
	ds_cmpstore_rtn_b64 v[15:16], v14, v[15:16], v[10:11] offset:1032
	s_waitcnt lgkmcnt(0)
	v_cmp_eq_u64_e32 vcc_lo, v[15:16], v[10:11]
	v_dual_mov_b32 v10, v15 :: v_dual_mov_b32 v11, v16
	s_or_b32 s17, vcc_lo, s17
	s_delay_alu instid0(SALU_CYCLE_1)
	s_and_not1_b32 exec_lo, exec_lo, s17
	s_cbranch_execnz .LBB70_51
; %bb.52:                               ;   in Loop: Header=BB70_43 Depth=2
	s_or_b32 exec_lo, exec_lo, s17
	s_delay_alu instid0(SALU_CYCLE_1)
	s_xor_b32 s17, exec_lo, -1
.LBB70_53:                              ;   in Loop: Header=BB70_43 Depth=2
	s_or_b32 exec_lo, exec_lo, s16
	s_delay_alu instid0(SALU_CYCLE_1) | instskip(SKIP_1) | instid1(SALU_CYCLE_1)
	s_and_not1_b32 s14, s14, exec_lo
	s_and_b32 s16, s17, exec_lo
	s_or_b32 s14, s14, s16
.LBB70_54:                              ;   in Loop: Header=BB70_43 Depth=2
	s_or_b32 exec_lo, exec_lo, s15
	s_delay_alu instid0(SALU_CYCLE_1)
	s_and_b32 s14, s14, exec_lo
                                        ; implicit-def: $vgpr10
.LBB70_55:                              ;   in Loop: Header=BB70_43 Depth=2
	s_and_not1_saveexec_b32 s13, s13
	s_cbranch_execz .LBB70_42
; %bb.56:                               ;   in Loop: Header=BB70_43 Depth=2
	v_mul_lo_u32 v11, v13, 12
	s_mov_b32 s15, 0
	s_delay_alu instid0(VALU_DEP_1)
	v_add_nc_u32_e32 v14, v10, v11
	ds_load_b64 v[10:11], v14 offset:1024
.LBB70_57:                              ;   Parent Loop BB70_41 Depth=1
                                        ;     Parent Loop BB70_43 Depth=2
                                        ; =>    This Inner Loop Header: Depth=3
	s_waitcnt lgkmcnt(0)
	v_add_f64 v[15:16], v[10:11], v[6:7]
	ds_cmpstore_rtn_b64 v[15:16], v14, v[15:16], v[10:11] offset:1024
	s_waitcnt lgkmcnt(0)
	v_cmp_eq_u64_e32 vcc_lo, v[15:16], v[10:11]
	v_dual_mov_b32 v10, v15 :: v_dual_mov_b32 v11, v16
	s_or_b32 s15, vcc_lo, s15
	s_delay_alu instid0(SALU_CYCLE_1)
	s_and_not1_b32 exec_lo, exec_lo, s15
	s_cbranch_execnz .LBB70_57
; %bb.58:                               ;   in Loop: Header=BB70_43 Depth=2
	s_or_b32 exec_lo, exec_lo, s15
	ds_load_b64 v[10:11], v14 offset:1032
	s_mov_b32 s15, 0
.LBB70_59:                              ;   Parent Loop BB70_41 Depth=1
                                        ;     Parent Loop BB70_43 Depth=2
                                        ; =>    This Inner Loop Header: Depth=3
	s_waitcnt lgkmcnt(0)
	v_add_f64 v[15:16], v[10:11], v[8:9]
	ds_cmpstore_rtn_b64 v[15:16], v14, v[15:16], v[10:11] offset:1032
	s_waitcnt lgkmcnt(0)
	v_cmp_eq_u64_e32 vcc_lo, v[15:16], v[10:11]
	v_dual_mov_b32 v10, v15 :: v_dual_mov_b32 v11, v16
	s_or_b32 s15, vcc_lo, s15
	s_delay_alu instid0(SALU_CYCLE_1)
	s_and_not1_b32 exec_lo, exec_lo, s15
	s_cbranch_execnz .LBB70_59
; %bb.60:                               ;   in Loop: Header=BB70_43 Depth=2
	s_or_b32 exec_lo, exec_lo, s15
	s_delay_alu instid0(SALU_CYCLE_1)
	s_and_not1_b32 s14, s14, exec_lo
	s_branch .LBB70_42
.LBB70_61:
	s_or_b32 exec_lo, exec_lo, s3
.LBB70_62:
	s_waitcnt lgkmcnt(0)
	s_barrier
	buffer_gl0_inv
	s_and_saveexec_b32 s3, s0
	s_cbranch_execz .LBB70_71
; %bb.63:
	v_mbcnt_lo_u32_b32 v1, -1, 0
	v_dual_mov_b32 v5, 0 :: v_dual_and_b32 v2, 4, v26
	v_cmp_lt_u32_e32 vcc_lo, 63, v0
	v_cmp_eq_u32_e64 s0, 0x7f, v0
	s_delay_alu instid0(VALU_DEP_4) | instskip(NEXT) | instid1(VALU_DEP_4)
	v_xor_b32_e32 v1, 63, v1
	v_add_nc_u32_e32 v4, 0, v2
	v_add3_u32 v3, v25, 0, 0x400
	s_mov_b32 s4, 0
	s_delay_alu instid0(VALU_DEP_3)
	v_lshrrev_b64 v[1:2], v1, -1
	v_mov_b32_e32 v2, 0
	s_branch .LBB70_65
.LBB70_64:                              ;   in Loop: Header=BB70_65 Depth=1
	s_or_b32 exec_lo, exec_lo, s1
	s_waitcnt lgkmcnt(0)
	s_barrier
	buffer_gl0_inv
	ds_load_b32 v6, v2 offset:5124
	v_add_co_u32 v23, s1, 0x80, v23
	s_delay_alu instid0(VALU_DEP_1) | instskip(SKIP_3) | instid1(SALU_CYCLE_1)
	s_xor_b32 s1, s1, -1
	v_add_nc_u32_e32 v3, 0x800, v3
	v_add_nc_u32_e32 v24, 0x200, v24
	s_and_b32 s1, exec_lo, s1
	s_or_b32 s4, s1, s4
	s_waitcnt lgkmcnt(0)
	v_add_nc_u32_e32 v5, v6, v5
	s_and_not1_b32 exec_lo, exec_lo, s4
	s_cbranch_execz .LBB70_71
.LBB70_65:                              ; =>This Inner Loop Header: Depth=1
	ds_load_b32 v6, v24
	ds_load_2addr_b64 v[7:10], v3 offset1:1
	s_waitcnt lgkmcnt(1)
	v_cmp_gt_i32_e64 s1, s12, v6
	s_waitcnt lgkmcnt(0)
	scratch_store_b128 off, v[7:10], off
	s_waitcnt_vscnt null, 0x0
	s_barrier
	buffer_gl0_inv
	s_bcnt1_i32_b32 s5, s1
	s_delay_alu instid0(SALU_CYCLE_1) | instskip(NEXT) | instid1(VALU_DEP_1)
	v_dual_mov_b32 v8, s5 :: v_dual_and_b32 v7, s1, v1
	v_bcnt_u32_b32 v7, v7, 0
	ds_store_b32 v4, v8 offset:5120
	s_waitcnt lgkmcnt(0)
	s_barrier
	buffer_gl0_inv
	s_and_saveexec_b32 s5, vcc_lo
	s_cbranch_execnz .LBB70_68
; %bb.66:                               ;   in Loop: Header=BB70_65 Depth=1
	s_or_b32 exec_lo, exec_lo, s5
	s_and_saveexec_b32 s5, s1
	s_cbranch_execnz .LBB70_69
.LBB70_67:                              ;   in Loop: Header=BB70_65 Depth=1
	s_or_b32 exec_lo, exec_lo, s5
	s_and_saveexec_b32 s1, s0
	s_cbranch_execz .LBB70_64
	s_branch .LBB70_70
.LBB70_68:                              ;   in Loop: Header=BB70_65 Depth=1
	ds_load_b32 v8, v2 offset:5120
	s_waitcnt lgkmcnt(0)
	v_add_nc_u32_e32 v7, v8, v7
	s_or_b32 exec_lo, exec_lo, s5
	s_and_saveexec_b32 s5, s1
	s_cbranch_execz .LBB70_67
.LBB70_69:                              ;   in Loop: Header=BB70_65 Depth=1
	scratch_load_b128 v[8:11], off, off
	v_add3_u32 v12, v5, -1, v7
	s_delay_alu instid0(VALU_DEP_1)
	v_lshl_add_u32 v13, v12, 2, 0
	v_lshl_add_u32 v12, v12, 4, 0
	ds_store_b32 v13, v6
	s_waitcnt vmcnt(0)
	ds_store_2addr_b64 v12, v[8:9], v[10:11] offset0:128 offset1:129
	s_or_b32 exec_lo, exec_lo, s5
	s_and_saveexec_b32 s1, s0
	s_cbranch_execz .LBB70_64
.LBB70_70:                              ;   in Loop: Header=BB70_65 Depth=1
	ds_store_b32 v2, v7 offset:5124
	s_branch .LBB70_64
.LBB70_71:
	s_or_b32 exec_lo, exec_lo, s3
	s_ashr_i32 s3, s2, 31
	s_delay_alu instid0(SALU_CYCLE_1)
	s_lshl_b64 s[0:1], s[2:3], 2
	s_mov_b32 s3, exec_lo
	s_add_u32 s0, s10, s0
	s_addc_u32 s1, s11, s1
	s_load_b64 s[0:1], s[0:1], 0x0
	s_waitcnt lgkmcnt(0)
	s_sub_i32 s2, s1, s0
	s_delay_alu instid0(SALU_CYCLE_1)
	v_cmpx_gt_i32_e64 s2, v0
	s_cbranch_execz .LBB70_81
; %bb.72:
	s_sub_i32 s3, s0, s26
	s_sub_i32 s0, s0, s1
	s_and_b32 s1, s2, 7
	s_cmp_lt_u32 s0, -7
	s_mov_b32 s7, 0
	s_cselect_b32 s4, -1, 0
	s_and_b32 s5, s2, -8
	s_cmp_lg_u32 s1, 0
	s_cselect_b32 s6, -1, 0
	s_branch .LBB70_74
.LBB70_73:                              ;   in Loop: Header=BB70_74 Depth=1
	s_delay_alu instid0(VALU_DEP_1) | instskip(SKIP_4) | instid1(VALU_DEP_3)
	v_mad_u64_u32 v[5:6], null, v0, 12, v[1:2]
	v_ashrrev_i32_e32 v3, 31, v2
	v_add_nc_u32_e32 v0, 0x80, v0
	s_waitcnt lgkmcnt(0)
	v_add_nc_u32_e32 v11, s26, v4
	v_lshlrev_b64 v[9:10], 2, v[2:3]
	ds_load_2addr_b64 v[5:8], v5 offset0:128 offset1:129
	v_lshlrev_b64 v[1:2], 4, v[2:3]
	v_add_co_u32 v3, vcc_lo, s28, v9
	v_add_co_ci_u32_e32 v4, vcc_lo, s29, v10, vcc_lo
	v_cmp_le_i32_e32 vcc_lo, s2, v0
	s_delay_alu instid0(VALU_DEP_4) | instskip(NEXT) | instid1(VALU_DEP_1)
	v_add_co_u32 v1, s0, s30, v1
	v_add_co_ci_u32_e64 v2, s0, s31, v2, s0
	s_or_b32 s7, vcc_lo, s7
	global_store_b32 v[3:4], v11, off
	s_waitcnt lgkmcnt(0)
	global_store_b128 v[1:2], v[5:8], off
	s_and_not1_b32 exec_lo, exec_lo, s7
	s_cbranch_execz .LBB70_81
.LBB70_74:                              ; =>This Loop Header: Depth=1
                                        ;     Child Loop BB70_76 Depth 2
                                        ;     Child Loop BB70_80 Depth 2
	v_lshl_add_u32 v1, v0, 2, 0
	v_mov_b32_e32 v2, s3
	s_and_not1_b32 vcc_lo, exec_lo, s4
	s_mov_b32 s0, 0
	ds_load_b32 v4, v1
	s_cbranch_vccnz .LBB70_78
; %bb.75:                               ;   in Loop: Header=BB70_74 Depth=1
	v_mov_b32_e32 v2, s3
	s_mov_b32 s8, 0
	s_set_inst_prefetch_distance 0x1
	.p2align	6
.LBB70_76:                              ;   Parent Loop BB70_74 Depth=1
                                        ; =>  This Inner Loop Header: Depth=2
	v_mov_b32_e32 v3, s8
	s_add_i32 s0, s0, 8
	s_add_i32 s8, s8, 32
	s_cmp_eq_u32 s5, s0
	ds_load_2addr_b32 v[5:6], v3 offset1:1
	ds_load_2addr_b32 v[7:8], v3 offset0:2 offset1:3
	ds_load_2addr_b32 v[9:10], v3 offset0:4 offset1:5
	;; [unrolled: 1-line block ×3, first 2 shown]
	s_waitcnt lgkmcnt(3)
	v_cmp_gt_i32_e32 vcc_lo, v4, v5
	v_cndmask_b32_e64 v3, 0, 1, vcc_lo
	s_waitcnt lgkmcnt(2)
	v_cmp_gt_i32_e32 vcc_lo, v4, v7
	v_cndmask_b32_e64 v5, 0, 1, vcc_lo
	v_cmp_gt_i32_e32 vcc_lo, v4, v6
	v_add_co_ci_u32_e32 v2, vcc_lo, v2, v3, vcc_lo
	s_waitcnt lgkmcnt(1)
	v_cmp_gt_i32_e32 vcc_lo, v4, v9
	v_cndmask_b32_e64 v3, 0, 1, vcc_lo
	v_cmp_gt_i32_e32 vcc_lo, v4, v8
	v_add_co_ci_u32_e32 v2, vcc_lo, v2, v5, vcc_lo
	;; [unrolled: 5-line block ×3, first 2 shown]
	v_cmp_gt_i32_e32 vcc_lo, v4, v12
	s_delay_alu instid0(VALU_DEP_2)
	v_add_co_ci_u32_e32 v2, vcc_lo, v2, v5, vcc_lo
	s_cbranch_scc0 .LBB70_76
; %bb.77:                               ;   in Loop: Header=BB70_74 Depth=1
	s_set_inst_prefetch_distance 0x2
	s_mov_b32 s0, s5
.LBB70_78:                              ;   in Loop: Header=BB70_74 Depth=1
	s_and_not1_b32 vcc_lo, exec_lo, s6
	s_cbranch_vccnz .LBB70_73
; %bb.79:                               ;   in Loop: Header=BB70_74 Depth=1
	s_lshl_b32 s0, s0, 2
	s_mov_b32 s8, s1
	s_add_i32 s0, s0, 0
.LBB70_80:                              ;   Parent Loop BB70_74 Depth=1
                                        ; =>  This Inner Loop Header: Depth=2
	s_delay_alu instid0(SALU_CYCLE_1)
	v_mov_b32_e32 v3, s0
	s_add_i32 s8, s8, -1
	s_add_i32 s0, s0, 4
	s_cmp_lg_u32 s8, 0
	ds_load_b32 v3, v3
	s_waitcnt lgkmcnt(0)
	v_cmp_gt_i32_e32 vcc_lo, v4, v3
	v_add_co_ci_u32_e32 v2, vcc_lo, 0, v2, vcc_lo
	s_cbranch_scc1 .LBB70_80
	s_branch .LBB70_73
.LBB70_81:
	s_nop 0
	s_sendmsg sendmsg(MSG_DEALLOC_VGPRS)
	s_endpgm
	.section	.rodata,"a",@progbits
	.p2align	6, 0x0
	.amdhsa_kernel _ZN9rocsparseL26csrgemm_fill_block_per_rowILj128ELj16ELj256ELj137ELj64Eii21rocsparse_complex_numIdEEEvT5_PKS3_S5_NS_24const_host_device_scalarIT6_EEPKT4_S5_PKS7_SB_S5_SD_S8_SB_S5_SD_SB_PS3_PS7_21rocsparse_index_base_SG_SG_SG_bbb
		.amdhsa_group_segment_fixed_size 0
		.amdhsa_private_segment_fixed_size 40
		.amdhsa_kernarg_size 172
		.amdhsa_user_sgpr_count 15
		.amdhsa_user_sgpr_dispatch_ptr 0
		.amdhsa_user_sgpr_queue_ptr 0
		.amdhsa_user_sgpr_kernarg_segment_ptr 1
		.amdhsa_user_sgpr_dispatch_id 0
		.amdhsa_user_sgpr_private_segment_size 0
		.amdhsa_wavefront_size32 1
		.amdhsa_uses_dynamic_stack 0
		.amdhsa_enable_private_segment 1
		.amdhsa_system_sgpr_workgroup_id_x 1
		.amdhsa_system_sgpr_workgroup_id_y 0
		.amdhsa_system_sgpr_workgroup_id_z 0
		.amdhsa_system_sgpr_workgroup_info 0
		.amdhsa_system_vgpr_workitem_id 0
		.amdhsa_next_free_vgpr 32
		.amdhsa_next_free_sgpr 44
		.amdhsa_reserve_vcc 1
		.amdhsa_float_round_mode_32 0
		.amdhsa_float_round_mode_16_64 0
		.amdhsa_float_denorm_mode_32 3
		.amdhsa_float_denorm_mode_16_64 3
		.amdhsa_dx10_clamp 1
		.amdhsa_ieee_mode 1
		.amdhsa_fp16_overflow 0
		.amdhsa_workgroup_processor_mode 1
		.amdhsa_memory_ordered 1
		.amdhsa_forward_progress 0
		.amdhsa_shared_vgpr_count 0
		.amdhsa_exception_fp_ieee_invalid_op 0
		.amdhsa_exception_fp_denorm_src 0
		.amdhsa_exception_fp_ieee_div_zero 0
		.amdhsa_exception_fp_ieee_overflow 0
		.amdhsa_exception_fp_ieee_underflow 0
		.amdhsa_exception_fp_ieee_inexact 0
		.amdhsa_exception_int_div_zero 0
	.end_amdhsa_kernel
	.section	.text._ZN9rocsparseL26csrgemm_fill_block_per_rowILj128ELj16ELj256ELj137ELj64Eii21rocsparse_complex_numIdEEEvT5_PKS3_S5_NS_24const_host_device_scalarIT6_EEPKT4_S5_PKS7_SB_S5_SD_S8_SB_S5_SD_SB_PS3_PS7_21rocsparse_index_base_SG_SG_SG_bbb,"axG",@progbits,_ZN9rocsparseL26csrgemm_fill_block_per_rowILj128ELj16ELj256ELj137ELj64Eii21rocsparse_complex_numIdEEEvT5_PKS3_S5_NS_24const_host_device_scalarIT6_EEPKT4_S5_PKS7_SB_S5_SD_S8_SB_S5_SD_SB_PS3_PS7_21rocsparse_index_base_SG_SG_SG_bbb,comdat
.Lfunc_end70:
	.size	_ZN9rocsparseL26csrgemm_fill_block_per_rowILj128ELj16ELj256ELj137ELj64Eii21rocsparse_complex_numIdEEEvT5_PKS3_S5_NS_24const_host_device_scalarIT6_EEPKT4_S5_PKS7_SB_S5_SD_S8_SB_S5_SD_SB_PS3_PS7_21rocsparse_index_base_SG_SG_SG_bbb, .Lfunc_end70-_ZN9rocsparseL26csrgemm_fill_block_per_rowILj128ELj16ELj256ELj137ELj64Eii21rocsparse_complex_numIdEEEvT5_PKS3_S5_NS_24const_host_device_scalarIT6_EEPKT4_S5_PKS7_SB_S5_SD_S8_SB_S5_SD_SB_PS3_PS7_21rocsparse_index_base_SG_SG_SG_bbb
                                        ; -- End function
	.section	.AMDGPU.csdata,"",@progbits
; Kernel info:
; codeLenInByte = 3384
; NumSgprs: 46
; NumVgprs: 32
; ScratchSize: 40
; MemoryBound: 0
; FloatMode: 240
; IeeeMode: 1
; LDSByteSize: 0 bytes/workgroup (compile time only)
; SGPRBlocks: 5
; VGPRBlocks: 3
; NumSGPRsForWavesPerEU: 46
; NumVGPRsForWavesPerEU: 32
; Occupancy: 16
; WaveLimiterHint : 1
; COMPUTE_PGM_RSRC2:SCRATCH_EN: 1
; COMPUTE_PGM_RSRC2:USER_SGPR: 15
; COMPUTE_PGM_RSRC2:TRAP_HANDLER: 0
; COMPUTE_PGM_RSRC2:TGID_X_EN: 1
; COMPUTE_PGM_RSRC2:TGID_Y_EN: 0
; COMPUTE_PGM_RSRC2:TGID_Z_EN: 0
; COMPUTE_PGM_RSRC2:TIDIG_COMP_CNT: 0
	.section	.text._ZN9rocsparseL26csrgemm_fill_block_per_rowILj256ELj32ELj512ELj137ELj32Eii21rocsparse_complex_numIdEEEvT5_PKS3_S5_NS_24const_host_device_scalarIT6_EEPKT4_S5_PKS7_SB_S5_SD_S8_SB_S5_SD_SB_PS3_PS7_21rocsparse_index_base_SG_SG_SG_bbb,"axG",@progbits,_ZN9rocsparseL26csrgemm_fill_block_per_rowILj256ELj32ELj512ELj137ELj32Eii21rocsparse_complex_numIdEEEvT5_PKS3_S5_NS_24const_host_device_scalarIT6_EEPKT4_S5_PKS7_SB_S5_SD_S8_SB_S5_SD_SB_PS3_PS7_21rocsparse_index_base_SG_SG_SG_bbb,comdat
	.globl	_ZN9rocsparseL26csrgemm_fill_block_per_rowILj256ELj32ELj512ELj137ELj32Eii21rocsparse_complex_numIdEEEvT5_PKS3_S5_NS_24const_host_device_scalarIT6_EEPKT4_S5_PKS7_SB_S5_SD_S8_SB_S5_SD_SB_PS3_PS7_21rocsparse_index_base_SG_SG_SG_bbb ; -- Begin function _ZN9rocsparseL26csrgemm_fill_block_per_rowILj256ELj32ELj512ELj137ELj32Eii21rocsparse_complex_numIdEEEvT5_PKS3_S5_NS_24const_host_device_scalarIT6_EEPKT4_S5_PKS7_SB_S5_SD_S8_SB_S5_SD_SB_PS3_PS7_21rocsparse_index_base_SG_SG_SG_bbb
	.p2align	8
	.type	_ZN9rocsparseL26csrgemm_fill_block_per_rowILj256ELj32ELj512ELj137ELj32Eii21rocsparse_complex_numIdEEEvT5_PKS3_S5_NS_24const_host_device_scalarIT6_EEPKT4_S5_PKS7_SB_S5_SD_S8_SB_S5_SD_SB_PS3_PS7_21rocsparse_index_base_SG_SG_SG_bbb,@function
_ZN9rocsparseL26csrgemm_fill_block_per_rowILj256ELj32ELj512ELj137ELj32Eii21rocsparse_complex_numIdEEEvT5_PKS3_S5_NS_24const_host_device_scalarIT6_EEPKT4_S5_PKS7_SB_S5_SD_S8_SB_S5_SD_SB_PS3_PS7_21rocsparse_index_base_SG_SG_SG_bbb: ; @_ZN9rocsparseL26csrgemm_fill_block_per_rowILj256ELj32ELj512ELj137ELj32Eii21rocsparse_complex_numIdEEEvT5_PKS3_S5_NS_24const_host_device_scalarIT6_EEPKT4_S5_PKS7_SB_S5_SD_S8_SB_S5_SD_SB_PS3_PS7_21rocsparse_index_base_SG_SG_SG_bbb
; %bb.0:
	s_clause 0x2
	s_load_b32 s12, s[0:1], 0xa8
	s_load_b128 s[8:11], s[0:1], 0x18
	s_load_b128 s[4:7], s[0:1], 0x58
	v_mov_b32_e32 v1, 0
	v_mov_b32_e32 v2, 0
	s_waitcnt lgkmcnt(0)
	s_bitcmp1_b32 s12, 0
	v_mov_b32_e32 v3, s8
	s_cselect_b32 s13, -1, 0
	s_bitcmp1_b32 s12, 16
	v_dual_mov_b32 v6, v2 :: v_dual_mov_b32 v5, v1
	s_cselect_b32 s2, -1, 0
	v_mov_b32_e32 v4, s9
	s_xor_b32 s3, s2, -1
	v_dual_mov_b32 v10, s5 :: v_dual_mov_b32 v9, s4
	v_cndmask_b32_e64 v7, 0, 1, s3
	s_bitcmp0_b32 s12, 0
	s_clause 0x1
	scratch_store_b64 off, v[3:4], off offset:16
	scratch_store_b64 off, v[9:10], off offset:24
	v_cmp_ne_u32_e32 vcc_lo, 1, v7
	v_dual_mov_b32 v8, v2 :: v_dual_mov_b32 v7, v1
	s_cbranch_scc1 .LBB71_3
; %bb.1:
	s_mov_b64 s[16:17], src_private_base
	s_and_b32 s14, s2, exec_lo
	s_cselect_b32 s14, s17, s9
	s_delay_alu instid0(SALU_CYCLE_1) | instskip(SKIP_2) | instid1(VALU_DEP_2)
	v_dual_mov_b32 v3, 16 :: v_dual_mov_b32 v4, s14
	v_dual_mov_b32 v7, s10 :: v_dual_mov_b32 v8, s11
	s_and_b32 vcc_lo, exec_lo, vcc_lo
	v_cndmask_b32_e64 v3, s8, v3, s2
	flat_load_b64 v[5:6], v[3:4]
	s_cbranch_vccnz .LBB71_3
; %bb.2:
	v_dual_mov_b32 v3, s8 :: v_dual_mov_b32 v4, s9
	flat_load_b64 v[7:8], v[3:4] offset:8
.LBB71_3:
	s_load_b128 s[24:27], s[0:1], 0x98
	s_bitcmp1_b32 s12, 8
	v_dual_mov_b32 v4, v2 :: v_dual_mov_b32 v3, v1
	s_cselect_b32 s33, -1, 0
	s_bfe_u32 s8, s12, 0x10008
	s_delay_alu instid0(SALU_CYCLE_1)
	s_cmp_eq_u32 s8, 0
	s_cbranch_scc1 .LBB71_6
; %bb.4:
	s_mov_b64 s[8:9], src_private_base
	s_and_b32 s8, s2, exec_lo
	s_cselect_b32 s8, s9, s5
	s_delay_alu instid0(SALU_CYCLE_1) | instskip(SKIP_1) | instid1(VALU_DEP_1)
	v_dual_mov_b32 v1, 24 :: v_dual_mov_b32 v2, s8
	s_and_not1_b32 vcc_lo, exec_lo, s3
	v_cndmask_b32_e64 v1, s4, v1, s2
	flat_load_b64 v[3:4], v[1:2]
	v_dual_mov_b32 v1, s6 :: v_dual_mov_b32 v2, s7
	s_cbranch_vccnz .LBB71_6
; %bb.5:
	v_dual_mov_b32 v1, s4 :: v_dual_mov_b32 v2, s5
	flat_load_b64 v[1:2], v[1:2] offset:8
.LBB71_6:
	s_clause 0x5
	s_load_b128 s[28:31], s[0:1], 0x88
	s_load_b256 s[4:11], s[0:1], 0x68
	s_load_b128 s[36:39], s[0:1], 0x48
	s_load_b256 s[16:23], s[0:1], 0x28
	s_load_b128 s[40:43], s[0:1], 0x8
	s_load_b32 s14, s[0:1], 0x0
	v_cmp_gt_u32_e64 s0, 0x200, v0
	v_lshlrev_b32_e32 v25, 4, v0
	v_or_b32_e32 v23, 0xffffff00, v0
	v_lshl_add_u32 v24, v0, 2, 0
	s_delay_alu instid0(VALU_DEP_4)
	s_and_saveexec_b32 s1, s0
	s_cbranch_execz .LBB71_9
; %bb.7:
	s_mov_b32 s2, 0
	v_add3_u32 v13, v25, 0, 0x800
	s_mov_b32 s3, s2
	s_mov_b32 s34, s2
	;; [unrolled: 1-line block ×3, first 2 shown]
	v_dual_mov_b32 v10, s3 :: v_dual_mov_b32 v11, s34
	v_or_b32_e32 v14, 0xffffff00, v0
	v_lshl_add_u32 v15, v0, 2, 0
	s_waitcnt lgkmcnt(0)
	v_dual_mov_b32 v16, s14 :: v_dual_mov_b32 v9, s2
	v_mov_b32_e32 v12, s35
.LBB71_8:                               ; =>This Inner Loop Header: Depth=1
	v_add_co_u32 v14, s3, 0x100, v14
	s_delay_alu instid0(VALU_DEP_1)
	s_xor_b32 s3, s3, -1
	ds_store_b32 v15, v16
	ds_store_2addr_b64 v13, v[9:10], v[11:12] offset1:1
	v_add_nc_u32_e32 v13, 0x1000, v13
	v_add_nc_u32_e32 v15, 0x400, v15
	s_and_b32 s3, exec_lo, s3
	s_delay_alu instid0(SALU_CYCLE_1) | instskip(NEXT) | instid1(SALU_CYCLE_1)
	s_or_b32 s2, s3, s2
	s_and_not1_b32 exec_lo, exec_lo, s2
	s_cbranch_execnz .LBB71_8
.LBB71_9:
	s_or_b32 exec_lo, exec_lo, s1
	s_waitcnt vmcnt(0) lgkmcnt(0)
	s_waitcnt_vscnt null, 0x0
	s_barrier
	buffer_gl0_inv
	s_load_b32 s1, s[40:41], 0x0
	s_mov_b32 s3, 0
	v_lshrrev_b32_e32 v26, 5, v0
	s_waitcnt lgkmcnt(0)
	s_add_i32 s2, s1, s15
	s_delay_alu instid0(SALU_CYCLE_1) | instskip(NEXT) | instid1(SALU_CYCLE_1)
	s_lshl_b64 s[2:3], s[2:3], 2
	s_add_u32 s2, s42, s2
	s_addc_u32 s3, s43, s3
	s_and_b32 vcc_lo, exec_lo, s13
	s_load_b32 s12, s[2:3], 0x0
	s_cbranch_vccz .LBB71_37
; %bb.10:
	s_waitcnt lgkmcnt(0)
	s_ashr_i32 s13, s12, 31
	v_subrev_nc_u32_e32 v9, s24, v26
	s_lshl_b64 s[2:3], s[12:13], 2
	s_delay_alu instid0(SALU_CYCLE_1)
	s_add_u32 s2, s16, s2
	s_addc_u32 s3, s17, s3
	s_load_b64 s[2:3], s[2:3], 0x0
	s_waitcnt lgkmcnt(0)
	v_add_nc_u32_e32 v9, s2, v9
	s_sub_i32 s1, s3, s24
	s_mov_b32 s2, exec_lo
	s_delay_alu instid0(VALU_DEP_1)
	v_cmpx_gt_i32_e64 s1, v9
	s_cbranch_execz .LBB71_36
; %bb.11:
	v_and_b32_e32 v10, 31, v0
	s_mov_b32 s3, 0
	s_delay_alu instid0(VALU_DEP_1)
	v_subrev_nc_u32_e32 v27, s25, v10
	s_branch .LBB71_13
.LBB71_12:                              ;   in Loop: Header=BB71_13 Depth=1
	s_or_b32 exec_lo, exec_lo, s13
	v_add_nc_u32_e32 v9, 8, v9
	s_delay_alu instid0(VALU_DEP_1) | instskip(SKIP_1) | instid1(SALU_CYCLE_1)
	v_cmp_le_i32_e32 vcc_lo, s1, v9
	s_or_b32 s3, vcc_lo, s3
	s_and_not1_b32 exec_lo, exec_lo, s3
	s_cbranch_execz .LBB71_36
.LBB71_13:                              ; =>This Loop Header: Depth=1
                                        ;     Child Loop BB71_16 Depth 2
                                        ;       Child Loop BB71_18 Depth 3
                                        ;         Child Loop BB71_24 Depth 4
                                        ;         Child Loop BB71_26 Depth 4
	;; [unrolled: 1-line block ×4, first 2 shown]
	v_ashrrev_i32_e32 v10, 31, v9
	s_mov_b32 s13, exec_lo
	s_delay_alu instid0(VALU_DEP_1) | instskip(NEXT) | instid1(VALU_DEP_1)
	v_lshlrev_b64 v[11:12], 2, v[9:10]
	v_add_co_u32 v11, vcc_lo, s18, v11
	s_delay_alu instid0(VALU_DEP_2) | instskip(SKIP_3) | instid1(VALU_DEP_1)
	v_add_co_ci_u32_e32 v12, vcc_lo, s19, v12, vcc_lo
	global_load_b32 v11, v[11:12], off
	s_waitcnt vmcnt(0)
	v_subrev_nc_u32_e32 v11, s24, v11
	v_ashrrev_i32_e32 v12, 31, v11
	s_delay_alu instid0(VALU_DEP_1) | instskip(NEXT) | instid1(VALU_DEP_1)
	v_lshlrev_b64 v[11:12], 2, v[11:12]
	v_add_co_u32 v11, vcc_lo, s22, v11
	s_delay_alu instid0(VALU_DEP_2) | instskip(SKIP_4) | instid1(VALU_DEP_1)
	v_add_co_ci_u32_e32 v12, vcc_lo, s23, v12, vcc_lo
	global_load_b64 v[11:12], v[11:12], off
	s_waitcnt vmcnt(0)
	v_subrev_nc_u32_e32 v28, s25, v12
	v_add_nc_u32_e32 v11, v11, v27
	v_cmpx_lt_i32_e64 v11, v28
	s_cbranch_execz .LBB71_12
; %bb.14:                               ;   in Loop: Header=BB71_13 Depth=1
	v_lshlrev_b64 v[12:13], 4, v[9:10]
	s_mov_b32 s15, 0
	s_delay_alu instid0(VALU_DEP_1) | instskip(NEXT) | instid1(VALU_DEP_2)
	v_add_co_u32 v12, vcc_lo, s20, v12
	v_add_co_ci_u32_e32 v13, vcc_lo, s21, v13, vcc_lo
	global_load_b128 v[15:18], v[12:13], off
	s_waitcnt vmcnt(0)
	v_mul_f64 v[12:13], v[17:18], -v[7:8]
	v_mul_f64 v[17:18], v[5:6], v[17:18]
	s_delay_alu instid0(VALU_DEP_2) | instskip(NEXT) | instid1(VALU_DEP_2)
	v_fma_f64 v[13:14], v[5:6], v[15:16], v[12:13]
	v_fma_f64 v[15:16], v[7:8], v[15:16], v[17:18]
	s_branch .LBB71_16
.LBB71_15:                              ;   in Loop: Header=BB71_16 Depth=2
	s_or_b32 exec_lo, exec_lo, s16
	v_add_nc_u32_e32 v11, 32, v11
	s_delay_alu instid0(VALU_DEP_1) | instskip(SKIP_1) | instid1(SALU_CYCLE_1)
	v_cmp_ge_i32_e32 vcc_lo, v11, v28
	s_or_b32 s15, vcc_lo, s15
	s_and_not1_b32 exec_lo, exec_lo, s15
	s_cbranch_execz .LBB71_12
.LBB71_16:                              ;   Parent Loop BB71_13 Depth=1
                                        ; =>  This Loop Header: Depth=2
                                        ;       Child Loop BB71_18 Depth 3
                                        ;         Child Loop BB71_24 Depth 4
                                        ;         Child Loop BB71_26 Depth 4
	;; [unrolled: 1-line block ×4, first 2 shown]
	v_ashrrev_i32_e32 v12, 31, v11
	s_mov_b32 s16, 0
	s_delay_alu instid0(VALU_DEP_1) | instskip(NEXT) | instid1(VALU_DEP_1)
	v_lshlrev_b64 v[17:18], 4, v[11:12]
	v_add_co_u32 v17, vcc_lo, s38, v17
	s_delay_alu instid0(VALU_DEP_2) | instskip(SKIP_2) | instid1(VALU_DEP_1)
	v_add_co_ci_u32_e32 v18, vcc_lo, s39, v18, vcc_lo
	global_load_b128 v[19:22], v[17:18], off
	v_lshlrev_b64 v[17:18], 2, v[11:12]
	v_add_co_u32 v17, vcc_lo, s36, v17
	s_delay_alu instid0(VALU_DEP_2)
	v_add_co_ci_u32_e32 v18, vcc_lo, s37, v18, vcc_lo
	global_load_b32 v10, v[17:18], off
	s_waitcnt vmcnt(1)
	v_mul_f64 v[17:18], v[21:22], -v[15:16]
	v_mul_f64 v[21:22], v[13:14], v[21:22]
	s_waitcnt vmcnt(0)
	v_subrev_nc_u32_e32 v10, s25, v10
	s_delay_alu instid0(VALU_DEP_1) | instskip(NEXT) | instid1(VALU_DEP_1)
	v_mul_lo_u32 v12, 0x89, v10
	v_and_b32_e32 v12, 0x1ff, v12
	v_fma_f64 v[17:18], v[13:14], v[19:20], v[17:18]
	v_fma_f64 v[19:20], v[15:16], v[19:20], v[21:22]
	s_branch .LBB71_18
.LBB71_17:                              ;   in Loop: Header=BB71_18 Depth=3
	s_or_b32 exec_lo, exec_lo, s17
	s_xor_b32 s17, s34, -1
	s_delay_alu instid0(SALU_CYCLE_1) | instskip(NEXT) | instid1(SALU_CYCLE_1)
	s_and_b32 s17, exec_lo, s17
	s_or_b32 s16, s17, s16
	s_delay_alu instid0(SALU_CYCLE_1)
	s_and_not1_b32 exec_lo, exec_lo, s16
	s_cbranch_execz .LBB71_15
.LBB71_18:                              ;   Parent Loop BB71_13 Depth=1
                                        ;     Parent Loop BB71_16 Depth=2
                                        ; =>    This Loop Header: Depth=3
                                        ;         Child Loop BB71_24 Depth 4
                                        ;         Child Loop BB71_26 Depth 4
	;; [unrolled: 1-line block ×4, first 2 shown]
	s_delay_alu instid0(VALU_DEP_3)
	v_lshl_add_u32 v21, v12, 2, 0
	s_mov_b32 s17, exec_lo
                                        ; implicit-def: $sgpr34
	ds_load_b32 v22, v21
	s_waitcnt lgkmcnt(0)
	v_cmpx_ne_u32_e64 v22, v10
	s_xor_b32 s17, exec_lo, s17
	s_cbranch_execz .LBB71_30
; %bb.19:                               ;   in Loop: Header=BB71_18 Depth=3
	s_mov_b32 s35, exec_lo
                                        ; implicit-def: $sgpr34
	v_cmpx_ne_u32_e64 s14, v22
	s_xor_b32 s35, exec_lo, s35
; %bb.20:                               ;   in Loop: Header=BB71_18 Depth=3
	v_add_nc_u32_e32 v12, 1, v12
	s_mov_b32 s34, -1
                                        ; implicit-def: $vgpr21
	s_delay_alu instid0(VALU_DEP_1)
	v_and_b32_e32 v12, 0x1ff, v12
; %bb.21:                               ;   in Loop: Header=BB71_18 Depth=3
	s_and_not1_saveexec_b32 s35, s35
	s_cbranch_execz .LBB71_29
; %bb.22:                               ;   in Loop: Header=BB71_18 Depth=3
	v_mov_b32_e32 v22, s14
	s_mov_b32 s41, -1
	s_mov_b32 s40, exec_lo
	ds_cmpstore_rtn_b32 v22, v21, v10, v22
	s_waitcnt lgkmcnt(0)
	v_cmpx_eq_u32_e64 s14, v22
	s_cbranch_execz .LBB71_28
; %bb.23:                               ;   in Loop: Header=BB71_18 Depth=3
	v_mul_lo_u32 v22, v12, 12
	s_mov_b32 s41, 0
	s_delay_alu instid0(VALU_DEP_1)
	v_add_nc_u32_e32 v29, v21, v22
	ds_load_b64 v[21:22], v29 offset:2048
.LBB71_24:                              ;   Parent Loop BB71_13 Depth=1
                                        ;     Parent Loop BB71_16 Depth=2
                                        ;       Parent Loop BB71_18 Depth=3
                                        ; =>      This Inner Loop Header: Depth=4
	s_waitcnt lgkmcnt(0)
	v_add_f64 v[30:31], v[21:22], v[17:18]
	ds_cmpstore_rtn_b64 v[30:31], v29, v[30:31], v[21:22] offset:2048
	s_waitcnt lgkmcnt(0)
	v_cmp_eq_u64_e32 vcc_lo, v[30:31], v[21:22]
	v_dual_mov_b32 v21, v30 :: v_dual_mov_b32 v22, v31
	s_or_b32 s41, vcc_lo, s41
	s_delay_alu instid0(SALU_CYCLE_1)
	s_and_not1_b32 exec_lo, exec_lo, s41
	s_cbranch_execnz .LBB71_24
; %bb.25:                               ;   in Loop: Header=BB71_18 Depth=3
	s_or_b32 exec_lo, exec_lo, s41
	ds_load_b64 v[21:22], v29 offset:2056
	s_mov_b32 s41, 0
.LBB71_26:                              ;   Parent Loop BB71_13 Depth=1
                                        ;     Parent Loop BB71_16 Depth=2
                                        ;       Parent Loop BB71_18 Depth=3
                                        ; =>      This Inner Loop Header: Depth=4
	s_waitcnt lgkmcnt(0)
	v_add_f64 v[30:31], v[21:22], v[19:20]
	ds_cmpstore_rtn_b64 v[30:31], v29, v[30:31], v[21:22] offset:2056
	s_waitcnt lgkmcnt(0)
	v_cmp_eq_u64_e32 vcc_lo, v[30:31], v[21:22]
	v_dual_mov_b32 v21, v30 :: v_dual_mov_b32 v22, v31
	s_or_b32 s41, vcc_lo, s41
	s_delay_alu instid0(SALU_CYCLE_1)
	s_and_not1_b32 exec_lo, exec_lo, s41
	s_cbranch_execnz .LBB71_26
; %bb.27:                               ;   in Loop: Header=BB71_18 Depth=3
	s_or_b32 exec_lo, exec_lo, s41
	s_delay_alu instid0(SALU_CYCLE_1)
	s_xor_b32 s41, exec_lo, -1
.LBB71_28:                              ;   in Loop: Header=BB71_18 Depth=3
	s_or_b32 exec_lo, exec_lo, s40
	s_delay_alu instid0(SALU_CYCLE_1) | instskip(SKIP_1) | instid1(SALU_CYCLE_1)
	s_and_not1_b32 s34, s34, exec_lo
	s_and_b32 s40, s41, exec_lo
	s_or_b32 s34, s34, s40
.LBB71_29:                              ;   in Loop: Header=BB71_18 Depth=3
	s_or_b32 exec_lo, exec_lo, s35
	s_delay_alu instid0(SALU_CYCLE_1)
	s_and_b32 s34, s34, exec_lo
                                        ; implicit-def: $vgpr21
.LBB71_30:                              ;   in Loop: Header=BB71_18 Depth=3
	s_and_not1_saveexec_b32 s17, s17
	s_cbranch_execz .LBB71_17
; %bb.31:                               ;   in Loop: Header=BB71_18 Depth=3
	v_mul_lo_u32 v22, v12, 12
	s_mov_b32 s35, 0
	s_delay_alu instid0(VALU_DEP_1)
	v_add_nc_u32_e32 v29, v21, v22
	ds_load_b64 v[21:22], v29 offset:2048
.LBB71_32:                              ;   Parent Loop BB71_13 Depth=1
                                        ;     Parent Loop BB71_16 Depth=2
                                        ;       Parent Loop BB71_18 Depth=3
                                        ; =>      This Inner Loop Header: Depth=4
	s_waitcnt lgkmcnt(0)
	v_add_f64 v[30:31], v[21:22], v[17:18]
	ds_cmpstore_rtn_b64 v[30:31], v29, v[30:31], v[21:22] offset:2048
	s_waitcnt lgkmcnt(0)
	v_cmp_eq_u64_e32 vcc_lo, v[30:31], v[21:22]
	v_dual_mov_b32 v21, v30 :: v_dual_mov_b32 v22, v31
	s_or_b32 s35, vcc_lo, s35
	s_delay_alu instid0(SALU_CYCLE_1)
	s_and_not1_b32 exec_lo, exec_lo, s35
	s_cbranch_execnz .LBB71_32
; %bb.33:                               ;   in Loop: Header=BB71_18 Depth=3
	s_or_b32 exec_lo, exec_lo, s35
	ds_load_b64 v[21:22], v29 offset:2056
	s_mov_b32 s35, 0
.LBB71_34:                              ;   Parent Loop BB71_13 Depth=1
                                        ;     Parent Loop BB71_16 Depth=2
                                        ;       Parent Loop BB71_18 Depth=3
                                        ; =>      This Inner Loop Header: Depth=4
	s_waitcnt lgkmcnt(0)
	v_add_f64 v[30:31], v[21:22], v[19:20]
	ds_cmpstore_rtn_b64 v[30:31], v29, v[30:31], v[21:22] offset:2056
	s_waitcnt lgkmcnt(0)
	v_cmp_eq_u64_e32 vcc_lo, v[30:31], v[21:22]
	v_dual_mov_b32 v21, v30 :: v_dual_mov_b32 v22, v31
	s_or_b32 s35, vcc_lo, s35
	s_delay_alu instid0(SALU_CYCLE_1)
	s_and_not1_b32 exec_lo, exec_lo, s35
	s_cbranch_execnz .LBB71_34
; %bb.35:                               ;   in Loop: Header=BB71_18 Depth=3
	s_or_b32 exec_lo, exec_lo, s35
	s_delay_alu instid0(SALU_CYCLE_1)
	s_and_not1_b32 s34, s34, exec_lo
	s_branch .LBB71_17
.LBB71_36:
	s_or_b32 exec_lo, exec_lo, s2
.LBB71_37:
	s_delay_alu instid0(SALU_CYCLE_1)
	s_and_not1_b32 vcc_lo, exec_lo, s33
	s_cbranch_vccnz .LBB71_62
; %bb.38:
	s_waitcnt lgkmcnt(0)
	s_ashr_i32 s13, s12, 31
	v_subrev_nc_u32_e32 v5, s27, v0
	s_lshl_b64 s[2:3], s[12:13], 2
	s_delay_alu instid0(SALU_CYCLE_1)
	s_add_u32 s2, s4, s2
	s_addc_u32 s3, s5, s3
	s_load_b64 s[2:3], s[2:3], 0x0
	s_waitcnt lgkmcnt(0)
	v_add_nc_u32_e32 v5, s2, v5
	s_sub_i32 s1, s3, s27
	s_mov_b32 s2, exec_lo
	s_delay_alu instid0(VALU_DEP_1)
	v_cmpx_gt_i32_e64 s1, v5
	s_cbranch_execz .LBB71_61
; %bb.39:
	s_mov_b32 s3, 0
	s_branch .LBB71_41
.LBB71_40:                              ;   in Loop: Header=BB71_41 Depth=1
	s_or_b32 exec_lo, exec_lo, s4
	v_add_nc_u32_e32 v5, 0x100, v5
	s_delay_alu instid0(VALU_DEP_1) | instskip(SKIP_1) | instid1(SALU_CYCLE_1)
	v_cmp_le_i32_e32 vcc_lo, s1, v5
	s_or_b32 s3, vcc_lo, s3
	s_and_not1_b32 exec_lo, exec_lo, s3
	s_cbranch_execz .LBB71_61
.LBB71_41:                              ; =>This Loop Header: Depth=1
                                        ;     Child Loop BB71_43 Depth 2
                                        ;       Child Loop BB71_49 Depth 3
                                        ;       Child Loop BB71_51 Depth 3
	;; [unrolled: 1-line block ×4, first 2 shown]
	v_ashrrev_i32_e32 v6, 31, v5
	s_mov_b32 s4, 0
	s_delay_alu instid0(VALU_DEP_1) | instskip(NEXT) | instid1(VALU_DEP_1)
	v_lshlrev_b64 v[7:8], 4, v[5:6]
	v_add_co_u32 v7, vcc_lo, s8, v7
	s_delay_alu instid0(VALU_DEP_2) | instskip(SKIP_2) | instid1(VALU_DEP_1)
	v_add_co_ci_u32_e32 v8, vcc_lo, s9, v8, vcc_lo
	global_load_b128 v[8:11], v[7:8], off
	v_lshlrev_b64 v[6:7], 2, v[5:6]
	v_add_co_u32 v6, vcc_lo, s6, v6
	s_delay_alu instid0(VALU_DEP_2)
	v_add_co_ci_u32_e32 v7, vcc_lo, s7, v7, vcc_lo
	global_load_b32 v12, v[6:7], off
	s_waitcnt vmcnt(1)
	v_mul_f64 v[6:7], v[10:11], -v[1:2]
	v_mul_f64 v[10:11], v[3:4], v[10:11]
	s_waitcnt vmcnt(0)
	v_subrev_nc_u32_e32 v12, s27, v12
	s_delay_alu instid0(VALU_DEP_3) | instskip(NEXT) | instid1(VALU_DEP_3)
	v_fma_f64 v[6:7], v[3:4], v[8:9], v[6:7]
	v_fma_f64 v[8:9], v[1:2], v[8:9], v[10:11]
	s_delay_alu instid0(VALU_DEP_3) | instskip(NEXT) | instid1(VALU_DEP_1)
	v_mul_lo_u32 v10, 0x89, v12
	v_and_b32_e32 v13, 0x1ff, v10
	s_branch .LBB71_43
.LBB71_42:                              ;   in Loop: Header=BB71_43 Depth=2
	s_or_b32 exec_lo, exec_lo, s5
	s_xor_b32 s5, s13, -1
	s_delay_alu instid0(SALU_CYCLE_1) | instskip(NEXT) | instid1(SALU_CYCLE_1)
	s_and_b32 s5, exec_lo, s5
	s_or_b32 s4, s5, s4
	s_delay_alu instid0(SALU_CYCLE_1)
	s_and_not1_b32 exec_lo, exec_lo, s4
	s_cbranch_execz .LBB71_40
.LBB71_43:                              ;   Parent Loop BB71_41 Depth=1
                                        ; =>  This Loop Header: Depth=2
                                        ;       Child Loop BB71_49 Depth 3
                                        ;       Child Loop BB71_51 Depth 3
	;; [unrolled: 1-line block ×4, first 2 shown]
	s_delay_alu instid0(VALU_DEP_1)
	v_lshl_add_u32 v10, v13, 2, 0
	s_mov_b32 s5, exec_lo
                                        ; implicit-def: $sgpr13
	ds_load_b32 v11, v10
	s_waitcnt lgkmcnt(0)
	v_cmpx_ne_u32_e64 v11, v12
	s_xor_b32 s5, exec_lo, s5
	s_cbranch_execz .LBB71_55
; %bb.44:                               ;   in Loop: Header=BB71_43 Depth=2
	s_mov_b32 s15, exec_lo
                                        ; implicit-def: $sgpr13
	v_cmpx_ne_u32_e64 s14, v11
	s_xor_b32 s15, exec_lo, s15
; %bb.45:                               ;   in Loop: Header=BB71_43 Depth=2
	v_add_nc_u32_e32 v10, 1, v13
	s_mov_b32 s13, -1
	s_delay_alu instid0(VALU_DEP_1)
	v_and_b32_e32 v13, 0x1ff, v10
                                        ; implicit-def: $vgpr10
; %bb.46:                               ;   in Loop: Header=BB71_43 Depth=2
	s_and_not1_saveexec_b32 s15, s15
	s_cbranch_execz .LBB71_54
; %bb.47:                               ;   in Loop: Header=BB71_43 Depth=2
	v_mov_b32_e32 v11, s14
	s_mov_b32 s17, -1
	s_mov_b32 s16, exec_lo
	ds_cmpstore_rtn_b32 v11, v10, v12, v11
	s_waitcnt lgkmcnt(0)
	v_cmpx_eq_u32_e64 s14, v11
	s_cbranch_execz .LBB71_53
; %bb.48:                               ;   in Loop: Header=BB71_43 Depth=2
	v_mul_lo_u32 v11, v13, 12
	s_mov_b32 s17, 0
	s_delay_alu instid0(VALU_DEP_1)
	v_add_nc_u32_e32 v14, v10, v11
	ds_load_b64 v[10:11], v14 offset:2048
.LBB71_49:                              ;   Parent Loop BB71_41 Depth=1
                                        ;     Parent Loop BB71_43 Depth=2
                                        ; =>    This Inner Loop Header: Depth=3
	s_waitcnt lgkmcnt(0)
	v_add_f64 v[15:16], v[10:11], v[6:7]
	ds_cmpstore_rtn_b64 v[15:16], v14, v[15:16], v[10:11] offset:2048
	s_waitcnt lgkmcnt(0)
	v_cmp_eq_u64_e32 vcc_lo, v[15:16], v[10:11]
	v_dual_mov_b32 v10, v15 :: v_dual_mov_b32 v11, v16
	s_or_b32 s17, vcc_lo, s17
	s_delay_alu instid0(SALU_CYCLE_1)
	s_and_not1_b32 exec_lo, exec_lo, s17
	s_cbranch_execnz .LBB71_49
; %bb.50:                               ;   in Loop: Header=BB71_43 Depth=2
	s_or_b32 exec_lo, exec_lo, s17
	ds_load_b64 v[10:11], v14 offset:2056
	s_mov_b32 s17, 0
.LBB71_51:                              ;   Parent Loop BB71_41 Depth=1
                                        ;     Parent Loop BB71_43 Depth=2
                                        ; =>    This Inner Loop Header: Depth=3
	s_waitcnt lgkmcnt(0)
	v_add_f64 v[15:16], v[10:11], v[8:9]
	ds_cmpstore_rtn_b64 v[15:16], v14, v[15:16], v[10:11] offset:2056
	s_waitcnt lgkmcnt(0)
	v_cmp_eq_u64_e32 vcc_lo, v[15:16], v[10:11]
	v_dual_mov_b32 v10, v15 :: v_dual_mov_b32 v11, v16
	s_or_b32 s17, vcc_lo, s17
	s_delay_alu instid0(SALU_CYCLE_1)
	s_and_not1_b32 exec_lo, exec_lo, s17
	s_cbranch_execnz .LBB71_51
; %bb.52:                               ;   in Loop: Header=BB71_43 Depth=2
	s_or_b32 exec_lo, exec_lo, s17
	s_delay_alu instid0(SALU_CYCLE_1)
	s_xor_b32 s17, exec_lo, -1
.LBB71_53:                              ;   in Loop: Header=BB71_43 Depth=2
	s_or_b32 exec_lo, exec_lo, s16
	s_delay_alu instid0(SALU_CYCLE_1) | instskip(SKIP_1) | instid1(SALU_CYCLE_1)
	s_and_not1_b32 s13, s13, exec_lo
	s_and_b32 s16, s17, exec_lo
	s_or_b32 s13, s13, s16
.LBB71_54:                              ;   in Loop: Header=BB71_43 Depth=2
	s_or_b32 exec_lo, exec_lo, s15
	s_delay_alu instid0(SALU_CYCLE_1)
	s_and_b32 s13, s13, exec_lo
                                        ; implicit-def: $vgpr10
.LBB71_55:                              ;   in Loop: Header=BB71_43 Depth=2
	s_and_not1_saveexec_b32 s5, s5
	s_cbranch_execz .LBB71_42
; %bb.56:                               ;   in Loop: Header=BB71_43 Depth=2
	v_mul_lo_u32 v11, v13, 12
	s_mov_b32 s15, 0
	s_delay_alu instid0(VALU_DEP_1)
	v_add_nc_u32_e32 v14, v10, v11
	ds_load_b64 v[10:11], v14 offset:2048
.LBB71_57:                              ;   Parent Loop BB71_41 Depth=1
                                        ;     Parent Loop BB71_43 Depth=2
                                        ; =>    This Inner Loop Header: Depth=3
	s_waitcnt lgkmcnt(0)
	v_add_f64 v[15:16], v[10:11], v[6:7]
	ds_cmpstore_rtn_b64 v[15:16], v14, v[15:16], v[10:11] offset:2048
	s_waitcnt lgkmcnt(0)
	v_cmp_eq_u64_e32 vcc_lo, v[15:16], v[10:11]
	v_dual_mov_b32 v10, v15 :: v_dual_mov_b32 v11, v16
	s_or_b32 s15, vcc_lo, s15
	s_delay_alu instid0(SALU_CYCLE_1)
	s_and_not1_b32 exec_lo, exec_lo, s15
	s_cbranch_execnz .LBB71_57
; %bb.58:                               ;   in Loop: Header=BB71_43 Depth=2
	s_or_b32 exec_lo, exec_lo, s15
	ds_load_b64 v[10:11], v14 offset:2056
	s_mov_b32 s15, 0
.LBB71_59:                              ;   Parent Loop BB71_41 Depth=1
                                        ;     Parent Loop BB71_43 Depth=2
                                        ; =>    This Inner Loop Header: Depth=3
	s_waitcnt lgkmcnt(0)
	v_add_f64 v[15:16], v[10:11], v[8:9]
	ds_cmpstore_rtn_b64 v[15:16], v14, v[15:16], v[10:11] offset:2056
	s_waitcnt lgkmcnt(0)
	v_cmp_eq_u64_e32 vcc_lo, v[15:16], v[10:11]
	v_dual_mov_b32 v10, v15 :: v_dual_mov_b32 v11, v16
	s_or_b32 s15, vcc_lo, s15
	s_delay_alu instid0(SALU_CYCLE_1)
	s_and_not1_b32 exec_lo, exec_lo, s15
	s_cbranch_execnz .LBB71_59
; %bb.60:                               ;   in Loop: Header=BB71_43 Depth=2
	s_or_b32 exec_lo, exec_lo, s15
	s_delay_alu instid0(SALU_CYCLE_1)
	s_and_not1_b32 s13, s13, exec_lo
	s_branch .LBB71_42
.LBB71_61:
	s_or_b32 exec_lo, exec_lo, s2
.LBB71_62:
	s_waitcnt lgkmcnt(0)
	s_barrier
	buffer_gl0_inv
	s_and_saveexec_b32 s8, s0
	s_cbranch_execz .LBB71_83
; %bb.63:
	v_mbcnt_lo_u32_b32 v1, -1, 0
	v_lshl_add_u32 v3, v26, 2, 0
	v_cmp_eq_u32_e32 vcc_lo, 0xff, v0
	v_cmp_lt_u32_e64 s0, 31, v0
	v_cmp_lt_u32_e64 s1, 63, v0
	v_xor_b32_e32 v1, 63, v1
	v_cmp_lt_u32_e64 s2, 0x5f, v0
	v_cmp_lt_u32_e64 s3, 0x7f, v0
	;; [unrolled: 1-line block ×4, first 2 shown]
	v_lshrrev_b64 v[1:2], v1, -1
	v_cmp_lt_u32_e64 s6, 0xdf, v0
	v_add3_u32 v2, v25, 0, 0x800
	v_dual_mov_b32 v4, 0 :: v_dual_mov_b32 v5, 0
	s_mov_b32 s9, 0
	s_branch .LBB71_65
.LBB71_64:                              ;   in Loop: Header=BB71_65 Depth=1
	s_or_b32 exec_lo, exec_lo, s7
	s_waitcnt lgkmcnt(0)
	s_barrier
	buffer_gl0_inv
	ds_load_b32 v6, v4 offset:10268
	v_add_co_u32 v23, s7, 0x100, v23
	s_delay_alu instid0(VALU_DEP_1) | instskip(SKIP_3) | instid1(SALU_CYCLE_1)
	s_xor_b32 s7, s7, -1
	v_add_nc_u32_e32 v2, 0x1000, v2
	v_add_nc_u32_e32 v24, 0x400, v24
	s_and_b32 s7, exec_lo, s7
	s_or_b32 s9, s7, s9
	s_waitcnt lgkmcnt(0)
	v_add_nc_u32_e32 v5, v6, v5
	s_and_not1_b32 exec_lo, exec_lo, s9
	s_cbranch_execz .LBB71_83
.LBB71_65:                              ; =>This Inner Loop Header: Depth=1
	ds_load_b32 v6, v24
	ds_load_2addr_b64 v[7:10], v2 offset1:1
	s_waitcnt lgkmcnt(1)
	v_cmp_gt_i32_e64 s7, s14, v6
	s_waitcnt lgkmcnt(0)
	scratch_store_b128 off, v[7:10], off
	s_waitcnt_vscnt null, 0x0
	s_barrier
	buffer_gl0_inv
	s_bcnt1_i32_b32 s13, s7
	s_delay_alu instid0(SALU_CYCLE_1) | instskip(NEXT) | instid1(VALU_DEP_1)
	v_dual_mov_b32 v8, s13 :: v_dual_and_b32 v7, s7, v1
	v_bcnt_u32_b32 v7, v7, 0
	ds_store_b32 v3, v8 offset:10240
	s_waitcnt lgkmcnt(0)
	s_barrier
	buffer_gl0_inv
	s_and_saveexec_b32 s13, s0
	s_cbranch_execnz .LBB71_74
; %bb.66:                               ;   in Loop: Header=BB71_65 Depth=1
	s_or_b32 exec_lo, exec_lo, s13
	s_and_saveexec_b32 s13, s1
	s_cbranch_execnz .LBB71_75
.LBB71_67:                              ;   in Loop: Header=BB71_65 Depth=1
	s_or_b32 exec_lo, exec_lo, s13
	s_and_saveexec_b32 s13, s2
	s_cbranch_execnz .LBB71_76
.LBB71_68:                              ;   in Loop: Header=BB71_65 Depth=1
	s_or_b32 exec_lo, exec_lo, s13
	s_and_saveexec_b32 s13, s3
	s_cbranch_execnz .LBB71_77
.LBB71_69:                              ;   in Loop: Header=BB71_65 Depth=1
	s_or_b32 exec_lo, exec_lo, s13
	s_and_saveexec_b32 s13, s4
	s_cbranch_execnz .LBB71_78
.LBB71_70:                              ;   in Loop: Header=BB71_65 Depth=1
	s_or_b32 exec_lo, exec_lo, s13
	s_and_saveexec_b32 s13, s5
	s_cbranch_execnz .LBB71_79
.LBB71_71:                              ;   in Loop: Header=BB71_65 Depth=1
	s_or_b32 exec_lo, exec_lo, s13
	s_and_saveexec_b32 s13, s6
	s_cbranch_execnz .LBB71_80
.LBB71_72:                              ;   in Loop: Header=BB71_65 Depth=1
	s_or_b32 exec_lo, exec_lo, s13
	s_and_saveexec_b32 s13, s7
	s_cbranch_execnz .LBB71_81
.LBB71_73:                              ;   in Loop: Header=BB71_65 Depth=1
	s_or_b32 exec_lo, exec_lo, s13
	s_and_saveexec_b32 s7, vcc_lo
	s_cbranch_execz .LBB71_64
	s_branch .LBB71_82
.LBB71_74:                              ;   in Loop: Header=BB71_65 Depth=1
	ds_load_b32 v8, v4 offset:10240
	s_waitcnt lgkmcnt(0)
	v_add_nc_u32_e32 v7, v8, v7
	s_or_b32 exec_lo, exec_lo, s13
	s_and_saveexec_b32 s13, s1
	s_cbranch_execz .LBB71_67
.LBB71_75:                              ;   in Loop: Header=BB71_65 Depth=1
	ds_load_b32 v8, v4 offset:10244
	s_waitcnt lgkmcnt(0)
	v_add_nc_u32_e32 v7, v8, v7
	s_or_b32 exec_lo, exec_lo, s13
	s_and_saveexec_b32 s13, s2
	s_cbranch_execz .LBB71_68
.LBB71_76:                              ;   in Loop: Header=BB71_65 Depth=1
	ds_load_b32 v8, v4 offset:10248
	s_waitcnt lgkmcnt(0)
	v_add_nc_u32_e32 v7, v8, v7
	s_or_b32 exec_lo, exec_lo, s13
	s_and_saveexec_b32 s13, s3
	s_cbranch_execz .LBB71_69
.LBB71_77:                              ;   in Loop: Header=BB71_65 Depth=1
	ds_load_b32 v8, v4 offset:10252
	s_waitcnt lgkmcnt(0)
	v_add_nc_u32_e32 v7, v8, v7
	s_or_b32 exec_lo, exec_lo, s13
	s_and_saveexec_b32 s13, s4
	s_cbranch_execz .LBB71_70
.LBB71_78:                              ;   in Loop: Header=BB71_65 Depth=1
	ds_load_b32 v8, v4 offset:10256
	s_waitcnt lgkmcnt(0)
	v_add_nc_u32_e32 v7, v8, v7
	s_or_b32 exec_lo, exec_lo, s13
	s_and_saveexec_b32 s13, s5
	s_cbranch_execz .LBB71_71
.LBB71_79:                              ;   in Loop: Header=BB71_65 Depth=1
	ds_load_b32 v8, v4 offset:10260
	s_waitcnt lgkmcnt(0)
	v_add_nc_u32_e32 v7, v8, v7
	s_or_b32 exec_lo, exec_lo, s13
	s_and_saveexec_b32 s13, s6
	s_cbranch_execz .LBB71_72
.LBB71_80:                              ;   in Loop: Header=BB71_65 Depth=1
	ds_load_b32 v8, v4 offset:10264
	s_waitcnt lgkmcnt(0)
	v_add_nc_u32_e32 v7, v8, v7
	s_or_b32 exec_lo, exec_lo, s13
	s_and_saveexec_b32 s13, s7
	s_cbranch_execz .LBB71_73
.LBB71_81:                              ;   in Loop: Header=BB71_65 Depth=1
	scratch_load_b128 v[8:11], off, off
	v_add3_u32 v12, v5, -1, v7
	s_delay_alu instid0(VALU_DEP_1) | instskip(SKIP_1) | instid1(VALU_DEP_2)
	v_lshlrev_b32_e32 v13, 4, v12
	v_lshl_add_u32 v12, v12, 2, 0
	v_add3_u32 v13, 0, v13, 0x800
	ds_store_b32 v12, v6
	s_waitcnt vmcnt(0)
	ds_store_2addr_b64 v13, v[8:9], v[10:11] offset1:1
	s_or_b32 exec_lo, exec_lo, s13
	s_and_saveexec_b32 s7, vcc_lo
	s_cbranch_execz .LBB71_64
.LBB71_82:                              ;   in Loop: Header=BB71_65 Depth=1
	ds_store_b32 v4, v7 offset:10268
	s_branch .LBB71_64
.LBB71_83:
	s_or_b32 exec_lo, exec_lo, s8
	s_ashr_i32 s13, s12, 31
	s_mov_b32 s3, exec_lo
	s_lshl_b64 s[0:1], s[12:13], 2
	s_delay_alu instid0(SALU_CYCLE_1) | instskip(SKIP_4) | instid1(SALU_CYCLE_1)
	s_add_u32 s0, s10, s0
	s_addc_u32 s1, s11, s1
	s_load_b64 s[0:1], s[0:1], 0x0
	s_waitcnt lgkmcnt(0)
	s_sub_i32 s2, s1, s0
	v_cmpx_gt_i32_e64 s2, v0
	s_cbranch_execz .LBB71_93
; %bb.84:
	s_sub_i32 s3, s0, s26
	s_sub_i32 s0, s0, s1
	s_and_b32 s1, s2, 7
	s_cmp_lt_u32 s0, -7
	s_mov_b32 s7, 0
	s_cselect_b32 s4, -1, 0
	s_and_b32 s5, s2, -8
	s_cmp_lg_u32 s1, 0
	s_cselect_b32 s6, -1, 0
	s_branch .LBB71_86
.LBB71_85:                              ;   in Loop: Header=BB71_86 Depth=1
	v_mul_lo_u32 v4, v0, 12
	v_add_nc_u32_e32 v0, 0x100, v0
	s_waitcnt lgkmcnt(0)
	v_add_nc_u32_e32 v3, s26, v3
	s_delay_alu instid0(VALU_DEP_3) | instskip(SKIP_4) | instid1(VALU_DEP_2)
	v_add3_u32 v4, v2, v4, 0x800
	v_ashrrev_i32_e32 v2, 31, v1
	ds_load_2addr_b64 v[4:7], v4 offset1:1
	v_lshlrev_b64 v[8:9], 2, v[1:2]
	v_lshlrev_b64 v[1:2], 4, v[1:2]
	v_add_co_u32 v8, vcc_lo, s28, v8
	s_delay_alu instid0(VALU_DEP_3) | instskip(SKIP_1) | instid1(VALU_DEP_4)
	v_add_co_ci_u32_e32 v9, vcc_lo, s29, v9, vcc_lo
	v_cmp_le_i32_e32 vcc_lo, s2, v0
	v_add_co_u32 v1, s0, s30, v1
	s_delay_alu instid0(VALU_DEP_1)
	v_add_co_ci_u32_e64 v2, s0, s31, v2, s0
	s_or_b32 s7, vcc_lo, s7
	global_store_b32 v[8:9], v3, off
	s_waitcnt lgkmcnt(0)
	global_store_b128 v[1:2], v[4:7], off
	s_and_not1_b32 exec_lo, exec_lo, s7
	s_cbranch_execz .LBB71_93
.LBB71_86:                              ; =>This Loop Header: Depth=1
                                        ;     Child Loop BB71_88 Depth 2
                                        ;     Child Loop BB71_92 Depth 2
	v_lshl_add_u32 v2, v0, 2, 0
	v_mov_b32_e32 v1, s3
	s_and_not1_b32 vcc_lo, exec_lo, s4
	s_mov_b32 s0, 0
	ds_load_b32 v3, v2
	s_cbranch_vccnz .LBB71_90
; %bb.87:                               ;   in Loop: Header=BB71_86 Depth=1
	v_mov_b32_e32 v1, s3
	s_mov_b32 s8, 0
	s_set_inst_prefetch_distance 0x1
	.p2align	6
.LBB71_88:                              ;   Parent Loop BB71_86 Depth=1
                                        ; =>  This Inner Loop Header: Depth=2
	v_mov_b32_e32 v10, s8
	s_add_i32 s0, s0, 8
	s_add_i32 s8, s8, 32
	s_cmp_eq_u32 s5, s0
	ds_load_2addr_b32 v[4:5], v10 offset1:1
	ds_load_2addr_b32 v[6:7], v10 offset0:2 offset1:3
	ds_load_2addr_b32 v[8:9], v10 offset0:4 offset1:5
	;; [unrolled: 1-line block ×3, first 2 shown]
	s_waitcnt lgkmcnt(3)
	v_cmp_gt_i32_e32 vcc_lo, v3, v4
	v_cndmask_b32_e64 v4, 0, 1, vcc_lo
	s_waitcnt lgkmcnt(2)
	v_cmp_gt_i32_e32 vcc_lo, v3, v6
	v_cndmask_b32_e64 v6, 0, 1, vcc_lo
	v_cmp_gt_i32_e32 vcc_lo, v3, v5
	v_add_co_ci_u32_e32 v1, vcc_lo, v1, v4, vcc_lo
	s_waitcnt lgkmcnt(1)
	v_cmp_gt_i32_e32 vcc_lo, v3, v8
	v_cndmask_b32_e64 v4, 0, 1, vcc_lo
	v_cmp_gt_i32_e32 vcc_lo, v3, v7
	v_add_co_ci_u32_e32 v1, vcc_lo, v1, v6, vcc_lo
	;; [unrolled: 5-line block ×3, first 2 shown]
	v_cmp_gt_i32_e32 vcc_lo, v3, v11
	s_delay_alu instid0(VALU_DEP_2)
	v_add_co_ci_u32_e32 v1, vcc_lo, v1, v5, vcc_lo
	s_cbranch_scc0 .LBB71_88
; %bb.89:                               ;   in Loop: Header=BB71_86 Depth=1
	s_set_inst_prefetch_distance 0x2
	s_mov_b32 s0, s5
.LBB71_90:                              ;   in Loop: Header=BB71_86 Depth=1
	s_and_not1_b32 vcc_lo, exec_lo, s6
	s_cbranch_vccnz .LBB71_85
; %bb.91:                               ;   in Loop: Header=BB71_86 Depth=1
	s_lshl_b32 s0, s0, 2
	s_mov_b32 s8, s1
	s_add_i32 s0, s0, 0
.LBB71_92:                              ;   Parent Loop BB71_86 Depth=1
                                        ; =>  This Inner Loop Header: Depth=2
	s_delay_alu instid0(SALU_CYCLE_1)
	v_mov_b32_e32 v4, s0
	s_add_i32 s8, s8, -1
	s_add_i32 s0, s0, 4
	s_cmp_lg_u32 s8, 0
	ds_load_b32 v4, v4
	s_waitcnt lgkmcnt(0)
	v_cmp_gt_i32_e32 vcc_lo, v3, v4
	v_add_co_ci_u32_e32 v1, vcc_lo, 0, v1, vcc_lo
	s_cbranch_scc1 .LBB71_92
	s_branch .LBB71_85
.LBB71_93:
	s_nop 0
	s_sendmsg sendmsg(MSG_DEALLOC_VGPRS)
	s_endpgm
	.section	.rodata,"a",@progbits
	.p2align	6, 0x0
	.amdhsa_kernel _ZN9rocsparseL26csrgemm_fill_block_per_rowILj256ELj32ELj512ELj137ELj32Eii21rocsparse_complex_numIdEEEvT5_PKS3_S5_NS_24const_host_device_scalarIT6_EEPKT4_S5_PKS7_SB_S5_SD_S8_SB_S5_SD_SB_PS3_PS7_21rocsparse_index_base_SG_SG_SG_bbb
		.amdhsa_group_segment_fixed_size 0
		.amdhsa_private_segment_fixed_size 40
		.amdhsa_kernarg_size 172
		.amdhsa_user_sgpr_count 15
		.amdhsa_user_sgpr_dispatch_ptr 0
		.amdhsa_user_sgpr_queue_ptr 0
		.amdhsa_user_sgpr_kernarg_segment_ptr 1
		.amdhsa_user_sgpr_dispatch_id 0
		.amdhsa_user_sgpr_private_segment_size 0
		.amdhsa_wavefront_size32 1
		.amdhsa_uses_dynamic_stack 0
		.amdhsa_enable_private_segment 1
		.amdhsa_system_sgpr_workgroup_id_x 1
		.amdhsa_system_sgpr_workgroup_id_y 0
		.amdhsa_system_sgpr_workgroup_id_z 0
		.amdhsa_system_sgpr_workgroup_info 0
		.amdhsa_system_vgpr_workitem_id 0
		.amdhsa_next_free_vgpr 32
		.amdhsa_next_free_sgpr 44
		.amdhsa_reserve_vcc 1
		.amdhsa_float_round_mode_32 0
		.amdhsa_float_round_mode_16_64 0
		.amdhsa_float_denorm_mode_32 3
		.amdhsa_float_denorm_mode_16_64 3
		.amdhsa_dx10_clamp 1
		.amdhsa_ieee_mode 1
		.amdhsa_fp16_overflow 0
		.amdhsa_workgroup_processor_mode 1
		.amdhsa_memory_ordered 1
		.amdhsa_forward_progress 0
		.amdhsa_shared_vgpr_count 0
		.amdhsa_exception_fp_ieee_invalid_op 0
		.amdhsa_exception_fp_denorm_src 0
		.amdhsa_exception_fp_ieee_div_zero 0
		.amdhsa_exception_fp_ieee_overflow 0
		.amdhsa_exception_fp_ieee_underflow 0
		.amdhsa_exception_fp_ieee_inexact 0
		.amdhsa_exception_int_div_zero 0
	.end_amdhsa_kernel
	.section	.text._ZN9rocsparseL26csrgemm_fill_block_per_rowILj256ELj32ELj512ELj137ELj32Eii21rocsparse_complex_numIdEEEvT5_PKS3_S5_NS_24const_host_device_scalarIT6_EEPKT4_S5_PKS7_SB_S5_SD_S8_SB_S5_SD_SB_PS3_PS7_21rocsparse_index_base_SG_SG_SG_bbb,"axG",@progbits,_ZN9rocsparseL26csrgemm_fill_block_per_rowILj256ELj32ELj512ELj137ELj32Eii21rocsparse_complex_numIdEEEvT5_PKS3_S5_NS_24const_host_device_scalarIT6_EEPKT4_S5_PKS7_SB_S5_SD_S8_SB_S5_SD_SB_PS3_PS7_21rocsparse_index_base_SG_SG_SG_bbb,comdat
.Lfunc_end71:
	.size	_ZN9rocsparseL26csrgemm_fill_block_per_rowILj256ELj32ELj512ELj137ELj32Eii21rocsparse_complex_numIdEEEvT5_PKS3_S5_NS_24const_host_device_scalarIT6_EEPKT4_S5_PKS7_SB_S5_SD_S8_SB_S5_SD_SB_PS3_PS7_21rocsparse_index_base_SG_SG_SG_bbb, .Lfunc_end71-_ZN9rocsparseL26csrgemm_fill_block_per_rowILj256ELj32ELj512ELj137ELj32Eii21rocsparse_complex_numIdEEEvT5_PKS3_S5_NS_24const_host_device_scalarIT6_EEPKT4_S5_PKS7_SB_S5_SD_S8_SB_S5_SD_SB_PS3_PS7_21rocsparse_index_base_SG_SG_SG_bbb
                                        ; -- End function
	.section	.AMDGPU.csdata,"",@progbits
; Kernel info:
; codeLenInByte = 3712
; NumSgprs: 46
; NumVgprs: 32
; ScratchSize: 40
; MemoryBound: 0
; FloatMode: 240
; IeeeMode: 1
; LDSByteSize: 0 bytes/workgroup (compile time only)
; SGPRBlocks: 5
; VGPRBlocks: 3
; NumSGPRsForWavesPerEU: 46
; NumVGPRsForWavesPerEU: 32
; Occupancy: 16
; WaveLimiterHint : 1
; COMPUTE_PGM_RSRC2:SCRATCH_EN: 1
; COMPUTE_PGM_RSRC2:USER_SGPR: 15
; COMPUTE_PGM_RSRC2:TRAP_HANDLER: 0
; COMPUTE_PGM_RSRC2:TGID_X_EN: 1
; COMPUTE_PGM_RSRC2:TGID_Y_EN: 0
; COMPUTE_PGM_RSRC2:TGID_Z_EN: 0
; COMPUTE_PGM_RSRC2:TIDIG_COMP_CNT: 0
	.section	.text._ZN9rocsparseL26csrgemm_fill_block_per_rowILj256ELj32ELj512ELj137ELj64Eii21rocsparse_complex_numIdEEEvT5_PKS3_S5_NS_24const_host_device_scalarIT6_EEPKT4_S5_PKS7_SB_S5_SD_S8_SB_S5_SD_SB_PS3_PS7_21rocsparse_index_base_SG_SG_SG_bbb,"axG",@progbits,_ZN9rocsparseL26csrgemm_fill_block_per_rowILj256ELj32ELj512ELj137ELj64Eii21rocsparse_complex_numIdEEEvT5_PKS3_S5_NS_24const_host_device_scalarIT6_EEPKT4_S5_PKS7_SB_S5_SD_S8_SB_S5_SD_SB_PS3_PS7_21rocsparse_index_base_SG_SG_SG_bbb,comdat
	.globl	_ZN9rocsparseL26csrgemm_fill_block_per_rowILj256ELj32ELj512ELj137ELj64Eii21rocsparse_complex_numIdEEEvT5_PKS3_S5_NS_24const_host_device_scalarIT6_EEPKT4_S5_PKS7_SB_S5_SD_S8_SB_S5_SD_SB_PS3_PS7_21rocsparse_index_base_SG_SG_SG_bbb ; -- Begin function _ZN9rocsparseL26csrgemm_fill_block_per_rowILj256ELj32ELj512ELj137ELj64Eii21rocsparse_complex_numIdEEEvT5_PKS3_S5_NS_24const_host_device_scalarIT6_EEPKT4_S5_PKS7_SB_S5_SD_S8_SB_S5_SD_SB_PS3_PS7_21rocsparse_index_base_SG_SG_SG_bbb
	.p2align	8
	.type	_ZN9rocsparseL26csrgemm_fill_block_per_rowILj256ELj32ELj512ELj137ELj64Eii21rocsparse_complex_numIdEEEvT5_PKS3_S5_NS_24const_host_device_scalarIT6_EEPKT4_S5_PKS7_SB_S5_SD_S8_SB_S5_SD_SB_PS3_PS7_21rocsparse_index_base_SG_SG_SG_bbb,@function
_ZN9rocsparseL26csrgemm_fill_block_per_rowILj256ELj32ELj512ELj137ELj64Eii21rocsparse_complex_numIdEEEvT5_PKS3_S5_NS_24const_host_device_scalarIT6_EEPKT4_S5_PKS7_SB_S5_SD_S8_SB_S5_SD_SB_PS3_PS7_21rocsparse_index_base_SG_SG_SG_bbb: ; @_ZN9rocsparseL26csrgemm_fill_block_per_rowILj256ELj32ELj512ELj137ELj64Eii21rocsparse_complex_numIdEEEvT5_PKS3_S5_NS_24const_host_device_scalarIT6_EEPKT4_S5_PKS7_SB_S5_SD_S8_SB_S5_SD_SB_PS3_PS7_21rocsparse_index_base_SG_SG_SG_bbb
; %bb.0:
	s_clause 0x2
	s_load_b32 s12, s[0:1], 0xa8
	s_load_b128 s[8:11], s[0:1], 0x18
	s_load_b128 s[4:7], s[0:1], 0x58
	v_mov_b32_e32 v1, 0
	v_mov_b32_e32 v2, 0
	s_waitcnt lgkmcnt(0)
	s_bitcmp1_b32 s12, 0
	v_mov_b32_e32 v3, s8
	s_cselect_b32 s13, -1, 0
	s_bitcmp1_b32 s12, 16
	v_dual_mov_b32 v6, v2 :: v_dual_mov_b32 v5, v1
	s_cselect_b32 s2, -1, 0
	v_mov_b32_e32 v4, s9
	s_xor_b32 s3, s2, -1
	v_dual_mov_b32 v10, s5 :: v_dual_mov_b32 v9, s4
	v_cndmask_b32_e64 v7, 0, 1, s3
	s_bitcmp0_b32 s12, 0
	s_clause 0x1
	scratch_store_b64 off, v[3:4], off offset:16
	scratch_store_b64 off, v[9:10], off offset:24
	v_cmp_ne_u32_e32 vcc_lo, 1, v7
	v_dual_mov_b32 v8, v2 :: v_dual_mov_b32 v7, v1
	s_cbranch_scc1 .LBB72_3
; %bb.1:
	s_mov_b64 s[16:17], src_private_base
	s_and_b32 s14, s2, exec_lo
	s_cselect_b32 s14, s17, s9
	s_delay_alu instid0(SALU_CYCLE_1) | instskip(SKIP_2) | instid1(VALU_DEP_2)
	v_dual_mov_b32 v3, 16 :: v_dual_mov_b32 v4, s14
	v_dual_mov_b32 v7, s10 :: v_dual_mov_b32 v8, s11
	s_and_b32 vcc_lo, exec_lo, vcc_lo
	v_cndmask_b32_e64 v3, s8, v3, s2
	flat_load_b64 v[5:6], v[3:4]
	s_cbranch_vccnz .LBB72_3
; %bb.2:
	v_dual_mov_b32 v3, s8 :: v_dual_mov_b32 v4, s9
	flat_load_b64 v[7:8], v[3:4] offset:8
.LBB72_3:
	s_load_b128 s[24:27], s[0:1], 0x98
	s_bitcmp1_b32 s12, 8
	v_dual_mov_b32 v4, v2 :: v_dual_mov_b32 v3, v1
	s_cselect_b32 s33, -1, 0
	s_bfe_u32 s8, s12, 0x10008
	s_delay_alu instid0(SALU_CYCLE_1)
	s_cmp_eq_u32 s8, 0
	s_cbranch_scc1 .LBB72_6
; %bb.4:
	s_mov_b64 s[8:9], src_private_base
	s_and_b32 s8, s2, exec_lo
	s_cselect_b32 s8, s9, s5
	s_delay_alu instid0(SALU_CYCLE_1) | instskip(SKIP_1) | instid1(VALU_DEP_1)
	v_dual_mov_b32 v1, 24 :: v_dual_mov_b32 v2, s8
	s_and_not1_b32 vcc_lo, exec_lo, s3
	v_cndmask_b32_e64 v1, s4, v1, s2
	flat_load_b64 v[3:4], v[1:2]
	v_dual_mov_b32 v1, s6 :: v_dual_mov_b32 v2, s7
	s_cbranch_vccnz .LBB72_6
; %bb.5:
	v_dual_mov_b32 v1, s4 :: v_dual_mov_b32 v2, s5
	flat_load_b64 v[1:2], v[1:2] offset:8
.LBB72_6:
	s_clause 0x5
	s_load_b128 s[28:31], s[0:1], 0x88
	s_load_b256 s[4:11], s[0:1], 0x68
	s_load_b128 s[36:39], s[0:1], 0x48
	s_load_b256 s[16:23], s[0:1], 0x28
	s_load_b128 s[40:43], s[0:1], 0x8
	s_load_b32 s14, s[0:1], 0x0
	v_cmp_gt_u32_e64 s0, 0x200, v0
	v_lshlrev_b32_e32 v25, 4, v0
	v_or_b32_e32 v23, 0xffffff00, v0
	v_lshl_add_u32 v24, v0, 2, 0
	s_delay_alu instid0(VALU_DEP_4)
	s_and_saveexec_b32 s1, s0
	s_cbranch_execz .LBB72_9
; %bb.7:
	s_mov_b32 s2, 0
	v_add3_u32 v13, v25, 0, 0x800
	s_mov_b32 s3, s2
	s_mov_b32 s34, s2
	;; [unrolled: 1-line block ×3, first 2 shown]
	v_dual_mov_b32 v10, s3 :: v_dual_mov_b32 v11, s34
	v_or_b32_e32 v14, 0xffffff00, v0
	v_lshl_add_u32 v15, v0, 2, 0
	s_waitcnt lgkmcnt(0)
	v_dual_mov_b32 v16, s14 :: v_dual_mov_b32 v9, s2
	v_mov_b32_e32 v12, s35
.LBB72_8:                               ; =>This Inner Loop Header: Depth=1
	v_add_co_u32 v14, s3, 0x100, v14
	s_delay_alu instid0(VALU_DEP_1)
	s_xor_b32 s3, s3, -1
	ds_store_b32 v15, v16
	ds_store_2addr_b64 v13, v[9:10], v[11:12] offset1:1
	v_add_nc_u32_e32 v13, 0x1000, v13
	v_add_nc_u32_e32 v15, 0x400, v15
	s_and_b32 s3, exec_lo, s3
	s_delay_alu instid0(SALU_CYCLE_1) | instskip(NEXT) | instid1(SALU_CYCLE_1)
	s_or_b32 s2, s3, s2
	s_and_not1_b32 exec_lo, exec_lo, s2
	s_cbranch_execnz .LBB72_8
.LBB72_9:
	s_or_b32 exec_lo, exec_lo, s1
	s_waitcnt vmcnt(0) lgkmcnt(0)
	s_waitcnt_vscnt null, 0x0
	s_barrier
	buffer_gl0_inv
	s_load_b32 s1, s[40:41], 0x0
	s_mov_b32 s3, 0
	s_waitcnt lgkmcnt(0)
	s_add_i32 s2, s1, s15
	s_delay_alu instid0(SALU_CYCLE_1) | instskip(NEXT) | instid1(SALU_CYCLE_1)
	s_lshl_b64 s[2:3], s[2:3], 2
	s_add_u32 s2, s42, s2
	s_addc_u32 s3, s43, s3
	s_and_b32 vcc_lo, exec_lo, s13
	s_load_b32 s12, s[2:3], 0x0
	s_cbranch_vccz .LBB72_37
; %bb.10:
	s_waitcnt lgkmcnt(0)
	s_ashr_i32 s13, s12, 31
	v_lshrrev_b32_e32 v9, 5, v0
	s_lshl_b64 s[2:3], s[12:13], 2
	s_delay_alu instid0(SALU_CYCLE_1) | instskip(SKIP_1) | instid1(VALU_DEP_1)
	s_add_u32 s2, s16, s2
	s_addc_u32 s3, s17, s3
	v_subrev_nc_u32_e32 v9, s24, v9
	s_load_b64 s[2:3], s[2:3], 0x0
	s_waitcnt lgkmcnt(0)
	s_delay_alu instid0(VALU_DEP_1) | instskip(SKIP_2) | instid1(VALU_DEP_1)
	v_add_nc_u32_e32 v9, s2, v9
	s_sub_i32 s1, s3, s24
	s_mov_b32 s2, exec_lo
	v_cmpx_gt_i32_e64 s1, v9
	s_cbranch_execz .LBB72_36
; %bb.11:
	v_and_b32_e32 v10, 31, v0
	s_mov_b32 s3, 0
	s_delay_alu instid0(VALU_DEP_1)
	v_subrev_nc_u32_e32 v26, s25, v10
	s_branch .LBB72_13
.LBB72_12:                              ;   in Loop: Header=BB72_13 Depth=1
	s_or_b32 exec_lo, exec_lo, s13
	v_add_nc_u32_e32 v9, 8, v9
	s_delay_alu instid0(VALU_DEP_1) | instskip(SKIP_1) | instid1(SALU_CYCLE_1)
	v_cmp_le_i32_e32 vcc_lo, s1, v9
	s_or_b32 s3, vcc_lo, s3
	s_and_not1_b32 exec_lo, exec_lo, s3
	s_cbranch_execz .LBB72_36
.LBB72_13:                              ; =>This Loop Header: Depth=1
                                        ;     Child Loop BB72_16 Depth 2
                                        ;       Child Loop BB72_18 Depth 3
                                        ;         Child Loop BB72_24 Depth 4
                                        ;         Child Loop BB72_26 Depth 4
	;; [unrolled: 1-line block ×4, first 2 shown]
	v_ashrrev_i32_e32 v10, 31, v9
	s_mov_b32 s13, exec_lo
	s_delay_alu instid0(VALU_DEP_1) | instskip(NEXT) | instid1(VALU_DEP_1)
	v_lshlrev_b64 v[11:12], 2, v[9:10]
	v_add_co_u32 v11, vcc_lo, s18, v11
	s_delay_alu instid0(VALU_DEP_2) | instskip(SKIP_3) | instid1(VALU_DEP_1)
	v_add_co_ci_u32_e32 v12, vcc_lo, s19, v12, vcc_lo
	global_load_b32 v11, v[11:12], off
	s_waitcnt vmcnt(0)
	v_subrev_nc_u32_e32 v11, s24, v11
	v_ashrrev_i32_e32 v12, 31, v11
	s_delay_alu instid0(VALU_DEP_1) | instskip(NEXT) | instid1(VALU_DEP_1)
	v_lshlrev_b64 v[11:12], 2, v[11:12]
	v_add_co_u32 v11, vcc_lo, s22, v11
	s_delay_alu instid0(VALU_DEP_2) | instskip(SKIP_4) | instid1(VALU_DEP_1)
	v_add_co_ci_u32_e32 v12, vcc_lo, s23, v12, vcc_lo
	global_load_b64 v[11:12], v[11:12], off
	s_waitcnt vmcnt(0)
	v_subrev_nc_u32_e32 v27, s25, v12
	v_add_nc_u32_e32 v11, v11, v26
	v_cmpx_lt_i32_e64 v11, v27
	s_cbranch_execz .LBB72_12
; %bb.14:                               ;   in Loop: Header=BB72_13 Depth=1
	v_lshlrev_b64 v[12:13], 4, v[9:10]
	s_mov_b32 s15, 0
	s_delay_alu instid0(VALU_DEP_1) | instskip(NEXT) | instid1(VALU_DEP_2)
	v_add_co_u32 v12, vcc_lo, s20, v12
	v_add_co_ci_u32_e32 v13, vcc_lo, s21, v13, vcc_lo
	global_load_b128 v[15:18], v[12:13], off
	s_waitcnt vmcnt(0)
	v_mul_f64 v[12:13], v[17:18], -v[7:8]
	v_mul_f64 v[17:18], v[5:6], v[17:18]
	s_delay_alu instid0(VALU_DEP_2) | instskip(NEXT) | instid1(VALU_DEP_2)
	v_fma_f64 v[13:14], v[5:6], v[15:16], v[12:13]
	v_fma_f64 v[15:16], v[7:8], v[15:16], v[17:18]
	s_branch .LBB72_16
.LBB72_15:                              ;   in Loop: Header=BB72_16 Depth=2
	s_or_b32 exec_lo, exec_lo, s16
	v_add_nc_u32_e32 v11, 32, v11
	s_delay_alu instid0(VALU_DEP_1) | instskip(SKIP_1) | instid1(SALU_CYCLE_1)
	v_cmp_ge_i32_e32 vcc_lo, v11, v27
	s_or_b32 s15, vcc_lo, s15
	s_and_not1_b32 exec_lo, exec_lo, s15
	s_cbranch_execz .LBB72_12
.LBB72_16:                              ;   Parent Loop BB72_13 Depth=1
                                        ; =>  This Loop Header: Depth=2
                                        ;       Child Loop BB72_18 Depth 3
                                        ;         Child Loop BB72_24 Depth 4
                                        ;         Child Loop BB72_26 Depth 4
	;; [unrolled: 1-line block ×4, first 2 shown]
	v_ashrrev_i32_e32 v12, 31, v11
	s_mov_b32 s16, 0
	s_delay_alu instid0(VALU_DEP_1) | instskip(NEXT) | instid1(VALU_DEP_1)
	v_lshlrev_b64 v[17:18], 4, v[11:12]
	v_add_co_u32 v17, vcc_lo, s38, v17
	s_delay_alu instid0(VALU_DEP_2) | instskip(SKIP_2) | instid1(VALU_DEP_1)
	v_add_co_ci_u32_e32 v18, vcc_lo, s39, v18, vcc_lo
	global_load_b128 v[19:22], v[17:18], off
	v_lshlrev_b64 v[17:18], 2, v[11:12]
	v_add_co_u32 v17, vcc_lo, s36, v17
	s_delay_alu instid0(VALU_DEP_2)
	v_add_co_ci_u32_e32 v18, vcc_lo, s37, v18, vcc_lo
	global_load_b32 v10, v[17:18], off
	s_waitcnt vmcnt(1)
	v_mul_f64 v[17:18], v[21:22], -v[15:16]
	v_mul_f64 v[21:22], v[13:14], v[21:22]
	s_waitcnt vmcnt(0)
	v_subrev_nc_u32_e32 v10, s25, v10
	s_delay_alu instid0(VALU_DEP_1) | instskip(NEXT) | instid1(VALU_DEP_1)
	v_mul_lo_u32 v12, 0x89, v10
	v_and_b32_e32 v12, 0x1ff, v12
	v_fma_f64 v[17:18], v[13:14], v[19:20], v[17:18]
	v_fma_f64 v[19:20], v[15:16], v[19:20], v[21:22]
	s_branch .LBB72_18
.LBB72_17:                              ;   in Loop: Header=BB72_18 Depth=3
	s_or_b32 exec_lo, exec_lo, s17
	s_xor_b32 s17, s34, -1
	s_delay_alu instid0(SALU_CYCLE_1) | instskip(NEXT) | instid1(SALU_CYCLE_1)
	s_and_b32 s17, exec_lo, s17
	s_or_b32 s16, s17, s16
	s_delay_alu instid0(SALU_CYCLE_1)
	s_and_not1_b32 exec_lo, exec_lo, s16
	s_cbranch_execz .LBB72_15
.LBB72_18:                              ;   Parent Loop BB72_13 Depth=1
                                        ;     Parent Loop BB72_16 Depth=2
                                        ; =>    This Loop Header: Depth=3
                                        ;         Child Loop BB72_24 Depth 4
                                        ;         Child Loop BB72_26 Depth 4
	;; [unrolled: 1-line block ×4, first 2 shown]
	s_delay_alu instid0(VALU_DEP_3)
	v_lshl_add_u32 v21, v12, 2, 0
	s_mov_b32 s17, exec_lo
                                        ; implicit-def: $sgpr34
	ds_load_b32 v22, v21
	s_waitcnt lgkmcnt(0)
	v_cmpx_ne_u32_e64 v22, v10
	s_xor_b32 s17, exec_lo, s17
	s_cbranch_execz .LBB72_30
; %bb.19:                               ;   in Loop: Header=BB72_18 Depth=3
	s_mov_b32 s35, exec_lo
                                        ; implicit-def: $sgpr34
	v_cmpx_ne_u32_e64 s14, v22
	s_xor_b32 s35, exec_lo, s35
; %bb.20:                               ;   in Loop: Header=BB72_18 Depth=3
	v_add_nc_u32_e32 v12, 1, v12
	s_mov_b32 s34, -1
                                        ; implicit-def: $vgpr21
	s_delay_alu instid0(VALU_DEP_1)
	v_and_b32_e32 v12, 0x1ff, v12
; %bb.21:                               ;   in Loop: Header=BB72_18 Depth=3
	s_and_not1_saveexec_b32 s35, s35
	s_cbranch_execz .LBB72_29
; %bb.22:                               ;   in Loop: Header=BB72_18 Depth=3
	v_mov_b32_e32 v22, s14
	s_mov_b32 s41, -1
	s_mov_b32 s40, exec_lo
	ds_cmpstore_rtn_b32 v22, v21, v10, v22
	s_waitcnt lgkmcnt(0)
	v_cmpx_eq_u32_e64 s14, v22
	s_cbranch_execz .LBB72_28
; %bb.23:                               ;   in Loop: Header=BB72_18 Depth=3
	v_mul_lo_u32 v22, v12, 12
	s_mov_b32 s41, 0
	s_delay_alu instid0(VALU_DEP_1)
	v_add_nc_u32_e32 v28, v21, v22
	ds_load_b64 v[21:22], v28 offset:2048
.LBB72_24:                              ;   Parent Loop BB72_13 Depth=1
                                        ;     Parent Loop BB72_16 Depth=2
                                        ;       Parent Loop BB72_18 Depth=3
                                        ; =>      This Inner Loop Header: Depth=4
	s_waitcnt lgkmcnt(0)
	v_add_f64 v[29:30], v[21:22], v[17:18]
	ds_cmpstore_rtn_b64 v[29:30], v28, v[29:30], v[21:22] offset:2048
	s_waitcnt lgkmcnt(0)
	v_cmp_eq_u64_e32 vcc_lo, v[29:30], v[21:22]
	v_dual_mov_b32 v21, v29 :: v_dual_mov_b32 v22, v30
	s_or_b32 s41, vcc_lo, s41
	s_delay_alu instid0(SALU_CYCLE_1)
	s_and_not1_b32 exec_lo, exec_lo, s41
	s_cbranch_execnz .LBB72_24
; %bb.25:                               ;   in Loop: Header=BB72_18 Depth=3
	s_or_b32 exec_lo, exec_lo, s41
	ds_load_b64 v[21:22], v28 offset:2056
	s_mov_b32 s41, 0
.LBB72_26:                              ;   Parent Loop BB72_13 Depth=1
                                        ;     Parent Loop BB72_16 Depth=2
                                        ;       Parent Loop BB72_18 Depth=3
                                        ; =>      This Inner Loop Header: Depth=4
	s_waitcnt lgkmcnt(0)
	v_add_f64 v[29:30], v[21:22], v[19:20]
	ds_cmpstore_rtn_b64 v[29:30], v28, v[29:30], v[21:22] offset:2056
	s_waitcnt lgkmcnt(0)
	v_cmp_eq_u64_e32 vcc_lo, v[29:30], v[21:22]
	v_dual_mov_b32 v21, v29 :: v_dual_mov_b32 v22, v30
	s_or_b32 s41, vcc_lo, s41
	s_delay_alu instid0(SALU_CYCLE_1)
	s_and_not1_b32 exec_lo, exec_lo, s41
	s_cbranch_execnz .LBB72_26
; %bb.27:                               ;   in Loop: Header=BB72_18 Depth=3
	s_or_b32 exec_lo, exec_lo, s41
	s_delay_alu instid0(SALU_CYCLE_1)
	s_xor_b32 s41, exec_lo, -1
.LBB72_28:                              ;   in Loop: Header=BB72_18 Depth=3
	s_or_b32 exec_lo, exec_lo, s40
	s_delay_alu instid0(SALU_CYCLE_1) | instskip(SKIP_1) | instid1(SALU_CYCLE_1)
	s_and_not1_b32 s34, s34, exec_lo
	s_and_b32 s40, s41, exec_lo
	s_or_b32 s34, s34, s40
.LBB72_29:                              ;   in Loop: Header=BB72_18 Depth=3
	s_or_b32 exec_lo, exec_lo, s35
	s_delay_alu instid0(SALU_CYCLE_1)
	s_and_b32 s34, s34, exec_lo
                                        ; implicit-def: $vgpr21
.LBB72_30:                              ;   in Loop: Header=BB72_18 Depth=3
	s_and_not1_saveexec_b32 s17, s17
	s_cbranch_execz .LBB72_17
; %bb.31:                               ;   in Loop: Header=BB72_18 Depth=3
	v_mul_lo_u32 v22, v12, 12
	s_mov_b32 s35, 0
	s_delay_alu instid0(VALU_DEP_1)
	v_add_nc_u32_e32 v28, v21, v22
	ds_load_b64 v[21:22], v28 offset:2048
.LBB72_32:                              ;   Parent Loop BB72_13 Depth=1
                                        ;     Parent Loop BB72_16 Depth=2
                                        ;       Parent Loop BB72_18 Depth=3
                                        ; =>      This Inner Loop Header: Depth=4
	s_waitcnt lgkmcnt(0)
	v_add_f64 v[29:30], v[21:22], v[17:18]
	ds_cmpstore_rtn_b64 v[29:30], v28, v[29:30], v[21:22] offset:2048
	s_waitcnt lgkmcnt(0)
	v_cmp_eq_u64_e32 vcc_lo, v[29:30], v[21:22]
	v_dual_mov_b32 v21, v29 :: v_dual_mov_b32 v22, v30
	s_or_b32 s35, vcc_lo, s35
	s_delay_alu instid0(SALU_CYCLE_1)
	s_and_not1_b32 exec_lo, exec_lo, s35
	s_cbranch_execnz .LBB72_32
; %bb.33:                               ;   in Loop: Header=BB72_18 Depth=3
	s_or_b32 exec_lo, exec_lo, s35
	ds_load_b64 v[21:22], v28 offset:2056
	s_mov_b32 s35, 0
.LBB72_34:                              ;   Parent Loop BB72_13 Depth=1
                                        ;     Parent Loop BB72_16 Depth=2
                                        ;       Parent Loop BB72_18 Depth=3
                                        ; =>      This Inner Loop Header: Depth=4
	s_waitcnt lgkmcnt(0)
	v_add_f64 v[29:30], v[21:22], v[19:20]
	ds_cmpstore_rtn_b64 v[29:30], v28, v[29:30], v[21:22] offset:2056
	s_waitcnt lgkmcnt(0)
	v_cmp_eq_u64_e32 vcc_lo, v[29:30], v[21:22]
	v_dual_mov_b32 v21, v29 :: v_dual_mov_b32 v22, v30
	s_or_b32 s35, vcc_lo, s35
	s_delay_alu instid0(SALU_CYCLE_1)
	s_and_not1_b32 exec_lo, exec_lo, s35
	s_cbranch_execnz .LBB72_34
; %bb.35:                               ;   in Loop: Header=BB72_18 Depth=3
	s_or_b32 exec_lo, exec_lo, s35
	s_delay_alu instid0(SALU_CYCLE_1)
	s_and_not1_b32 s34, s34, exec_lo
	s_branch .LBB72_17
.LBB72_36:
	s_or_b32 exec_lo, exec_lo, s2
.LBB72_37:
	s_delay_alu instid0(SALU_CYCLE_1)
	s_and_not1_b32 vcc_lo, exec_lo, s33
	s_cbranch_vccnz .LBB72_62
; %bb.38:
	s_waitcnt lgkmcnt(0)
	s_ashr_i32 s13, s12, 31
	v_subrev_nc_u32_e32 v5, s27, v0
	s_lshl_b64 s[2:3], s[12:13], 2
	s_delay_alu instid0(SALU_CYCLE_1)
	s_add_u32 s2, s4, s2
	s_addc_u32 s3, s5, s3
	s_load_b64 s[2:3], s[2:3], 0x0
	s_waitcnt lgkmcnt(0)
	v_add_nc_u32_e32 v5, s2, v5
	s_sub_i32 s1, s3, s27
	s_mov_b32 s2, exec_lo
	s_delay_alu instid0(VALU_DEP_1)
	v_cmpx_gt_i32_e64 s1, v5
	s_cbranch_execz .LBB72_61
; %bb.39:
	s_mov_b32 s3, 0
	s_branch .LBB72_41
.LBB72_40:                              ;   in Loop: Header=BB72_41 Depth=1
	s_or_b32 exec_lo, exec_lo, s4
	v_add_nc_u32_e32 v5, 0x100, v5
	s_delay_alu instid0(VALU_DEP_1) | instskip(SKIP_1) | instid1(SALU_CYCLE_1)
	v_cmp_le_i32_e32 vcc_lo, s1, v5
	s_or_b32 s3, vcc_lo, s3
	s_and_not1_b32 exec_lo, exec_lo, s3
	s_cbranch_execz .LBB72_61
.LBB72_41:                              ; =>This Loop Header: Depth=1
                                        ;     Child Loop BB72_43 Depth 2
                                        ;       Child Loop BB72_49 Depth 3
                                        ;       Child Loop BB72_51 Depth 3
	;; [unrolled: 1-line block ×4, first 2 shown]
	v_ashrrev_i32_e32 v6, 31, v5
	s_mov_b32 s4, 0
	s_delay_alu instid0(VALU_DEP_1) | instskip(NEXT) | instid1(VALU_DEP_1)
	v_lshlrev_b64 v[7:8], 4, v[5:6]
	v_add_co_u32 v7, vcc_lo, s8, v7
	s_delay_alu instid0(VALU_DEP_2) | instskip(SKIP_2) | instid1(VALU_DEP_1)
	v_add_co_ci_u32_e32 v8, vcc_lo, s9, v8, vcc_lo
	global_load_b128 v[8:11], v[7:8], off
	v_lshlrev_b64 v[6:7], 2, v[5:6]
	v_add_co_u32 v6, vcc_lo, s6, v6
	s_delay_alu instid0(VALU_DEP_2)
	v_add_co_ci_u32_e32 v7, vcc_lo, s7, v7, vcc_lo
	global_load_b32 v12, v[6:7], off
	s_waitcnt vmcnt(1)
	v_mul_f64 v[6:7], v[10:11], -v[1:2]
	v_mul_f64 v[10:11], v[3:4], v[10:11]
	s_waitcnt vmcnt(0)
	v_subrev_nc_u32_e32 v12, s27, v12
	s_delay_alu instid0(VALU_DEP_3) | instskip(NEXT) | instid1(VALU_DEP_3)
	v_fma_f64 v[6:7], v[3:4], v[8:9], v[6:7]
	v_fma_f64 v[8:9], v[1:2], v[8:9], v[10:11]
	s_delay_alu instid0(VALU_DEP_3) | instskip(NEXT) | instid1(VALU_DEP_1)
	v_mul_lo_u32 v10, 0x89, v12
	v_and_b32_e32 v13, 0x1ff, v10
	s_branch .LBB72_43
.LBB72_42:                              ;   in Loop: Header=BB72_43 Depth=2
	s_or_b32 exec_lo, exec_lo, s5
	s_xor_b32 s5, s13, -1
	s_delay_alu instid0(SALU_CYCLE_1) | instskip(NEXT) | instid1(SALU_CYCLE_1)
	s_and_b32 s5, exec_lo, s5
	s_or_b32 s4, s5, s4
	s_delay_alu instid0(SALU_CYCLE_1)
	s_and_not1_b32 exec_lo, exec_lo, s4
	s_cbranch_execz .LBB72_40
.LBB72_43:                              ;   Parent Loop BB72_41 Depth=1
                                        ; =>  This Loop Header: Depth=2
                                        ;       Child Loop BB72_49 Depth 3
                                        ;       Child Loop BB72_51 Depth 3
	;; [unrolled: 1-line block ×4, first 2 shown]
	s_delay_alu instid0(VALU_DEP_1)
	v_lshl_add_u32 v10, v13, 2, 0
	s_mov_b32 s5, exec_lo
                                        ; implicit-def: $sgpr13
	ds_load_b32 v11, v10
	s_waitcnt lgkmcnt(0)
	v_cmpx_ne_u32_e64 v11, v12
	s_xor_b32 s5, exec_lo, s5
	s_cbranch_execz .LBB72_55
; %bb.44:                               ;   in Loop: Header=BB72_43 Depth=2
	s_mov_b32 s15, exec_lo
                                        ; implicit-def: $sgpr13
	v_cmpx_ne_u32_e64 s14, v11
	s_xor_b32 s15, exec_lo, s15
; %bb.45:                               ;   in Loop: Header=BB72_43 Depth=2
	v_add_nc_u32_e32 v10, 1, v13
	s_mov_b32 s13, -1
	s_delay_alu instid0(VALU_DEP_1)
	v_and_b32_e32 v13, 0x1ff, v10
                                        ; implicit-def: $vgpr10
; %bb.46:                               ;   in Loop: Header=BB72_43 Depth=2
	s_and_not1_saveexec_b32 s15, s15
	s_cbranch_execz .LBB72_54
; %bb.47:                               ;   in Loop: Header=BB72_43 Depth=2
	v_mov_b32_e32 v11, s14
	s_mov_b32 s17, -1
	s_mov_b32 s16, exec_lo
	ds_cmpstore_rtn_b32 v11, v10, v12, v11
	s_waitcnt lgkmcnt(0)
	v_cmpx_eq_u32_e64 s14, v11
	s_cbranch_execz .LBB72_53
; %bb.48:                               ;   in Loop: Header=BB72_43 Depth=2
	v_mul_lo_u32 v11, v13, 12
	s_mov_b32 s17, 0
	s_delay_alu instid0(VALU_DEP_1)
	v_add_nc_u32_e32 v14, v10, v11
	ds_load_b64 v[10:11], v14 offset:2048
.LBB72_49:                              ;   Parent Loop BB72_41 Depth=1
                                        ;     Parent Loop BB72_43 Depth=2
                                        ; =>    This Inner Loop Header: Depth=3
	s_waitcnt lgkmcnt(0)
	v_add_f64 v[15:16], v[10:11], v[6:7]
	ds_cmpstore_rtn_b64 v[15:16], v14, v[15:16], v[10:11] offset:2048
	s_waitcnt lgkmcnt(0)
	v_cmp_eq_u64_e32 vcc_lo, v[15:16], v[10:11]
	v_dual_mov_b32 v10, v15 :: v_dual_mov_b32 v11, v16
	s_or_b32 s17, vcc_lo, s17
	s_delay_alu instid0(SALU_CYCLE_1)
	s_and_not1_b32 exec_lo, exec_lo, s17
	s_cbranch_execnz .LBB72_49
; %bb.50:                               ;   in Loop: Header=BB72_43 Depth=2
	s_or_b32 exec_lo, exec_lo, s17
	ds_load_b64 v[10:11], v14 offset:2056
	s_mov_b32 s17, 0
.LBB72_51:                              ;   Parent Loop BB72_41 Depth=1
                                        ;     Parent Loop BB72_43 Depth=2
                                        ; =>    This Inner Loop Header: Depth=3
	s_waitcnt lgkmcnt(0)
	v_add_f64 v[15:16], v[10:11], v[8:9]
	ds_cmpstore_rtn_b64 v[15:16], v14, v[15:16], v[10:11] offset:2056
	s_waitcnt lgkmcnt(0)
	v_cmp_eq_u64_e32 vcc_lo, v[15:16], v[10:11]
	v_dual_mov_b32 v10, v15 :: v_dual_mov_b32 v11, v16
	s_or_b32 s17, vcc_lo, s17
	s_delay_alu instid0(SALU_CYCLE_1)
	s_and_not1_b32 exec_lo, exec_lo, s17
	s_cbranch_execnz .LBB72_51
; %bb.52:                               ;   in Loop: Header=BB72_43 Depth=2
	s_or_b32 exec_lo, exec_lo, s17
	s_delay_alu instid0(SALU_CYCLE_1)
	s_xor_b32 s17, exec_lo, -1
.LBB72_53:                              ;   in Loop: Header=BB72_43 Depth=2
	s_or_b32 exec_lo, exec_lo, s16
	s_delay_alu instid0(SALU_CYCLE_1) | instskip(SKIP_1) | instid1(SALU_CYCLE_1)
	s_and_not1_b32 s13, s13, exec_lo
	s_and_b32 s16, s17, exec_lo
	s_or_b32 s13, s13, s16
.LBB72_54:                              ;   in Loop: Header=BB72_43 Depth=2
	s_or_b32 exec_lo, exec_lo, s15
	s_delay_alu instid0(SALU_CYCLE_1)
	s_and_b32 s13, s13, exec_lo
                                        ; implicit-def: $vgpr10
.LBB72_55:                              ;   in Loop: Header=BB72_43 Depth=2
	s_and_not1_saveexec_b32 s5, s5
	s_cbranch_execz .LBB72_42
; %bb.56:                               ;   in Loop: Header=BB72_43 Depth=2
	v_mul_lo_u32 v11, v13, 12
	s_mov_b32 s15, 0
	s_delay_alu instid0(VALU_DEP_1)
	v_add_nc_u32_e32 v14, v10, v11
	ds_load_b64 v[10:11], v14 offset:2048
.LBB72_57:                              ;   Parent Loop BB72_41 Depth=1
                                        ;     Parent Loop BB72_43 Depth=2
                                        ; =>    This Inner Loop Header: Depth=3
	s_waitcnt lgkmcnt(0)
	v_add_f64 v[15:16], v[10:11], v[6:7]
	ds_cmpstore_rtn_b64 v[15:16], v14, v[15:16], v[10:11] offset:2048
	s_waitcnt lgkmcnt(0)
	v_cmp_eq_u64_e32 vcc_lo, v[15:16], v[10:11]
	v_dual_mov_b32 v10, v15 :: v_dual_mov_b32 v11, v16
	s_or_b32 s15, vcc_lo, s15
	s_delay_alu instid0(SALU_CYCLE_1)
	s_and_not1_b32 exec_lo, exec_lo, s15
	s_cbranch_execnz .LBB72_57
; %bb.58:                               ;   in Loop: Header=BB72_43 Depth=2
	s_or_b32 exec_lo, exec_lo, s15
	ds_load_b64 v[10:11], v14 offset:2056
	s_mov_b32 s15, 0
.LBB72_59:                              ;   Parent Loop BB72_41 Depth=1
                                        ;     Parent Loop BB72_43 Depth=2
                                        ; =>    This Inner Loop Header: Depth=3
	s_waitcnt lgkmcnt(0)
	v_add_f64 v[15:16], v[10:11], v[8:9]
	ds_cmpstore_rtn_b64 v[15:16], v14, v[15:16], v[10:11] offset:2056
	s_waitcnt lgkmcnt(0)
	v_cmp_eq_u64_e32 vcc_lo, v[15:16], v[10:11]
	v_dual_mov_b32 v10, v15 :: v_dual_mov_b32 v11, v16
	s_or_b32 s15, vcc_lo, s15
	s_delay_alu instid0(SALU_CYCLE_1)
	s_and_not1_b32 exec_lo, exec_lo, s15
	s_cbranch_execnz .LBB72_59
; %bb.60:                               ;   in Loop: Header=BB72_43 Depth=2
	s_or_b32 exec_lo, exec_lo, s15
	s_delay_alu instid0(SALU_CYCLE_1)
	s_and_not1_b32 s13, s13, exec_lo
	s_branch .LBB72_42
.LBB72_61:
	s_or_b32 exec_lo, exec_lo, s2
.LBB72_62:
	s_waitcnt lgkmcnt(0)
	s_barrier
	buffer_gl0_inv
	s_and_saveexec_b32 s4, s0
	s_cbranch_execz .LBB72_75
; %bb.63:
	v_mbcnt_lo_u32_b32 v1, -1, 0
	v_lshrrev_b32_e32 v2, 4, v0
	v_cmp_eq_u32_e32 vcc_lo, 0xff, v0
	v_cmp_lt_u32_e64 s0, 63, v0
	v_cmp_lt_u32_e64 s1, 0x7f, v0
	v_xor_b32_e32 v1, 63, v1
	v_dual_mov_b32 v5, 0 :: v_dual_and_b32 v4, 12, v2
	v_cmp_lt_u32_e64 s2, 0xbf, v0
	v_add3_u32 v3, v25, 0, 0x800
	s_delay_alu instid0(VALU_DEP_4) | instskip(NEXT) | instid1(VALU_DEP_4)
	v_lshrrev_b64 v[1:2], v1, -1
	v_add_nc_u32_e32 v2, 0, v4
	v_mov_b32_e32 v4, 0
	s_mov_b32 s5, 0
	s_branch .LBB72_65
.LBB72_64:                              ;   in Loop: Header=BB72_65 Depth=1
	s_or_b32 exec_lo, exec_lo, s3
	s_waitcnt lgkmcnt(0)
	s_barrier
	buffer_gl0_inv
	ds_load_b32 v6, v4 offset:10252
	v_add_co_u32 v23, s3, 0x100, v23
	s_delay_alu instid0(VALU_DEP_1) | instskip(SKIP_3) | instid1(SALU_CYCLE_1)
	s_xor_b32 s3, s3, -1
	v_add_nc_u32_e32 v3, 0x1000, v3
	v_add_nc_u32_e32 v24, 0x400, v24
	s_and_b32 s3, exec_lo, s3
	s_or_b32 s5, s3, s5
	s_waitcnt lgkmcnt(0)
	v_add_nc_u32_e32 v5, v6, v5
	s_and_not1_b32 exec_lo, exec_lo, s5
	s_cbranch_execz .LBB72_75
.LBB72_65:                              ; =>This Inner Loop Header: Depth=1
	ds_load_b32 v6, v24
	ds_load_2addr_b64 v[7:10], v3 offset1:1
	s_waitcnt lgkmcnt(1)
	v_cmp_gt_i32_e64 s3, s14, v6
	s_waitcnt lgkmcnt(0)
	scratch_store_b128 off, v[7:10], off
	s_waitcnt_vscnt null, 0x0
	s_barrier
	buffer_gl0_inv
	s_bcnt1_i32_b32 s6, s3
	s_delay_alu instid0(SALU_CYCLE_1) | instskip(NEXT) | instid1(VALU_DEP_1)
	v_dual_mov_b32 v8, s6 :: v_dual_and_b32 v7, s3, v1
	v_bcnt_u32_b32 v7, v7, 0
	ds_store_b32 v2, v8 offset:10240
	s_waitcnt lgkmcnt(0)
	s_barrier
	buffer_gl0_inv
	s_and_saveexec_b32 s6, s0
	s_cbranch_execnz .LBB72_70
; %bb.66:                               ;   in Loop: Header=BB72_65 Depth=1
	s_or_b32 exec_lo, exec_lo, s6
	s_and_saveexec_b32 s6, s1
	s_cbranch_execnz .LBB72_71
.LBB72_67:                              ;   in Loop: Header=BB72_65 Depth=1
	s_or_b32 exec_lo, exec_lo, s6
	s_and_saveexec_b32 s6, s2
	s_cbranch_execnz .LBB72_72
.LBB72_68:                              ;   in Loop: Header=BB72_65 Depth=1
	s_or_b32 exec_lo, exec_lo, s6
	s_and_saveexec_b32 s6, s3
	s_cbranch_execnz .LBB72_73
.LBB72_69:                              ;   in Loop: Header=BB72_65 Depth=1
	s_or_b32 exec_lo, exec_lo, s6
	s_and_saveexec_b32 s3, vcc_lo
	s_cbranch_execz .LBB72_64
	s_branch .LBB72_74
.LBB72_70:                              ;   in Loop: Header=BB72_65 Depth=1
	ds_load_b32 v8, v4 offset:10240
	s_waitcnt lgkmcnt(0)
	v_add_nc_u32_e32 v7, v8, v7
	s_or_b32 exec_lo, exec_lo, s6
	s_and_saveexec_b32 s6, s1
	s_cbranch_execz .LBB72_67
.LBB72_71:                              ;   in Loop: Header=BB72_65 Depth=1
	ds_load_b32 v8, v4 offset:10244
	s_waitcnt lgkmcnt(0)
	v_add_nc_u32_e32 v7, v8, v7
	s_or_b32 exec_lo, exec_lo, s6
	s_and_saveexec_b32 s6, s2
	s_cbranch_execz .LBB72_68
.LBB72_72:                              ;   in Loop: Header=BB72_65 Depth=1
	ds_load_b32 v8, v4 offset:10248
	s_waitcnt lgkmcnt(0)
	v_add_nc_u32_e32 v7, v8, v7
	s_or_b32 exec_lo, exec_lo, s6
	s_and_saveexec_b32 s6, s3
	s_cbranch_execz .LBB72_69
.LBB72_73:                              ;   in Loop: Header=BB72_65 Depth=1
	scratch_load_b128 v[8:11], off, off
	v_add3_u32 v12, v5, -1, v7
	s_delay_alu instid0(VALU_DEP_1) | instskip(SKIP_1) | instid1(VALU_DEP_2)
	v_lshlrev_b32_e32 v13, 4, v12
	v_lshl_add_u32 v12, v12, 2, 0
	v_add3_u32 v13, 0, v13, 0x800
	ds_store_b32 v12, v6
	s_waitcnt vmcnt(0)
	ds_store_2addr_b64 v13, v[8:9], v[10:11] offset1:1
	s_or_b32 exec_lo, exec_lo, s6
	s_and_saveexec_b32 s3, vcc_lo
	s_cbranch_execz .LBB72_64
.LBB72_74:                              ;   in Loop: Header=BB72_65 Depth=1
	ds_store_b32 v4, v7 offset:10252
	s_branch .LBB72_64
.LBB72_75:
	s_or_b32 exec_lo, exec_lo, s4
	s_ashr_i32 s13, s12, 31
	s_mov_b32 s3, exec_lo
	s_lshl_b64 s[0:1], s[12:13], 2
	s_delay_alu instid0(SALU_CYCLE_1) | instskip(SKIP_4) | instid1(SALU_CYCLE_1)
	s_add_u32 s0, s10, s0
	s_addc_u32 s1, s11, s1
	s_load_b64 s[0:1], s[0:1], 0x0
	s_waitcnt lgkmcnt(0)
	s_sub_i32 s2, s1, s0
	v_cmpx_gt_i32_e64 s2, v0
	s_cbranch_execz .LBB72_85
; %bb.76:
	s_sub_i32 s3, s0, s26
	s_sub_i32 s0, s0, s1
	s_and_b32 s1, s2, 7
	s_cmp_lt_u32 s0, -7
	s_mov_b32 s7, 0
	s_cselect_b32 s4, -1, 0
	s_and_b32 s5, s2, -8
	s_cmp_lg_u32 s1, 0
	s_cselect_b32 s6, -1, 0
	s_branch .LBB72_78
.LBB72_77:                              ;   in Loop: Header=BB72_78 Depth=1
	v_mul_lo_u32 v4, v0, 12
	v_add_nc_u32_e32 v0, 0x100, v0
	s_waitcnt lgkmcnt(0)
	v_add_nc_u32_e32 v3, s26, v3
	s_delay_alu instid0(VALU_DEP_3) | instskip(SKIP_4) | instid1(VALU_DEP_2)
	v_add3_u32 v4, v2, v4, 0x800
	v_ashrrev_i32_e32 v2, 31, v1
	ds_load_2addr_b64 v[4:7], v4 offset1:1
	v_lshlrev_b64 v[8:9], 2, v[1:2]
	v_lshlrev_b64 v[1:2], 4, v[1:2]
	v_add_co_u32 v8, vcc_lo, s28, v8
	s_delay_alu instid0(VALU_DEP_3) | instskip(SKIP_1) | instid1(VALU_DEP_4)
	v_add_co_ci_u32_e32 v9, vcc_lo, s29, v9, vcc_lo
	v_cmp_le_i32_e32 vcc_lo, s2, v0
	v_add_co_u32 v1, s0, s30, v1
	s_delay_alu instid0(VALU_DEP_1)
	v_add_co_ci_u32_e64 v2, s0, s31, v2, s0
	s_or_b32 s7, vcc_lo, s7
	global_store_b32 v[8:9], v3, off
	s_waitcnt lgkmcnt(0)
	global_store_b128 v[1:2], v[4:7], off
	s_and_not1_b32 exec_lo, exec_lo, s7
	s_cbranch_execz .LBB72_85
.LBB72_78:                              ; =>This Loop Header: Depth=1
                                        ;     Child Loop BB72_80 Depth 2
                                        ;     Child Loop BB72_84 Depth 2
	v_lshl_add_u32 v2, v0, 2, 0
	v_mov_b32_e32 v1, s3
	s_and_not1_b32 vcc_lo, exec_lo, s4
	s_mov_b32 s0, 0
	ds_load_b32 v3, v2
	s_cbranch_vccnz .LBB72_82
; %bb.79:                               ;   in Loop: Header=BB72_78 Depth=1
	v_mov_b32_e32 v1, s3
	s_mov_b32 s8, 0
	s_set_inst_prefetch_distance 0x1
	.p2align	6
.LBB72_80:                              ;   Parent Loop BB72_78 Depth=1
                                        ; =>  This Inner Loop Header: Depth=2
	v_mov_b32_e32 v10, s8
	s_add_i32 s0, s0, 8
	s_add_i32 s8, s8, 32
	s_cmp_eq_u32 s5, s0
	ds_load_2addr_b32 v[4:5], v10 offset1:1
	ds_load_2addr_b32 v[6:7], v10 offset0:2 offset1:3
	ds_load_2addr_b32 v[8:9], v10 offset0:4 offset1:5
	;; [unrolled: 1-line block ×3, first 2 shown]
	s_waitcnt lgkmcnt(3)
	v_cmp_gt_i32_e32 vcc_lo, v3, v4
	v_cndmask_b32_e64 v4, 0, 1, vcc_lo
	s_waitcnt lgkmcnt(2)
	v_cmp_gt_i32_e32 vcc_lo, v3, v6
	v_cndmask_b32_e64 v6, 0, 1, vcc_lo
	v_cmp_gt_i32_e32 vcc_lo, v3, v5
	v_add_co_ci_u32_e32 v1, vcc_lo, v1, v4, vcc_lo
	s_waitcnt lgkmcnt(1)
	v_cmp_gt_i32_e32 vcc_lo, v3, v8
	v_cndmask_b32_e64 v4, 0, 1, vcc_lo
	v_cmp_gt_i32_e32 vcc_lo, v3, v7
	v_add_co_ci_u32_e32 v1, vcc_lo, v1, v6, vcc_lo
	;; [unrolled: 5-line block ×3, first 2 shown]
	v_cmp_gt_i32_e32 vcc_lo, v3, v11
	s_delay_alu instid0(VALU_DEP_2)
	v_add_co_ci_u32_e32 v1, vcc_lo, v1, v5, vcc_lo
	s_cbranch_scc0 .LBB72_80
; %bb.81:                               ;   in Loop: Header=BB72_78 Depth=1
	s_set_inst_prefetch_distance 0x2
	s_mov_b32 s0, s5
.LBB72_82:                              ;   in Loop: Header=BB72_78 Depth=1
	s_and_not1_b32 vcc_lo, exec_lo, s6
	s_cbranch_vccnz .LBB72_77
; %bb.83:                               ;   in Loop: Header=BB72_78 Depth=1
	s_lshl_b32 s0, s0, 2
	s_mov_b32 s8, s1
	s_add_i32 s0, s0, 0
.LBB72_84:                              ;   Parent Loop BB72_78 Depth=1
                                        ; =>  This Inner Loop Header: Depth=2
	s_delay_alu instid0(SALU_CYCLE_1)
	v_mov_b32_e32 v4, s0
	s_add_i32 s8, s8, -1
	s_add_i32 s0, s0, 4
	s_cmp_lg_u32 s8, 0
	ds_load_b32 v4, v4
	s_waitcnt lgkmcnt(0)
	v_cmp_gt_i32_e32 vcc_lo, v3, v4
	v_add_co_ci_u32_e32 v1, vcc_lo, 0, v1, vcc_lo
	s_cbranch_scc1 .LBB72_84
	s_branch .LBB72_77
.LBB72_85:
	s_nop 0
	s_sendmsg sendmsg(MSG_DEALLOC_VGPRS)
	s_endpgm
	.section	.rodata,"a",@progbits
	.p2align	6, 0x0
	.amdhsa_kernel _ZN9rocsparseL26csrgemm_fill_block_per_rowILj256ELj32ELj512ELj137ELj64Eii21rocsparse_complex_numIdEEEvT5_PKS3_S5_NS_24const_host_device_scalarIT6_EEPKT4_S5_PKS7_SB_S5_SD_S8_SB_S5_SD_SB_PS3_PS7_21rocsparse_index_base_SG_SG_SG_bbb
		.amdhsa_group_segment_fixed_size 0
		.amdhsa_private_segment_fixed_size 40
		.amdhsa_kernarg_size 172
		.amdhsa_user_sgpr_count 15
		.amdhsa_user_sgpr_dispatch_ptr 0
		.amdhsa_user_sgpr_queue_ptr 0
		.amdhsa_user_sgpr_kernarg_segment_ptr 1
		.amdhsa_user_sgpr_dispatch_id 0
		.amdhsa_user_sgpr_private_segment_size 0
		.amdhsa_wavefront_size32 1
		.amdhsa_uses_dynamic_stack 0
		.amdhsa_enable_private_segment 1
		.amdhsa_system_sgpr_workgroup_id_x 1
		.amdhsa_system_sgpr_workgroup_id_y 0
		.amdhsa_system_sgpr_workgroup_id_z 0
		.amdhsa_system_sgpr_workgroup_info 0
		.amdhsa_system_vgpr_workitem_id 0
		.amdhsa_next_free_vgpr 31
		.amdhsa_next_free_sgpr 44
		.amdhsa_reserve_vcc 1
		.amdhsa_float_round_mode_32 0
		.amdhsa_float_round_mode_16_64 0
		.amdhsa_float_denorm_mode_32 3
		.amdhsa_float_denorm_mode_16_64 3
		.amdhsa_dx10_clamp 1
		.amdhsa_ieee_mode 1
		.amdhsa_fp16_overflow 0
		.amdhsa_workgroup_processor_mode 1
		.amdhsa_memory_ordered 1
		.amdhsa_forward_progress 0
		.amdhsa_shared_vgpr_count 0
		.amdhsa_exception_fp_ieee_invalid_op 0
		.amdhsa_exception_fp_denorm_src 0
		.amdhsa_exception_fp_ieee_div_zero 0
		.amdhsa_exception_fp_ieee_overflow 0
		.amdhsa_exception_fp_ieee_underflow 0
		.amdhsa_exception_fp_ieee_inexact 0
		.amdhsa_exception_int_div_zero 0
	.end_amdhsa_kernel
	.section	.text._ZN9rocsparseL26csrgemm_fill_block_per_rowILj256ELj32ELj512ELj137ELj64Eii21rocsparse_complex_numIdEEEvT5_PKS3_S5_NS_24const_host_device_scalarIT6_EEPKT4_S5_PKS7_SB_S5_SD_S8_SB_S5_SD_SB_PS3_PS7_21rocsparse_index_base_SG_SG_SG_bbb,"axG",@progbits,_ZN9rocsparseL26csrgemm_fill_block_per_rowILj256ELj32ELj512ELj137ELj64Eii21rocsparse_complex_numIdEEEvT5_PKS3_S5_NS_24const_host_device_scalarIT6_EEPKT4_S5_PKS7_SB_S5_SD_S8_SB_S5_SD_SB_PS3_PS7_21rocsparse_index_base_SG_SG_SG_bbb,comdat
.Lfunc_end72:
	.size	_ZN9rocsparseL26csrgemm_fill_block_per_rowILj256ELj32ELj512ELj137ELj64Eii21rocsparse_complex_numIdEEEvT5_PKS3_S5_NS_24const_host_device_scalarIT6_EEPKT4_S5_PKS7_SB_S5_SD_S8_SB_S5_SD_SB_PS3_PS7_21rocsparse_index_base_SG_SG_SG_bbb, .Lfunc_end72-_ZN9rocsparseL26csrgemm_fill_block_per_rowILj256ELj32ELj512ELj137ELj64Eii21rocsparse_complex_numIdEEEvT5_PKS3_S5_NS_24const_host_device_scalarIT6_EEPKT4_S5_PKS7_SB_S5_SD_S8_SB_S5_SD_SB_PS3_PS7_21rocsparse_index_base_SG_SG_SG_bbb
                                        ; -- End function
	.section	.AMDGPU.csdata,"",@progbits
; Kernel info:
; codeLenInByte = 3516
; NumSgprs: 46
; NumVgprs: 31
; ScratchSize: 40
; MemoryBound: 0
; FloatMode: 240
; IeeeMode: 1
; LDSByteSize: 0 bytes/workgroup (compile time only)
; SGPRBlocks: 5
; VGPRBlocks: 3
; NumSGPRsForWavesPerEU: 46
; NumVGPRsForWavesPerEU: 31
; Occupancy: 16
; WaveLimiterHint : 1
; COMPUTE_PGM_RSRC2:SCRATCH_EN: 1
; COMPUTE_PGM_RSRC2:USER_SGPR: 15
; COMPUTE_PGM_RSRC2:TRAP_HANDLER: 0
; COMPUTE_PGM_RSRC2:TGID_X_EN: 1
; COMPUTE_PGM_RSRC2:TGID_Y_EN: 0
; COMPUTE_PGM_RSRC2:TGID_Z_EN: 0
; COMPUTE_PGM_RSRC2:TIDIG_COMP_CNT: 0
	.section	.text._ZN9rocsparseL26csrgemm_fill_block_per_rowILj512ELj32ELj1024ELj137ELj32Eii21rocsparse_complex_numIdEEEvT5_PKS3_S5_NS_24const_host_device_scalarIT6_EEPKT4_S5_PKS7_SB_S5_SD_S8_SB_S5_SD_SB_PS3_PS7_21rocsparse_index_base_SG_SG_SG_bbb,"axG",@progbits,_ZN9rocsparseL26csrgemm_fill_block_per_rowILj512ELj32ELj1024ELj137ELj32Eii21rocsparse_complex_numIdEEEvT5_PKS3_S5_NS_24const_host_device_scalarIT6_EEPKT4_S5_PKS7_SB_S5_SD_S8_SB_S5_SD_SB_PS3_PS7_21rocsparse_index_base_SG_SG_SG_bbb,comdat
	.globl	_ZN9rocsparseL26csrgemm_fill_block_per_rowILj512ELj32ELj1024ELj137ELj32Eii21rocsparse_complex_numIdEEEvT5_PKS3_S5_NS_24const_host_device_scalarIT6_EEPKT4_S5_PKS7_SB_S5_SD_S8_SB_S5_SD_SB_PS3_PS7_21rocsparse_index_base_SG_SG_SG_bbb ; -- Begin function _ZN9rocsparseL26csrgemm_fill_block_per_rowILj512ELj32ELj1024ELj137ELj32Eii21rocsparse_complex_numIdEEEvT5_PKS3_S5_NS_24const_host_device_scalarIT6_EEPKT4_S5_PKS7_SB_S5_SD_S8_SB_S5_SD_SB_PS3_PS7_21rocsparse_index_base_SG_SG_SG_bbb
	.p2align	8
	.type	_ZN9rocsparseL26csrgemm_fill_block_per_rowILj512ELj32ELj1024ELj137ELj32Eii21rocsparse_complex_numIdEEEvT5_PKS3_S5_NS_24const_host_device_scalarIT6_EEPKT4_S5_PKS7_SB_S5_SD_S8_SB_S5_SD_SB_PS3_PS7_21rocsparse_index_base_SG_SG_SG_bbb,@function
_ZN9rocsparseL26csrgemm_fill_block_per_rowILj512ELj32ELj1024ELj137ELj32Eii21rocsparse_complex_numIdEEEvT5_PKS3_S5_NS_24const_host_device_scalarIT6_EEPKT4_S5_PKS7_SB_S5_SD_S8_SB_S5_SD_SB_PS3_PS7_21rocsparse_index_base_SG_SG_SG_bbb: ; @_ZN9rocsparseL26csrgemm_fill_block_per_rowILj512ELj32ELj1024ELj137ELj32Eii21rocsparse_complex_numIdEEEvT5_PKS3_S5_NS_24const_host_device_scalarIT6_EEPKT4_S5_PKS7_SB_S5_SD_S8_SB_S5_SD_SB_PS3_PS7_21rocsparse_index_base_SG_SG_SG_bbb
; %bb.0:
	s_clause 0x3
	s_load_b32 s14, s[0:1], 0xa8
	s_load_b128 s[4:7], s[0:1], 0x18
	s_load_b128 s[40:43], s[0:1], 0x58
	;; [unrolled: 1-line block ×3, first 2 shown]
	v_mov_b32_e32 v1, 0
	v_mov_b32_e32 v2, 0
	s_waitcnt lgkmcnt(0)
	s_bitcmp1_b32 s14, 0
	v_mov_b32_e32 v3, s4
	s_cselect_b32 s12, -1, 0
	s_bitcmp1_b32 s14, 16
	v_dual_mov_b32 v6, v2 :: v_dual_mov_b32 v5, v1
	s_cselect_b32 s2, -1, 0
	v_mov_b32_e32 v4, s5
	s_xor_b32 s13, s2, -1
	v_dual_mov_b32 v9, s40 :: v_dual_mov_b32 v10, s41
	v_cndmask_b32_e64 v7, 0, 1, s13
	s_bitcmp0_b32 s14, 0
	s_clause 0x1
	scratch_store_b64 off, v[3:4], off offset:16
	scratch_store_b64 off, v[9:10], off offset:24
	v_cmp_ne_u32_e32 vcc_lo, 1, v7
	v_dual_mov_b32 v8, v2 :: v_dual_mov_b32 v7, v1
	s_cbranch_scc1 .LBB73_3
; %bb.1:
	s_mov_b64 s[8:9], src_private_base
	s_and_b32 s3, s2, exec_lo
	s_cselect_b32 s3, s9, s5
	s_delay_alu instid0(SALU_CYCLE_1) | instskip(SKIP_2) | instid1(VALU_DEP_2)
	v_dual_mov_b32 v3, 16 :: v_dual_mov_b32 v4, s3
	v_dual_mov_b32 v8, s7 :: v_dual_mov_b32 v7, s6
	s_and_b32 vcc_lo, exec_lo, vcc_lo
	v_cndmask_b32_e64 v3, s4, v3, s2
	flat_load_b64 v[5:6], v[3:4]
	s_cbranch_vccnz .LBB73_3
; %bb.2:
	v_dual_mov_b32 v3, s4 :: v_dual_mov_b32 v4, s5
	flat_load_b64 v[7:8], v[3:4] offset:8
.LBB73_3:
	s_clause 0x4
	s_load_b128 s[28:31], s[0:1], 0x88
	s_load_b256 s[16:23], s[0:1], 0x68
	s_load_b128 s[36:39], s[0:1], 0x48
	s_load_b128 s[44:47], s[0:1], 0x8
	s_load_b256 s[4:11], s[0:1], 0x28
	s_bitcmp1_b32 s14, 8
	v_dual_mov_b32 v4, v2 :: v_dual_mov_b32 v3, v1
	s_cselect_b32 s3, -1, 0
	s_bfe_u32 s14, s14, 0x10008
	s_delay_alu instid0(SALU_CYCLE_1)
	s_cmp_eq_u32 s14, 0
	s_cbranch_scc1 .LBB73_6
; %bb.4:
	s_mov_b64 s[34:35], src_private_base
	s_and_b32 s14, s2, exec_lo
	s_cselect_b32 s14, s35, s41
	s_delay_alu instid0(SALU_CYCLE_1) | instskip(SKIP_1) | instid1(VALU_DEP_1)
	v_dual_mov_b32 v1, 24 :: v_dual_mov_b32 v2, s14
	s_and_not1_b32 vcc_lo, exec_lo, s13
	v_cndmask_b32_e64 v1, s40, v1, s2
	flat_load_b64 v[3:4], v[1:2]
	v_dual_mov_b32 v1, s42 :: v_dual_mov_b32 v2, s43
	s_cbranch_vccnz .LBB73_6
; %bb.5:
	v_dual_mov_b32 v1, s40 :: v_dual_mov_b32 v2, s41
	flat_load_b64 v[1:2], v[1:2] offset:8
.LBB73_6:
	s_load_b32 s33, s[0:1], 0x0
	s_mov_b32 s0, 0
	v_or_b32_e32 v23, 0xfffffe00, v0
	s_mov_b32 s1, s0
	s_delay_alu instid0(SALU_CYCLE_1) | instskip(SKIP_3) | instid1(VALU_DEP_2)
	v_dual_mov_b32 v10, s1 :: v_dual_lshlrev_b32 v11, 4, v0
	v_lshl_add_u32 v24, v0, 2, 0
	s_mov_b32 s34, s0
	s_mov_b32 s35, s0
	v_add3_u32 v25, v11, 0, 0x1000
	v_dual_mov_b32 v11, s34 :: v_dual_mov_b32 v14, v23
	v_dual_mov_b32 v9, s0 :: v_dual_mov_b32 v12, s35
	s_delay_alu instid0(VALU_DEP_3)
	v_dual_mov_b32 v13, v24 :: v_dual_mov_b32 v16, v25
	s_waitcnt lgkmcnt(0)
	v_mov_b32_e32 v15, s33
.LBB73_7:                               ; =>This Inner Loop Header: Depth=1
	v_add_co_u32 v14, s1, 0x200, v14
	s_delay_alu instid0(VALU_DEP_1)
	s_xor_b32 s1, s1, -1
	ds_store_b32 v13, v15
	ds_store_2addr_b64 v16, v[9:10], v[11:12] offset1:1
	v_add_nc_u32_e32 v16, 0x2000, v16
	v_add_nc_u32_e32 v13, 0x800, v13
	s_and_b32 s1, exec_lo, s1
	s_delay_alu instid0(SALU_CYCLE_1) | instskip(NEXT) | instid1(SALU_CYCLE_1)
	s_or_b32 s0, s1, s0
	s_and_not1_b32 exec_lo, exec_lo, s0
	s_cbranch_execnz .LBB73_7
; %bb.8:
	s_or_b32 exec_lo, exec_lo, s0
	s_waitcnt vmcnt(0) lgkmcnt(0)
	s_waitcnt_vscnt null, 0x0
	s_barrier
	buffer_gl0_inv
	s_load_b32 s0, s[44:45], 0x0
	s_mov_b32 s1, 0
	v_lshrrev_b32_e32 v26, 5, v0
	s_waitcnt lgkmcnt(0)
	s_add_i32 s0, s0, s15
	s_delay_alu instid0(SALU_CYCLE_1) | instskip(NEXT) | instid1(SALU_CYCLE_1)
	s_lshl_b64 s[0:1], s[0:1], 2
	s_add_u32 s0, s46, s0
	s_addc_u32 s1, s47, s1
	s_and_b32 vcc_lo, exec_lo, s12
	s_load_b32 s34, s[0:1], 0x0
	s_cbranch_vccz .LBB73_36
; %bb.9:
	s_waitcnt lgkmcnt(0)
	s_ashr_i32 s35, s34, 31
	v_subrev_nc_u32_e32 v9, s24, v26
	s_lshl_b64 s[0:1], s[34:35], 2
	s_delay_alu instid0(SALU_CYCLE_1)
	s_add_u32 s0, s4, s0
	s_addc_u32 s1, s5, s1
	s_load_b64 s[0:1], s[0:1], 0x0
	s_waitcnt lgkmcnt(0)
	v_add_nc_u32_e32 v9, s0, v9
	s_sub_i32 s0, s1, s24
	s_mov_b32 s1, exec_lo
	s_delay_alu instid0(VALU_DEP_1)
	v_cmpx_gt_i32_e64 s0, v9
	s_cbranch_execz .LBB73_35
; %bb.10:
	v_and_b32_e32 v10, 31, v0
	s_mov_b32 s2, 0
	s_delay_alu instid0(VALU_DEP_1)
	v_subrev_nc_u32_e32 v27, s25, v10
	s_branch .LBB73_12
.LBB73_11:                              ;   in Loop: Header=BB73_12 Depth=1
	s_or_b32 exec_lo, exec_lo, s4
	v_add_nc_u32_e32 v9, 16, v9
	s_delay_alu instid0(VALU_DEP_1) | instskip(SKIP_1) | instid1(SALU_CYCLE_1)
	v_cmp_le_i32_e32 vcc_lo, s0, v9
	s_or_b32 s2, vcc_lo, s2
	s_and_not1_b32 exec_lo, exec_lo, s2
	s_cbranch_execz .LBB73_35
.LBB73_12:                              ; =>This Loop Header: Depth=1
                                        ;     Child Loop BB73_15 Depth 2
                                        ;       Child Loop BB73_17 Depth 3
                                        ;         Child Loop BB73_23 Depth 4
                                        ;         Child Loop BB73_25 Depth 4
	;; [unrolled: 1-line block ×4, first 2 shown]
	v_ashrrev_i32_e32 v10, 31, v9
	s_mov_b32 s4, exec_lo
	s_delay_alu instid0(VALU_DEP_1) | instskip(NEXT) | instid1(VALU_DEP_1)
	v_lshlrev_b64 v[11:12], 2, v[9:10]
	v_add_co_u32 v11, vcc_lo, s6, v11
	s_delay_alu instid0(VALU_DEP_2) | instskip(SKIP_3) | instid1(VALU_DEP_1)
	v_add_co_ci_u32_e32 v12, vcc_lo, s7, v12, vcc_lo
	global_load_b32 v11, v[11:12], off
	s_waitcnt vmcnt(0)
	v_subrev_nc_u32_e32 v11, s24, v11
	v_ashrrev_i32_e32 v12, 31, v11
	s_delay_alu instid0(VALU_DEP_1) | instskip(NEXT) | instid1(VALU_DEP_1)
	v_lshlrev_b64 v[11:12], 2, v[11:12]
	v_add_co_u32 v11, vcc_lo, s10, v11
	s_delay_alu instid0(VALU_DEP_2) | instskip(SKIP_4) | instid1(VALU_DEP_1)
	v_add_co_ci_u32_e32 v12, vcc_lo, s11, v12, vcc_lo
	global_load_b64 v[11:12], v[11:12], off
	s_waitcnt vmcnt(0)
	v_subrev_nc_u32_e32 v28, s25, v12
	v_add_nc_u32_e32 v11, v11, v27
	v_cmpx_lt_i32_e64 v11, v28
	s_cbranch_execz .LBB73_11
; %bb.13:                               ;   in Loop: Header=BB73_12 Depth=1
	v_lshlrev_b64 v[12:13], 4, v[9:10]
	s_mov_b32 s5, 0
	s_delay_alu instid0(VALU_DEP_1) | instskip(NEXT) | instid1(VALU_DEP_2)
	v_add_co_u32 v12, vcc_lo, s8, v12
	v_add_co_ci_u32_e32 v13, vcc_lo, s9, v13, vcc_lo
	global_load_b128 v[15:18], v[12:13], off
	s_waitcnt vmcnt(0)
	v_mul_f64 v[12:13], v[17:18], -v[7:8]
	v_mul_f64 v[17:18], v[5:6], v[17:18]
	s_delay_alu instid0(VALU_DEP_2) | instskip(NEXT) | instid1(VALU_DEP_2)
	v_fma_f64 v[13:14], v[5:6], v[15:16], v[12:13]
	v_fma_f64 v[15:16], v[7:8], v[15:16], v[17:18]
	s_branch .LBB73_15
.LBB73_14:                              ;   in Loop: Header=BB73_15 Depth=2
	s_or_b32 exec_lo, exec_lo, s12
	v_add_nc_u32_e32 v11, 32, v11
	s_delay_alu instid0(VALU_DEP_1) | instskip(SKIP_1) | instid1(SALU_CYCLE_1)
	v_cmp_ge_i32_e32 vcc_lo, v11, v28
	s_or_b32 s5, vcc_lo, s5
	s_and_not1_b32 exec_lo, exec_lo, s5
	s_cbranch_execz .LBB73_11
.LBB73_15:                              ;   Parent Loop BB73_12 Depth=1
                                        ; =>  This Loop Header: Depth=2
                                        ;       Child Loop BB73_17 Depth 3
                                        ;         Child Loop BB73_23 Depth 4
                                        ;         Child Loop BB73_25 Depth 4
	;; [unrolled: 1-line block ×4, first 2 shown]
	v_ashrrev_i32_e32 v12, 31, v11
	s_mov_b32 s12, 0
	s_delay_alu instid0(VALU_DEP_1) | instskip(NEXT) | instid1(VALU_DEP_1)
	v_lshlrev_b64 v[17:18], 4, v[11:12]
	v_add_co_u32 v17, vcc_lo, s38, v17
	s_delay_alu instid0(VALU_DEP_2) | instskip(SKIP_2) | instid1(VALU_DEP_1)
	v_add_co_ci_u32_e32 v18, vcc_lo, s39, v18, vcc_lo
	global_load_b128 v[19:22], v[17:18], off
	v_lshlrev_b64 v[17:18], 2, v[11:12]
	v_add_co_u32 v17, vcc_lo, s36, v17
	s_delay_alu instid0(VALU_DEP_2)
	v_add_co_ci_u32_e32 v18, vcc_lo, s37, v18, vcc_lo
	global_load_b32 v10, v[17:18], off
	s_waitcnt vmcnt(1)
	v_mul_f64 v[17:18], v[21:22], -v[15:16]
	v_mul_f64 v[21:22], v[13:14], v[21:22]
	s_waitcnt vmcnt(0)
	v_subrev_nc_u32_e32 v10, s25, v10
	s_delay_alu instid0(VALU_DEP_1) | instskip(NEXT) | instid1(VALU_DEP_1)
	v_mul_lo_u32 v12, 0x89, v10
	v_and_b32_e32 v12, 0x3ff, v12
	v_fma_f64 v[17:18], v[13:14], v[19:20], v[17:18]
	v_fma_f64 v[19:20], v[15:16], v[19:20], v[21:22]
	s_branch .LBB73_17
.LBB73_16:                              ;   in Loop: Header=BB73_17 Depth=3
	s_or_b32 exec_lo, exec_lo, s13
	s_xor_b32 s13, s14, -1
	s_delay_alu instid0(SALU_CYCLE_1) | instskip(NEXT) | instid1(SALU_CYCLE_1)
	s_and_b32 s13, exec_lo, s13
	s_or_b32 s12, s13, s12
	s_delay_alu instid0(SALU_CYCLE_1)
	s_and_not1_b32 exec_lo, exec_lo, s12
	s_cbranch_execz .LBB73_14
.LBB73_17:                              ;   Parent Loop BB73_12 Depth=1
                                        ;     Parent Loop BB73_15 Depth=2
                                        ; =>    This Loop Header: Depth=3
                                        ;         Child Loop BB73_23 Depth 4
                                        ;         Child Loop BB73_25 Depth 4
	;; [unrolled: 1-line block ×4, first 2 shown]
	s_delay_alu instid0(VALU_DEP_3)
	v_lshl_add_u32 v21, v12, 2, 0
	s_mov_b32 s13, exec_lo
                                        ; implicit-def: $sgpr14
	ds_load_b32 v22, v21
	s_waitcnt lgkmcnt(0)
	v_cmpx_ne_u32_e64 v22, v10
	s_xor_b32 s13, exec_lo, s13
	s_cbranch_execz .LBB73_29
; %bb.18:                               ;   in Loop: Header=BB73_17 Depth=3
	s_mov_b32 s15, exec_lo
                                        ; implicit-def: $sgpr14
	v_cmpx_ne_u32_e64 s33, v22
	s_xor_b32 s15, exec_lo, s15
; %bb.19:                               ;   in Loop: Header=BB73_17 Depth=3
	v_add_nc_u32_e32 v12, 1, v12
	s_mov_b32 s14, -1
                                        ; implicit-def: $vgpr21
	s_delay_alu instid0(VALU_DEP_1)
	v_and_b32_e32 v12, 0x3ff, v12
; %bb.20:                               ;   in Loop: Header=BB73_17 Depth=3
	s_and_not1_saveexec_b32 s15, s15
	s_cbranch_execz .LBB73_28
; %bb.21:                               ;   in Loop: Header=BB73_17 Depth=3
	v_mov_b32_e32 v22, s33
	s_mov_b32 s40, -1
	s_mov_b32 s35, exec_lo
	ds_cmpstore_rtn_b32 v22, v21, v10, v22
	s_waitcnt lgkmcnt(0)
	v_cmpx_eq_u32_e64 s33, v22
	s_cbranch_execz .LBB73_27
; %bb.22:                               ;   in Loop: Header=BB73_17 Depth=3
	v_mul_lo_u32 v22, v12, 12
	s_mov_b32 s40, 0
	s_delay_alu instid0(VALU_DEP_1)
	v_add_nc_u32_e32 v29, v21, v22
	ds_load_b64 v[21:22], v29 offset:4096
.LBB73_23:                              ;   Parent Loop BB73_12 Depth=1
                                        ;     Parent Loop BB73_15 Depth=2
                                        ;       Parent Loop BB73_17 Depth=3
                                        ; =>      This Inner Loop Header: Depth=4
	s_waitcnt lgkmcnt(0)
	v_add_f64 v[30:31], v[21:22], v[17:18]
	ds_cmpstore_rtn_b64 v[30:31], v29, v[30:31], v[21:22] offset:4096
	s_waitcnt lgkmcnt(0)
	v_cmp_eq_u64_e32 vcc_lo, v[30:31], v[21:22]
	v_dual_mov_b32 v21, v30 :: v_dual_mov_b32 v22, v31
	s_or_b32 s40, vcc_lo, s40
	s_delay_alu instid0(SALU_CYCLE_1)
	s_and_not1_b32 exec_lo, exec_lo, s40
	s_cbranch_execnz .LBB73_23
; %bb.24:                               ;   in Loop: Header=BB73_17 Depth=3
	s_or_b32 exec_lo, exec_lo, s40
	ds_load_b64 v[21:22], v29 offset:4104
	s_mov_b32 s40, 0
.LBB73_25:                              ;   Parent Loop BB73_12 Depth=1
                                        ;     Parent Loop BB73_15 Depth=2
                                        ;       Parent Loop BB73_17 Depth=3
                                        ; =>      This Inner Loop Header: Depth=4
	s_waitcnt lgkmcnt(0)
	v_add_f64 v[30:31], v[21:22], v[19:20]
	ds_cmpstore_rtn_b64 v[30:31], v29, v[30:31], v[21:22] offset:4104
	s_waitcnt lgkmcnt(0)
	v_cmp_eq_u64_e32 vcc_lo, v[30:31], v[21:22]
	v_dual_mov_b32 v21, v30 :: v_dual_mov_b32 v22, v31
	s_or_b32 s40, vcc_lo, s40
	s_delay_alu instid0(SALU_CYCLE_1)
	s_and_not1_b32 exec_lo, exec_lo, s40
	s_cbranch_execnz .LBB73_25
; %bb.26:                               ;   in Loop: Header=BB73_17 Depth=3
	s_or_b32 exec_lo, exec_lo, s40
	s_delay_alu instid0(SALU_CYCLE_1)
	s_xor_b32 s40, exec_lo, -1
.LBB73_27:                              ;   in Loop: Header=BB73_17 Depth=3
	s_or_b32 exec_lo, exec_lo, s35
	s_delay_alu instid0(SALU_CYCLE_1) | instskip(SKIP_1) | instid1(SALU_CYCLE_1)
	s_and_not1_b32 s14, s14, exec_lo
	s_and_b32 s35, s40, exec_lo
	s_or_b32 s14, s14, s35
.LBB73_28:                              ;   in Loop: Header=BB73_17 Depth=3
	s_or_b32 exec_lo, exec_lo, s15
	s_delay_alu instid0(SALU_CYCLE_1)
	s_and_b32 s14, s14, exec_lo
                                        ; implicit-def: $vgpr21
.LBB73_29:                              ;   in Loop: Header=BB73_17 Depth=3
	s_and_not1_saveexec_b32 s13, s13
	s_cbranch_execz .LBB73_16
; %bb.30:                               ;   in Loop: Header=BB73_17 Depth=3
	v_mul_lo_u32 v22, v12, 12
	s_mov_b32 s15, 0
	s_delay_alu instid0(VALU_DEP_1)
	v_add_nc_u32_e32 v29, v21, v22
	ds_load_b64 v[21:22], v29 offset:4096
.LBB73_31:                              ;   Parent Loop BB73_12 Depth=1
                                        ;     Parent Loop BB73_15 Depth=2
                                        ;       Parent Loop BB73_17 Depth=3
                                        ; =>      This Inner Loop Header: Depth=4
	s_waitcnt lgkmcnt(0)
	v_add_f64 v[30:31], v[21:22], v[17:18]
	ds_cmpstore_rtn_b64 v[30:31], v29, v[30:31], v[21:22] offset:4096
	s_waitcnt lgkmcnt(0)
	v_cmp_eq_u64_e32 vcc_lo, v[30:31], v[21:22]
	v_dual_mov_b32 v21, v30 :: v_dual_mov_b32 v22, v31
	s_or_b32 s15, vcc_lo, s15
	s_delay_alu instid0(SALU_CYCLE_1)
	s_and_not1_b32 exec_lo, exec_lo, s15
	s_cbranch_execnz .LBB73_31
; %bb.32:                               ;   in Loop: Header=BB73_17 Depth=3
	s_or_b32 exec_lo, exec_lo, s15
	ds_load_b64 v[21:22], v29 offset:4104
	s_mov_b32 s15, 0
.LBB73_33:                              ;   Parent Loop BB73_12 Depth=1
                                        ;     Parent Loop BB73_15 Depth=2
                                        ;       Parent Loop BB73_17 Depth=3
                                        ; =>      This Inner Loop Header: Depth=4
	s_waitcnt lgkmcnt(0)
	v_add_f64 v[30:31], v[21:22], v[19:20]
	ds_cmpstore_rtn_b64 v[30:31], v29, v[30:31], v[21:22] offset:4104
	s_waitcnt lgkmcnt(0)
	v_cmp_eq_u64_e32 vcc_lo, v[30:31], v[21:22]
	v_dual_mov_b32 v21, v30 :: v_dual_mov_b32 v22, v31
	s_or_b32 s15, vcc_lo, s15
	s_delay_alu instid0(SALU_CYCLE_1)
	s_and_not1_b32 exec_lo, exec_lo, s15
	s_cbranch_execnz .LBB73_33
; %bb.34:                               ;   in Loop: Header=BB73_17 Depth=3
	s_or_b32 exec_lo, exec_lo, s15
	s_delay_alu instid0(SALU_CYCLE_1)
	s_and_not1_b32 s14, s14, exec_lo
	s_branch .LBB73_16
.LBB73_35:
	s_or_b32 exec_lo, exec_lo, s1
.LBB73_36:
	s_delay_alu instid0(SALU_CYCLE_1)
	s_and_not1_b32 vcc_lo, exec_lo, s3
	s_cbranch_vccnz .LBB73_61
; %bb.37:
	s_waitcnt lgkmcnt(0)
	s_ashr_i32 s35, s34, 31
	v_subrev_nc_u32_e32 v5, s27, v0
	s_lshl_b64 s[0:1], s[34:35], 2
	s_delay_alu instid0(SALU_CYCLE_1)
	s_add_u32 s0, s16, s0
	s_addc_u32 s1, s17, s1
	s_load_b64 s[0:1], s[0:1], 0x0
	s_waitcnt lgkmcnt(0)
	v_add_nc_u32_e32 v5, s0, v5
	s_sub_i32 s0, s1, s27
	s_mov_b32 s1, exec_lo
	s_delay_alu instid0(VALU_DEP_1)
	v_cmpx_gt_i32_e64 s0, v5
	s_cbranch_execz .LBB73_60
; %bb.38:
	s_mov_b32 s2, 0
	s_branch .LBB73_40
.LBB73_39:                              ;   in Loop: Header=BB73_40 Depth=1
	s_or_b32 exec_lo, exec_lo, s3
	v_add_nc_u32_e32 v5, 0x200, v5
	s_delay_alu instid0(VALU_DEP_1) | instskip(SKIP_1) | instid1(SALU_CYCLE_1)
	v_cmp_le_i32_e32 vcc_lo, s0, v5
	s_or_b32 s2, vcc_lo, s2
	s_and_not1_b32 exec_lo, exec_lo, s2
	s_cbranch_execz .LBB73_60
.LBB73_40:                              ; =>This Loop Header: Depth=1
                                        ;     Child Loop BB73_42 Depth 2
                                        ;       Child Loop BB73_48 Depth 3
                                        ;       Child Loop BB73_50 Depth 3
	;; [unrolled: 1-line block ×4, first 2 shown]
	v_ashrrev_i32_e32 v6, 31, v5
	s_mov_b32 s3, 0
	s_delay_alu instid0(VALU_DEP_1) | instskip(NEXT) | instid1(VALU_DEP_1)
	v_lshlrev_b64 v[7:8], 4, v[5:6]
	v_add_co_u32 v7, vcc_lo, s20, v7
	s_delay_alu instid0(VALU_DEP_2) | instskip(SKIP_2) | instid1(VALU_DEP_1)
	v_add_co_ci_u32_e32 v8, vcc_lo, s21, v8, vcc_lo
	global_load_b128 v[8:11], v[7:8], off
	v_lshlrev_b64 v[6:7], 2, v[5:6]
	v_add_co_u32 v6, vcc_lo, s18, v6
	s_delay_alu instid0(VALU_DEP_2)
	v_add_co_ci_u32_e32 v7, vcc_lo, s19, v7, vcc_lo
	global_load_b32 v12, v[6:7], off
	s_waitcnt vmcnt(1)
	v_mul_f64 v[6:7], v[10:11], -v[1:2]
	v_mul_f64 v[10:11], v[3:4], v[10:11]
	s_waitcnt vmcnt(0)
	v_subrev_nc_u32_e32 v12, s27, v12
	s_delay_alu instid0(VALU_DEP_3) | instskip(NEXT) | instid1(VALU_DEP_3)
	v_fma_f64 v[6:7], v[3:4], v[8:9], v[6:7]
	v_fma_f64 v[8:9], v[1:2], v[8:9], v[10:11]
	s_delay_alu instid0(VALU_DEP_3) | instskip(NEXT) | instid1(VALU_DEP_1)
	v_mul_lo_u32 v10, 0x89, v12
	v_and_b32_e32 v13, 0x3ff, v10
	s_branch .LBB73_42
.LBB73_41:                              ;   in Loop: Header=BB73_42 Depth=2
	s_or_b32 exec_lo, exec_lo, s4
	s_xor_b32 s4, s5, -1
	s_delay_alu instid0(SALU_CYCLE_1) | instskip(NEXT) | instid1(SALU_CYCLE_1)
	s_and_b32 s4, exec_lo, s4
	s_or_b32 s3, s4, s3
	s_delay_alu instid0(SALU_CYCLE_1)
	s_and_not1_b32 exec_lo, exec_lo, s3
	s_cbranch_execz .LBB73_39
.LBB73_42:                              ;   Parent Loop BB73_40 Depth=1
                                        ; =>  This Loop Header: Depth=2
                                        ;       Child Loop BB73_48 Depth 3
                                        ;       Child Loop BB73_50 Depth 3
	;; [unrolled: 1-line block ×4, first 2 shown]
	s_delay_alu instid0(VALU_DEP_1)
	v_lshl_add_u32 v10, v13, 2, 0
	s_mov_b32 s4, exec_lo
                                        ; implicit-def: $sgpr5
	ds_load_b32 v11, v10
	s_waitcnt lgkmcnt(0)
	v_cmpx_ne_u32_e64 v11, v12
	s_xor_b32 s4, exec_lo, s4
	s_cbranch_execz .LBB73_54
; %bb.43:                               ;   in Loop: Header=BB73_42 Depth=2
	s_mov_b32 s6, exec_lo
                                        ; implicit-def: $sgpr5
	v_cmpx_ne_u32_e64 s33, v11
	s_xor_b32 s6, exec_lo, s6
; %bb.44:                               ;   in Loop: Header=BB73_42 Depth=2
	v_add_nc_u32_e32 v10, 1, v13
	s_mov_b32 s5, -1
	s_delay_alu instid0(VALU_DEP_1)
	v_and_b32_e32 v13, 0x3ff, v10
                                        ; implicit-def: $vgpr10
; %bb.45:                               ;   in Loop: Header=BB73_42 Depth=2
	s_and_not1_saveexec_b32 s6, s6
	s_cbranch_execz .LBB73_53
; %bb.46:                               ;   in Loop: Header=BB73_42 Depth=2
	v_mov_b32_e32 v11, s33
	s_mov_b32 s8, -1
	s_mov_b32 s7, exec_lo
	ds_cmpstore_rtn_b32 v11, v10, v12, v11
	s_waitcnt lgkmcnt(0)
	v_cmpx_eq_u32_e64 s33, v11
	s_cbranch_execz .LBB73_52
; %bb.47:                               ;   in Loop: Header=BB73_42 Depth=2
	v_mul_lo_u32 v11, v13, 12
	s_mov_b32 s8, 0
	s_delay_alu instid0(VALU_DEP_1)
	v_add_nc_u32_e32 v14, v10, v11
	ds_load_b64 v[10:11], v14 offset:4096
.LBB73_48:                              ;   Parent Loop BB73_40 Depth=1
                                        ;     Parent Loop BB73_42 Depth=2
                                        ; =>    This Inner Loop Header: Depth=3
	s_waitcnt lgkmcnt(0)
	v_add_f64 v[15:16], v[10:11], v[6:7]
	ds_cmpstore_rtn_b64 v[15:16], v14, v[15:16], v[10:11] offset:4096
	s_waitcnt lgkmcnt(0)
	v_cmp_eq_u64_e32 vcc_lo, v[15:16], v[10:11]
	v_dual_mov_b32 v10, v15 :: v_dual_mov_b32 v11, v16
	s_or_b32 s8, vcc_lo, s8
	s_delay_alu instid0(SALU_CYCLE_1)
	s_and_not1_b32 exec_lo, exec_lo, s8
	s_cbranch_execnz .LBB73_48
; %bb.49:                               ;   in Loop: Header=BB73_42 Depth=2
	s_or_b32 exec_lo, exec_lo, s8
	ds_load_b64 v[10:11], v14 offset:4104
	s_mov_b32 s8, 0
.LBB73_50:                              ;   Parent Loop BB73_40 Depth=1
                                        ;     Parent Loop BB73_42 Depth=2
                                        ; =>    This Inner Loop Header: Depth=3
	s_waitcnt lgkmcnt(0)
	v_add_f64 v[15:16], v[10:11], v[8:9]
	ds_cmpstore_rtn_b64 v[15:16], v14, v[15:16], v[10:11] offset:4104
	s_waitcnt lgkmcnt(0)
	v_cmp_eq_u64_e32 vcc_lo, v[15:16], v[10:11]
	v_dual_mov_b32 v10, v15 :: v_dual_mov_b32 v11, v16
	s_or_b32 s8, vcc_lo, s8
	s_delay_alu instid0(SALU_CYCLE_1)
	s_and_not1_b32 exec_lo, exec_lo, s8
	s_cbranch_execnz .LBB73_50
; %bb.51:                               ;   in Loop: Header=BB73_42 Depth=2
	s_or_b32 exec_lo, exec_lo, s8
	s_delay_alu instid0(SALU_CYCLE_1)
	s_xor_b32 s8, exec_lo, -1
.LBB73_52:                              ;   in Loop: Header=BB73_42 Depth=2
	s_or_b32 exec_lo, exec_lo, s7
	s_delay_alu instid0(SALU_CYCLE_1) | instskip(SKIP_1) | instid1(SALU_CYCLE_1)
	s_and_not1_b32 s5, s5, exec_lo
	s_and_b32 s7, s8, exec_lo
	s_or_b32 s5, s5, s7
.LBB73_53:                              ;   in Loop: Header=BB73_42 Depth=2
	s_or_b32 exec_lo, exec_lo, s6
	s_delay_alu instid0(SALU_CYCLE_1)
	s_and_b32 s5, s5, exec_lo
                                        ; implicit-def: $vgpr10
.LBB73_54:                              ;   in Loop: Header=BB73_42 Depth=2
	s_and_not1_saveexec_b32 s4, s4
	s_cbranch_execz .LBB73_41
; %bb.55:                               ;   in Loop: Header=BB73_42 Depth=2
	v_mul_lo_u32 v11, v13, 12
	s_mov_b32 s6, 0
	s_delay_alu instid0(VALU_DEP_1)
	v_add_nc_u32_e32 v14, v10, v11
	ds_load_b64 v[10:11], v14 offset:4096
.LBB73_56:                              ;   Parent Loop BB73_40 Depth=1
                                        ;     Parent Loop BB73_42 Depth=2
                                        ; =>    This Inner Loop Header: Depth=3
	s_waitcnt lgkmcnt(0)
	v_add_f64 v[15:16], v[10:11], v[6:7]
	ds_cmpstore_rtn_b64 v[15:16], v14, v[15:16], v[10:11] offset:4096
	s_waitcnt lgkmcnt(0)
	v_cmp_eq_u64_e32 vcc_lo, v[15:16], v[10:11]
	v_dual_mov_b32 v10, v15 :: v_dual_mov_b32 v11, v16
	s_or_b32 s6, vcc_lo, s6
	s_delay_alu instid0(SALU_CYCLE_1)
	s_and_not1_b32 exec_lo, exec_lo, s6
	s_cbranch_execnz .LBB73_56
; %bb.57:                               ;   in Loop: Header=BB73_42 Depth=2
	s_or_b32 exec_lo, exec_lo, s6
	ds_load_b64 v[10:11], v14 offset:4104
	s_mov_b32 s6, 0
.LBB73_58:                              ;   Parent Loop BB73_40 Depth=1
                                        ;     Parent Loop BB73_42 Depth=2
                                        ; =>    This Inner Loop Header: Depth=3
	s_waitcnt lgkmcnt(0)
	v_add_f64 v[15:16], v[10:11], v[8:9]
	ds_cmpstore_rtn_b64 v[15:16], v14, v[15:16], v[10:11] offset:4104
	s_waitcnt lgkmcnt(0)
	v_cmp_eq_u64_e32 vcc_lo, v[15:16], v[10:11]
	v_dual_mov_b32 v10, v15 :: v_dual_mov_b32 v11, v16
	s_or_b32 s6, vcc_lo, s6
	s_delay_alu instid0(SALU_CYCLE_1)
	s_and_not1_b32 exec_lo, exec_lo, s6
	s_cbranch_execnz .LBB73_58
; %bb.59:                               ;   in Loop: Header=BB73_42 Depth=2
	s_or_b32 exec_lo, exec_lo, s6
	s_delay_alu instid0(SALU_CYCLE_1)
	s_and_not1_b32 s5, s5, exec_lo
	s_branch .LBB73_41
.LBB73_60:
	s_or_b32 exec_lo, exec_lo, s1
.LBB73_61:
	v_mbcnt_lo_u32_b32 v1, -1, 0
	v_lshl_add_u32 v3, v26, 2, 0
	v_cmp_eq_u32_e32 vcc_lo, 0x1ff, v0
	v_cmp_lt_u32_e64 s0, 31, v0
	v_cmp_lt_u32_e64 s1, 63, v0
	v_xor_b32_e32 v1, 63, v1
	v_cmp_lt_u32_e64 s2, 0x5f, v0
	v_cmp_lt_u32_e64 s3, 0x7f, v0
	;; [unrolled: 1-line block ×4, first 2 shown]
	v_lshrrev_b64 v[1:2], v1, -1
	v_cmp_lt_u32_e64 s6, 0xdf, v0
	v_cmp_lt_u32_e64 s7, 0xff, v0
	;; [unrolled: 1-line block ×9, first 2 shown]
	v_mov_b32_e32 v2, 0
	v_mov_b32_e32 v4, 0
	s_mov_b32 s16, 0
	s_waitcnt lgkmcnt(0)
	s_barrier
	buffer_gl0_inv
	s_branch .LBB73_63
.LBB73_62:                              ;   in Loop: Header=BB73_63 Depth=1
	s_or_b32 exec_lo, exec_lo, s15
	s_waitcnt lgkmcnt(0)
	s_barrier
	buffer_gl0_inv
	ds_load_b32 v5, v2 offset:20540
	v_add_co_u32 v23, s15, 0x200, v23
	s_delay_alu instid0(VALU_DEP_1) | instskip(SKIP_3) | instid1(SALU_CYCLE_1)
	s_xor_b32 s15, s15, -1
	v_add_nc_u32_e32 v25, 0x2000, v25
	v_add_nc_u32_e32 v24, 0x800, v24
	s_and_b32 s15, exec_lo, s15
	s_or_b32 s16, s15, s16
	s_waitcnt lgkmcnt(0)
	v_add_nc_u32_e32 v4, v5, v4
	s_and_not1_b32 exec_lo, exec_lo, s16
	s_cbranch_execz .LBB73_97
.LBB73_63:                              ; =>This Inner Loop Header: Depth=1
	ds_load_b32 v5, v24
	ds_load_2addr_b64 v[6:9], v25 offset1:1
	s_waitcnt lgkmcnt(1)
	v_cmp_gt_i32_e64 s15, s33, v5
	s_waitcnt lgkmcnt(0)
	scratch_store_b128 off, v[6:9], off
	s_waitcnt_vscnt null, 0x0
	s_barrier
	buffer_gl0_inv
	s_bcnt1_i32_b32 s17, s15
	s_delay_alu instid0(SALU_CYCLE_1) | instskip(NEXT) | instid1(VALU_DEP_1)
	v_dual_mov_b32 v7, s17 :: v_dual_and_b32 v6, s15, v1
	v_bcnt_u32_b32 v6, v6, 0
	ds_store_b32 v3, v7 offset:20480
	s_waitcnt lgkmcnt(0)
	s_barrier
	buffer_gl0_inv
	s_and_saveexec_b32 s17, s0
	s_cbranch_execnz .LBB73_80
; %bb.64:                               ;   in Loop: Header=BB73_63 Depth=1
	s_or_b32 exec_lo, exec_lo, s17
	s_and_saveexec_b32 s17, s1
	s_cbranch_execnz .LBB73_81
.LBB73_65:                              ;   in Loop: Header=BB73_63 Depth=1
	s_or_b32 exec_lo, exec_lo, s17
	s_and_saveexec_b32 s17, s2
	s_cbranch_execnz .LBB73_82
.LBB73_66:                              ;   in Loop: Header=BB73_63 Depth=1
	s_or_b32 exec_lo, exec_lo, s17
	s_and_saveexec_b32 s17, s3
	s_cbranch_execnz .LBB73_83
.LBB73_67:                              ;   in Loop: Header=BB73_63 Depth=1
	s_or_b32 exec_lo, exec_lo, s17
	s_and_saveexec_b32 s17, s4
	s_cbranch_execnz .LBB73_84
.LBB73_68:                              ;   in Loop: Header=BB73_63 Depth=1
	s_or_b32 exec_lo, exec_lo, s17
	s_and_saveexec_b32 s17, s5
	s_cbranch_execnz .LBB73_85
.LBB73_69:                              ;   in Loop: Header=BB73_63 Depth=1
	s_or_b32 exec_lo, exec_lo, s17
	s_and_saveexec_b32 s17, s6
	s_cbranch_execnz .LBB73_86
.LBB73_70:                              ;   in Loop: Header=BB73_63 Depth=1
	s_or_b32 exec_lo, exec_lo, s17
	s_and_saveexec_b32 s17, s7
	s_cbranch_execnz .LBB73_87
.LBB73_71:                              ;   in Loop: Header=BB73_63 Depth=1
	s_or_b32 exec_lo, exec_lo, s17
	s_and_saveexec_b32 s17, s8
	s_cbranch_execnz .LBB73_88
.LBB73_72:                              ;   in Loop: Header=BB73_63 Depth=1
	s_or_b32 exec_lo, exec_lo, s17
	s_and_saveexec_b32 s17, s9
	s_cbranch_execnz .LBB73_89
.LBB73_73:                              ;   in Loop: Header=BB73_63 Depth=1
	s_or_b32 exec_lo, exec_lo, s17
	s_and_saveexec_b32 s17, s10
	s_cbranch_execnz .LBB73_90
.LBB73_74:                              ;   in Loop: Header=BB73_63 Depth=1
	s_or_b32 exec_lo, exec_lo, s17
	s_and_saveexec_b32 s17, s11
	s_cbranch_execnz .LBB73_91
.LBB73_75:                              ;   in Loop: Header=BB73_63 Depth=1
	s_or_b32 exec_lo, exec_lo, s17
	s_and_saveexec_b32 s17, s12
	s_cbranch_execnz .LBB73_92
.LBB73_76:                              ;   in Loop: Header=BB73_63 Depth=1
	s_or_b32 exec_lo, exec_lo, s17
	s_and_saveexec_b32 s17, s13
	s_cbranch_execnz .LBB73_93
.LBB73_77:                              ;   in Loop: Header=BB73_63 Depth=1
	s_or_b32 exec_lo, exec_lo, s17
	s_and_saveexec_b32 s17, s14
	s_cbranch_execnz .LBB73_94
.LBB73_78:                              ;   in Loop: Header=BB73_63 Depth=1
	s_or_b32 exec_lo, exec_lo, s17
	s_and_saveexec_b32 s17, s15
	s_cbranch_execnz .LBB73_95
.LBB73_79:                              ;   in Loop: Header=BB73_63 Depth=1
	s_or_b32 exec_lo, exec_lo, s17
	s_and_saveexec_b32 s15, vcc_lo
	s_cbranch_execz .LBB73_62
	s_branch .LBB73_96
.LBB73_80:                              ;   in Loop: Header=BB73_63 Depth=1
	ds_load_b32 v7, v2 offset:20480
	s_waitcnt lgkmcnt(0)
	v_add_nc_u32_e32 v6, v7, v6
	s_or_b32 exec_lo, exec_lo, s17
	s_and_saveexec_b32 s17, s1
	s_cbranch_execz .LBB73_65
.LBB73_81:                              ;   in Loop: Header=BB73_63 Depth=1
	ds_load_b32 v7, v2 offset:20484
	s_waitcnt lgkmcnt(0)
	v_add_nc_u32_e32 v6, v7, v6
	s_or_b32 exec_lo, exec_lo, s17
	s_and_saveexec_b32 s17, s2
	s_cbranch_execz .LBB73_66
.LBB73_82:                              ;   in Loop: Header=BB73_63 Depth=1
	ds_load_b32 v7, v2 offset:20488
	s_waitcnt lgkmcnt(0)
	v_add_nc_u32_e32 v6, v7, v6
	s_or_b32 exec_lo, exec_lo, s17
	s_and_saveexec_b32 s17, s3
	s_cbranch_execz .LBB73_67
.LBB73_83:                              ;   in Loop: Header=BB73_63 Depth=1
	ds_load_b32 v7, v2 offset:20492
	s_waitcnt lgkmcnt(0)
	v_add_nc_u32_e32 v6, v7, v6
	s_or_b32 exec_lo, exec_lo, s17
	s_and_saveexec_b32 s17, s4
	s_cbranch_execz .LBB73_68
.LBB73_84:                              ;   in Loop: Header=BB73_63 Depth=1
	ds_load_b32 v7, v2 offset:20496
	s_waitcnt lgkmcnt(0)
	v_add_nc_u32_e32 v6, v7, v6
	s_or_b32 exec_lo, exec_lo, s17
	s_and_saveexec_b32 s17, s5
	s_cbranch_execz .LBB73_69
.LBB73_85:                              ;   in Loop: Header=BB73_63 Depth=1
	ds_load_b32 v7, v2 offset:20500
	s_waitcnt lgkmcnt(0)
	v_add_nc_u32_e32 v6, v7, v6
	s_or_b32 exec_lo, exec_lo, s17
	s_and_saveexec_b32 s17, s6
	s_cbranch_execz .LBB73_70
.LBB73_86:                              ;   in Loop: Header=BB73_63 Depth=1
	ds_load_b32 v7, v2 offset:20504
	s_waitcnt lgkmcnt(0)
	v_add_nc_u32_e32 v6, v7, v6
	s_or_b32 exec_lo, exec_lo, s17
	s_and_saveexec_b32 s17, s7
	s_cbranch_execz .LBB73_71
.LBB73_87:                              ;   in Loop: Header=BB73_63 Depth=1
	ds_load_b32 v7, v2 offset:20508
	s_waitcnt lgkmcnt(0)
	v_add_nc_u32_e32 v6, v7, v6
	s_or_b32 exec_lo, exec_lo, s17
	s_and_saveexec_b32 s17, s8
	s_cbranch_execz .LBB73_72
.LBB73_88:                              ;   in Loop: Header=BB73_63 Depth=1
	ds_load_b32 v7, v2 offset:20512
	s_waitcnt lgkmcnt(0)
	v_add_nc_u32_e32 v6, v7, v6
	s_or_b32 exec_lo, exec_lo, s17
	s_and_saveexec_b32 s17, s9
	s_cbranch_execz .LBB73_73
.LBB73_89:                              ;   in Loop: Header=BB73_63 Depth=1
	ds_load_b32 v7, v2 offset:20516
	s_waitcnt lgkmcnt(0)
	v_add_nc_u32_e32 v6, v7, v6
	s_or_b32 exec_lo, exec_lo, s17
	s_and_saveexec_b32 s17, s10
	s_cbranch_execz .LBB73_74
.LBB73_90:                              ;   in Loop: Header=BB73_63 Depth=1
	ds_load_b32 v7, v2 offset:20520
	s_waitcnt lgkmcnt(0)
	v_add_nc_u32_e32 v6, v7, v6
	s_or_b32 exec_lo, exec_lo, s17
	s_and_saveexec_b32 s17, s11
	s_cbranch_execz .LBB73_75
.LBB73_91:                              ;   in Loop: Header=BB73_63 Depth=1
	ds_load_b32 v7, v2 offset:20524
	s_waitcnt lgkmcnt(0)
	v_add_nc_u32_e32 v6, v7, v6
	s_or_b32 exec_lo, exec_lo, s17
	s_and_saveexec_b32 s17, s12
	s_cbranch_execz .LBB73_76
.LBB73_92:                              ;   in Loop: Header=BB73_63 Depth=1
	ds_load_b32 v7, v2 offset:20528
	s_waitcnt lgkmcnt(0)
	v_add_nc_u32_e32 v6, v7, v6
	s_or_b32 exec_lo, exec_lo, s17
	s_and_saveexec_b32 s17, s13
	s_cbranch_execz .LBB73_77
.LBB73_93:                              ;   in Loop: Header=BB73_63 Depth=1
	ds_load_b32 v7, v2 offset:20532
	s_waitcnt lgkmcnt(0)
	v_add_nc_u32_e32 v6, v7, v6
	s_or_b32 exec_lo, exec_lo, s17
	s_and_saveexec_b32 s17, s14
	s_cbranch_execz .LBB73_78
.LBB73_94:                              ;   in Loop: Header=BB73_63 Depth=1
	ds_load_b32 v7, v2 offset:20536
	s_waitcnt lgkmcnt(0)
	v_add_nc_u32_e32 v6, v7, v6
	s_or_b32 exec_lo, exec_lo, s17
	s_and_saveexec_b32 s17, s15
	s_cbranch_execz .LBB73_79
.LBB73_95:                              ;   in Loop: Header=BB73_63 Depth=1
	scratch_load_b128 v[7:10], off, off
	v_add3_u32 v11, v4, -1, v6
	s_delay_alu instid0(VALU_DEP_1) | instskip(SKIP_1) | instid1(VALU_DEP_2)
	v_lshlrev_b32_e32 v12, 4, v11
	v_lshl_add_u32 v11, v11, 2, 0
	v_add3_u32 v12, 0, v12, 0x1000
	ds_store_b32 v11, v5
	s_waitcnt vmcnt(0)
	ds_store_2addr_b64 v12, v[7:8], v[9:10] offset1:1
	s_or_b32 exec_lo, exec_lo, s17
	s_and_saveexec_b32 s15, vcc_lo
	s_cbranch_execz .LBB73_62
.LBB73_96:                              ;   in Loop: Header=BB73_63 Depth=1
	ds_store_b32 v2, v6 offset:20540
	s_branch .LBB73_62
.LBB73_97:
	s_or_b32 exec_lo, exec_lo, s16
	s_ashr_i32 s35, s34, 31
	s_mov_b32 s3, exec_lo
	s_lshl_b64 s[0:1], s[34:35], 2
	s_delay_alu instid0(SALU_CYCLE_1) | instskip(SKIP_4) | instid1(SALU_CYCLE_1)
	s_add_u32 s0, s22, s0
	s_addc_u32 s1, s23, s1
	s_load_b64 s[0:1], s[0:1], 0x0
	s_waitcnt lgkmcnt(0)
	s_sub_i32 s2, s1, s0
	v_cmpx_gt_i32_e64 s2, v0
	s_cbranch_execz .LBB73_107
; %bb.98:
	s_sub_i32 s3, s0, s26
	s_sub_i32 s0, s0, s1
	s_and_b32 s1, s2, 7
	s_cmp_lt_u32 s0, -7
	s_mov_b32 s7, 0
	s_cselect_b32 s4, -1, 0
	s_and_b32 s5, s2, -8
	s_cmp_lg_u32 s1, 0
	s_cselect_b32 s6, -1, 0
	s_branch .LBB73_100
.LBB73_99:                              ;   in Loop: Header=BB73_100 Depth=1
	v_mul_lo_u32 v4, v0, 12
	v_add_nc_u32_e32 v0, 0x200, v0
	s_waitcnt lgkmcnt(0)
	v_add_nc_u32_e32 v3, s26, v3
	s_delay_alu instid0(VALU_DEP_3) | instskip(SKIP_4) | instid1(VALU_DEP_2)
	v_add3_u32 v4, v2, v4, 0x1000
	v_ashrrev_i32_e32 v2, 31, v1
	ds_load_2addr_b64 v[4:7], v4 offset1:1
	v_lshlrev_b64 v[8:9], 2, v[1:2]
	v_lshlrev_b64 v[1:2], 4, v[1:2]
	v_add_co_u32 v8, vcc_lo, s28, v8
	s_delay_alu instid0(VALU_DEP_3) | instskip(SKIP_1) | instid1(VALU_DEP_4)
	v_add_co_ci_u32_e32 v9, vcc_lo, s29, v9, vcc_lo
	v_cmp_le_i32_e32 vcc_lo, s2, v0
	v_add_co_u32 v1, s0, s30, v1
	s_delay_alu instid0(VALU_DEP_1)
	v_add_co_ci_u32_e64 v2, s0, s31, v2, s0
	s_or_b32 s7, vcc_lo, s7
	global_store_b32 v[8:9], v3, off
	s_waitcnt lgkmcnt(0)
	global_store_b128 v[1:2], v[4:7], off
	s_and_not1_b32 exec_lo, exec_lo, s7
	s_cbranch_execz .LBB73_107
.LBB73_100:                             ; =>This Loop Header: Depth=1
                                        ;     Child Loop BB73_102 Depth 2
                                        ;     Child Loop BB73_106 Depth 2
	v_lshl_add_u32 v2, v0, 2, 0
	v_mov_b32_e32 v1, s3
	s_and_not1_b32 vcc_lo, exec_lo, s4
	s_mov_b32 s0, 0
	ds_load_b32 v3, v2
	s_cbranch_vccnz .LBB73_104
; %bb.101:                              ;   in Loop: Header=BB73_100 Depth=1
	v_mov_b32_e32 v1, s3
	s_mov_b32 s8, 0
	s_set_inst_prefetch_distance 0x1
	.p2align	6
.LBB73_102:                             ;   Parent Loop BB73_100 Depth=1
                                        ; =>  This Inner Loop Header: Depth=2
	v_mov_b32_e32 v10, s8
	s_add_i32 s0, s0, 8
	s_add_i32 s8, s8, 32
	s_cmp_eq_u32 s5, s0
	ds_load_2addr_b32 v[4:5], v10 offset1:1
	ds_load_2addr_b32 v[6:7], v10 offset0:2 offset1:3
	ds_load_2addr_b32 v[8:9], v10 offset0:4 offset1:5
	;; [unrolled: 1-line block ×3, first 2 shown]
	s_waitcnt lgkmcnt(3)
	v_cmp_gt_i32_e32 vcc_lo, v3, v4
	v_cndmask_b32_e64 v4, 0, 1, vcc_lo
	s_waitcnt lgkmcnt(2)
	v_cmp_gt_i32_e32 vcc_lo, v3, v6
	v_cndmask_b32_e64 v6, 0, 1, vcc_lo
	v_cmp_gt_i32_e32 vcc_lo, v3, v5
	v_add_co_ci_u32_e32 v1, vcc_lo, v1, v4, vcc_lo
	s_waitcnt lgkmcnt(1)
	v_cmp_gt_i32_e32 vcc_lo, v3, v8
	v_cndmask_b32_e64 v4, 0, 1, vcc_lo
	v_cmp_gt_i32_e32 vcc_lo, v3, v7
	v_add_co_ci_u32_e32 v1, vcc_lo, v1, v6, vcc_lo
	;; [unrolled: 5-line block ×3, first 2 shown]
	v_cmp_gt_i32_e32 vcc_lo, v3, v11
	s_delay_alu instid0(VALU_DEP_2)
	v_add_co_ci_u32_e32 v1, vcc_lo, v1, v5, vcc_lo
	s_cbranch_scc0 .LBB73_102
; %bb.103:                              ;   in Loop: Header=BB73_100 Depth=1
	s_set_inst_prefetch_distance 0x2
	s_mov_b32 s0, s5
.LBB73_104:                             ;   in Loop: Header=BB73_100 Depth=1
	s_and_not1_b32 vcc_lo, exec_lo, s6
	s_cbranch_vccnz .LBB73_99
; %bb.105:                              ;   in Loop: Header=BB73_100 Depth=1
	s_lshl_b32 s0, s0, 2
	s_mov_b32 s8, s1
	s_add_i32 s0, s0, 0
.LBB73_106:                             ;   Parent Loop BB73_100 Depth=1
                                        ; =>  This Inner Loop Header: Depth=2
	s_delay_alu instid0(SALU_CYCLE_1)
	v_mov_b32_e32 v4, s0
	s_add_i32 s8, s8, -1
	s_add_i32 s0, s0, 4
	s_cmp_lg_u32 s8, 0
	ds_load_b32 v4, v4
	s_waitcnt lgkmcnt(0)
	v_cmp_gt_i32_e32 vcc_lo, v3, v4
	v_add_co_ci_u32_e32 v1, vcc_lo, 0, v1, vcc_lo
	s_cbranch_scc1 .LBB73_106
	s_branch .LBB73_99
.LBB73_107:
	s_nop 0
	s_sendmsg sendmsg(MSG_DEALLOC_VGPRS)
	s_endpgm
	.section	.rodata,"a",@progbits
	.p2align	6, 0x0
	.amdhsa_kernel _ZN9rocsparseL26csrgemm_fill_block_per_rowILj512ELj32ELj1024ELj137ELj32Eii21rocsparse_complex_numIdEEEvT5_PKS3_S5_NS_24const_host_device_scalarIT6_EEPKT4_S5_PKS7_SB_S5_SD_S8_SB_S5_SD_SB_PS3_PS7_21rocsparse_index_base_SG_SG_SG_bbb
		.amdhsa_group_segment_fixed_size 0
		.amdhsa_private_segment_fixed_size 40
		.amdhsa_kernarg_size 172
		.amdhsa_user_sgpr_count 15
		.amdhsa_user_sgpr_dispatch_ptr 0
		.amdhsa_user_sgpr_queue_ptr 0
		.amdhsa_user_sgpr_kernarg_segment_ptr 1
		.amdhsa_user_sgpr_dispatch_id 0
		.amdhsa_user_sgpr_private_segment_size 0
		.amdhsa_wavefront_size32 1
		.amdhsa_uses_dynamic_stack 0
		.amdhsa_enable_private_segment 1
		.amdhsa_system_sgpr_workgroup_id_x 1
		.amdhsa_system_sgpr_workgroup_id_y 0
		.amdhsa_system_sgpr_workgroup_id_z 0
		.amdhsa_system_sgpr_workgroup_info 0
		.amdhsa_system_vgpr_workitem_id 0
		.amdhsa_next_free_vgpr 32
		.amdhsa_next_free_sgpr 48
		.amdhsa_reserve_vcc 1
		.amdhsa_float_round_mode_32 0
		.amdhsa_float_round_mode_16_64 0
		.amdhsa_float_denorm_mode_32 3
		.amdhsa_float_denorm_mode_16_64 3
		.amdhsa_dx10_clamp 1
		.amdhsa_ieee_mode 1
		.amdhsa_fp16_overflow 0
		.amdhsa_workgroup_processor_mode 1
		.amdhsa_memory_ordered 1
		.amdhsa_forward_progress 0
		.amdhsa_shared_vgpr_count 0
		.amdhsa_exception_fp_ieee_invalid_op 0
		.amdhsa_exception_fp_denorm_src 0
		.amdhsa_exception_fp_ieee_div_zero 0
		.amdhsa_exception_fp_ieee_overflow 0
		.amdhsa_exception_fp_ieee_underflow 0
		.amdhsa_exception_fp_ieee_inexact 0
		.amdhsa_exception_int_div_zero 0
	.end_amdhsa_kernel
	.section	.text._ZN9rocsparseL26csrgemm_fill_block_per_rowILj512ELj32ELj1024ELj137ELj32Eii21rocsparse_complex_numIdEEEvT5_PKS3_S5_NS_24const_host_device_scalarIT6_EEPKT4_S5_PKS7_SB_S5_SD_S8_SB_S5_SD_SB_PS3_PS7_21rocsparse_index_base_SG_SG_SG_bbb,"axG",@progbits,_ZN9rocsparseL26csrgemm_fill_block_per_rowILj512ELj32ELj1024ELj137ELj32Eii21rocsparse_complex_numIdEEEvT5_PKS3_S5_NS_24const_host_device_scalarIT6_EEPKT4_S5_PKS7_SB_S5_SD_S8_SB_S5_SD_SB_PS3_PS7_21rocsparse_index_base_SG_SG_SG_bbb,comdat
.Lfunc_end73:
	.size	_ZN9rocsparseL26csrgemm_fill_block_per_rowILj512ELj32ELj1024ELj137ELj32Eii21rocsparse_complex_numIdEEEvT5_PKS3_S5_NS_24const_host_device_scalarIT6_EEPKT4_S5_PKS7_SB_S5_SD_S8_SB_S5_SD_SB_PS3_PS7_21rocsparse_index_base_SG_SG_SG_bbb, .Lfunc_end73-_ZN9rocsparseL26csrgemm_fill_block_per_rowILj512ELj32ELj1024ELj137ELj32Eii21rocsparse_complex_numIdEEEvT5_PKS3_S5_NS_24const_host_device_scalarIT6_EEPKT4_S5_PKS7_SB_S5_SD_S8_SB_S5_SD_SB_PS3_PS7_21rocsparse_index_base_SG_SG_SG_bbb
                                        ; -- End function
	.section	.AMDGPU.csdata,"",@progbits
; Kernel info:
; codeLenInByte = 4088
; NumSgprs: 50
; NumVgprs: 32
; ScratchSize: 40
; MemoryBound: 0
; FloatMode: 240
; IeeeMode: 1
; LDSByteSize: 0 bytes/workgroup (compile time only)
; SGPRBlocks: 6
; VGPRBlocks: 3
; NumSGPRsForWavesPerEU: 50
; NumVGPRsForWavesPerEU: 32
; Occupancy: 16
; WaveLimiterHint : 1
; COMPUTE_PGM_RSRC2:SCRATCH_EN: 1
; COMPUTE_PGM_RSRC2:USER_SGPR: 15
; COMPUTE_PGM_RSRC2:TRAP_HANDLER: 0
; COMPUTE_PGM_RSRC2:TGID_X_EN: 1
; COMPUTE_PGM_RSRC2:TGID_Y_EN: 0
; COMPUTE_PGM_RSRC2:TGID_Z_EN: 0
; COMPUTE_PGM_RSRC2:TIDIG_COMP_CNT: 0
	.section	.text._ZN9rocsparseL26csrgemm_fill_block_per_rowILj512ELj32ELj1024ELj137ELj64Eii21rocsparse_complex_numIdEEEvT5_PKS3_S5_NS_24const_host_device_scalarIT6_EEPKT4_S5_PKS7_SB_S5_SD_S8_SB_S5_SD_SB_PS3_PS7_21rocsparse_index_base_SG_SG_SG_bbb,"axG",@progbits,_ZN9rocsparseL26csrgemm_fill_block_per_rowILj512ELj32ELj1024ELj137ELj64Eii21rocsparse_complex_numIdEEEvT5_PKS3_S5_NS_24const_host_device_scalarIT6_EEPKT4_S5_PKS7_SB_S5_SD_S8_SB_S5_SD_SB_PS3_PS7_21rocsparse_index_base_SG_SG_SG_bbb,comdat
	.globl	_ZN9rocsparseL26csrgemm_fill_block_per_rowILj512ELj32ELj1024ELj137ELj64Eii21rocsparse_complex_numIdEEEvT5_PKS3_S5_NS_24const_host_device_scalarIT6_EEPKT4_S5_PKS7_SB_S5_SD_S8_SB_S5_SD_SB_PS3_PS7_21rocsparse_index_base_SG_SG_SG_bbb ; -- Begin function _ZN9rocsparseL26csrgemm_fill_block_per_rowILj512ELj32ELj1024ELj137ELj64Eii21rocsparse_complex_numIdEEEvT5_PKS3_S5_NS_24const_host_device_scalarIT6_EEPKT4_S5_PKS7_SB_S5_SD_S8_SB_S5_SD_SB_PS3_PS7_21rocsparse_index_base_SG_SG_SG_bbb
	.p2align	8
	.type	_ZN9rocsparseL26csrgemm_fill_block_per_rowILj512ELj32ELj1024ELj137ELj64Eii21rocsparse_complex_numIdEEEvT5_PKS3_S5_NS_24const_host_device_scalarIT6_EEPKT4_S5_PKS7_SB_S5_SD_S8_SB_S5_SD_SB_PS3_PS7_21rocsparse_index_base_SG_SG_SG_bbb,@function
_ZN9rocsparseL26csrgemm_fill_block_per_rowILj512ELj32ELj1024ELj137ELj64Eii21rocsparse_complex_numIdEEEvT5_PKS3_S5_NS_24const_host_device_scalarIT6_EEPKT4_S5_PKS7_SB_S5_SD_S8_SB_S5_SD_SB_PS3_PS7_21rocsparse_index_base_SG_SG_SG_bbb: ; @_ZN9rocsparseL26csrgemm_fill_block_per_rowILj512ELj32ELj1024ELj137ELj64Eii21rocsparse_complex_numIdEEEvT5_PKS3_S5_NS_24const_host_device_scalarIT6_EEPKT4_S5_PKS7_SB_S5_SD_S8_SB_S5_SD_SB_PS3_PS7_21rocsparse_index_base_SG_SG_SG_bbb
; %bb.0:
	s_clause 0x3
	s_load_b32 s14, s[0:1], 0xa8
	s_load_b128 s[4:7], s[0:1], 0x18
	s_load_b128 s[40:43], s[0:1], 0x58
	;; [unrolled: 1-line block ×3, first 2 shown]
	v_mov_b32_e32 v1, 0
	v_mov_b32_e32 v2, 0
	s_waitcnt lgkmcnt(0)
	s_bitcmp1_b32 s14, 0
	v_mov_b32_e32 v3, s4
	s_cselect_b32 s13, -1, 0
	s_bitcmp1_b32 s14, 16
	v_dual_mov_b32 v6, v2 :: v_dual_mov_b32 v5, v1
	s_cselect_b32 s2, -1, 0
	v_mov_b32_e32 v4, s5
	s_xor_b32 s12, s2, -1
	v_dual_mov_b32 v9, s40 :: v_dual_mov_b32 v10, s41
	v_cndmask_b32_e64 v7, 0, 1, s12
	s_bitcmp0_b32 s14, 0
	s_clause 0x1
	scratch_store_b64 off, v[3:4], off offset:16
	scratch_store_b64 off, v[9:10], off offset:24
	v_cmp_ne_u32_e32 vcc_lo, 1, v7
	v_dual_mov_b32 v8, v2 :: v_dual_mov_b32 v7, v1
	s_cbranch_scc1 .LBB74_3
; %bb.1:
	s_mov_b64 s[8:9], src_private_base
	s_and_b32 s3, s2, exec_lo
	s_cselect_b32 s3, s9, s5
	s_delay_alu instid0(SALU_CYCLE_1) | instskip(SKIP_2) | instid1(VALU_DEP_2)
	v_dual_mov_b32 v3, 16 :: v_dual_mov_b32 v4, s3
	v_dual_mov_b32 v8, s7 :: v_dual_mov_b32 v7, s6
	s_and_b32 vcc_lo, exec_lo, vcc_lo
	v_cndmask_b32_e64 v3, s4, v3, s2
	flat_load_b64 v[5:6], v[3:4]
	s_cbranch_vccnz .LBB74_3
; %bb.2:
	v_dual_mov_b32 v3, s4 :: v_dual_mov_b32 v4, s5
	flat_load_b64 v[7:8], v[3:4] offset:8
.LBB74_3:
	s_clause 0x4
	s_load_b128 s[28:31], s[0:1], 0x88
	s_load_b256 s[4:11], s[0:1], 0x68
	s_load_b128 s[36:39], s[0:1], 0x48
	s_load_b128 s[44:47], s[0:1], 0x8
	s_load_b256 s[16:23], s[0:1], 0x28
	s_bitcmp1_b32 s14, 8
	v_dual_mov_b32 v4, v2 :: v_dual_mov_b32 v3, v1
	s_cselect_b32 s3, -1, 0
	s_bfe_u32 s14, s14, 0x10008
	s_delay_alu instid0(SALU_CYCLE_1)
	s_cmp_eq_u32 s14, 0
	s_cbranch_scc1 .LBB74_6
; %bb.4:
	s_mov_b64 s[34:35], src_private_base
	s_and_b32 s14, s2, exec_lo
	s_cselect_b32 s14, s35, s41
	s_delay_alu instid0(SALU_CYCLE_1) | instskip(SKIP_1) | instid1(VALU_DEP_1)
	v_dual_mov_b32 v1, 24 :: v_dual_mov_b32 v2, s14
	s_and_not1_b32 vcc_lo, exec_lo, s12
	v_cndmask_b32_e64 v1, s40, v1, s2
	flat_load_b64 v[3:4], v[1:2]
	v_dual_mov_b32 v1, s42 :: v_dual_mov_b32 v2, s43
	s_cbranch_vccnz .LBB74_6
; %bb.5:
	v_dual_mov_b32 v1, s40 :: v_dual_mov_b32 v2, s41
	flat_load_b64 v[1:2], v[1:2] offset:8
.LBB74_6:
	s_load_b32 s14, s[0:1], 0x0
	s_mov_b32 s0, 0
	v_or_b32_e32 v23, 0xfffffe00, v0
	s_mov_b32 s1, s0
	s_delay_alu instid0(SALU_CYCLE_1) | instskip(SKIP_3) | instid1(VALU_DEP_2)
	v_dual_mov_b32 v10, s1 :: v_dual_lshlrev_b32 v11, 4, v0
	v_lshl_add_u32 v24, v0, 2, 0
	s_mov_b32 s34, s0
	s_mov_b32 s35, s0
	v_add3_u32 v25, v11, 0, 0x1000
	v_dual_mov_b32 v11, s34 :: v_dual_mov_b32 v14, v23
	v_dual_mov_b32 v9, s0 :: v_dual_mov_b32 v12, s35
	s_delay_alu instid0(VALU_DEP_3)
	v_dual_mov_b32 v13, v24 :: v_dual_mov_b32 v16, v25
	s_waitcnt lgkmcnt(0)
	v_mov_b32_e32 v15, s14
.LBB74_7:                               ; =>This Inner Loop Header: Depth=1
	v_add_co_u32 v14, s1, 0x200, v14
	s_delay_alu instid0(VALU_DEP_1)
	s_xor_b32 s1, s1, -1
	ds_store_b32 v13, v15
	ds_store_2addr_b64 v16, v[9:10], v[11:12] offset1:1
	v_add_nc_u32_e32 v16, 0x2000, v16
	v_add_nc_u32_e32 v13, 0x800, v13
	s_and_b32 s1, exec_lo, s1
	s_delay_alu instid0(SALU_CYCLE_1) | instskip(NEXT) | instid1(SALU_CYCLE_1)
	s_or_b32 s0, s1, s0
	s_and_not1_b32 exec_lo, exec_lo, s0
	s_cbranch_execnz .LBB74_7
; %bb.8:
	s_or_b32 exec_lo, exec_lo, s0
	s_waitcnt vmcnt(0) lgkmcnt(0)
	s_waitcnt_vscnt null, 0x0
	s_barrier
	buffer_gl0_inv
	s_load_b32 s0, s[44:45], 0x0
	s_mov_b32 s1, 0
	s_waitcnt lgkmcnt(0)
	s_add_i32 s0, s0, s15
	s_delay_alu instid0(SALU_CYCLE_1) | instskip(NEXT) | instid1(SALU_CYCLE_1)
	s_lshl_b64 s[0:1], s[0:1], 2
	s_add_u32 s0, s46, s0
	s_addc_u32 s1, s47, s1
	s_and_b32 vcc_lo, exec_lo, s13
	s_load_b32 s12, s[0:1], 0x0
	s_cbranch_vccz .LBB74_36
; %bb.9:
	s_waitcnt lgkmcnt(0)
	s_ashr_i32 s13, s12, 31
	v_lshrrev_b32_e32 v9, 5, v0
	s_lshl_b64 s[0:1], s[12:13], 2
	s_delay_alu instid0(SALU_CYCLE_1) | instskip(SKIP_1) | instid1(VALU_DEP_1)
	s_add_u32 s0, s16, s0
	s_addc_u32 s1, s17, s1
	v_subrev_nc_u32_e32 v9, s24, v9
	s_load_b64 s[0:1], s[0:1], 0x0
	s_waitcnt lgkmcnt(0)
	s_delay_alu instid0(VALU_DEP_1) | instskip(SKIP_2) | instid1(VALU_DEP_1)
	v_add_nc_u32_e32 v9, s0, v9
	s_sub_i32 s0, s1, s24
	s_mov_b32 s1, exec_lo
	v_cmpx_gt_i32_e64 s0, v9
	s_cbranch_execz .LBB74_35
; %bb.10:
	v_and_b32_e32 v10, 31, v0
	s_mov_b32 s2, 0
	s_delay_alu instid0(VALU_DEP_1)
	v_subrev_nc_u32_e32 v26, s25, v10
	s_branch .LBB74_12
.LBB74_11:                              ;   in Loop: Header=BB74_12 Depth=1
	s_or_b32 exec_lo, exec_lo, s13
	v_add_nc_u32_e32 v9, 16, v9
	s_delay_alu instid0(VALU_DEP_1) | instskip(SKIP_1) | instid1(SALU_CYCLE_1)
	v_cmp_le_i32_e32 vcc_lo, s0, v9
	s_or_b32 s2, vcc_lo, s2
	s_and_not1_b32 exec_lo, exec_lo, s2
	s_cbranch_execz .LBB74_35
.LBB74_12:                              ; =>This Loop Header: Depth=1
                                        ;     Child Loop BB74_15 Depth 2
                                        ;       Child Loop BB74_17 Depth 3
                                        ;         Child Loop BB74_23 Depth 4
                                        ;         Child Loop BB74_25 Depth 4
	;; [unrolled: 1-line block ×4, first 2 shown]
	v_ashrrev_i32_e32 v10, 31, v9
	s_mov_b32 s13, exec_lo
	s_delay_alu instid0(VALU_DEP_1) | instskip(NEXT) | instid1(VALU_DEP_1)
	v_lshlrev_b64 v[11:12], 2, v[9:10]
	v_add_co_u32 v11, vcc_lo, s18, v11
	s_delay_alu instid0(VALU_DEP_2) | instskip(SKIP_3) | instid1(VALU_DEP_1)
	v_add_co_ci_u32_e32 v12, vcc_lo, s19, v12, vcc_lo
	global_load_b32 v11, v[11:12], off
	s_waitcnt vmcnt(0)
	v_subrev_nc_u32_e32 v11, s24, v11
	v_ashrrev_i32_e32 v12, 31, v11
	s_delay_alu instid0(VALU_DEP_1) | instskip(NEXT) | instid1(VALU_DEP_1)
	v_lshlrev_b64 v[11:12], 2, v[11:12]
	v_add_co_u32 v11, vcc_lo, s22, v11
	s_delay_alu instid0(VALU_DEP_2) | instskip(SKIP_4) | instid1(VALU_DEP_1)
	v_add_co_ci_u32_e32 v12, vcc_lo, s23, v12, vcc_lo
	global_load_b64 v[11:12], v[11:12], off
	s_waitcnt vmcnt(0)
	v_subrev_nc_u32_e32 v27, s25, v12
	v_add_nc_u32_e32 v11, v11, v26
	v_cmpx_lt_i32_e64 v11, v27
	s_cbranch_execz .LBB74_11
; %bb.13:                               ;   in Loop: Header=BB74_12 Depth=1
	v_lshlrev_b64 v[12:13], 4, v[9:10]
	s_mov_b32 s15, 0
	s_delay_alu instid0(VALU_DEP_1) | instskip(NEXT) | instid1(VALU_DEP_2)
	v_add_co_u32 v12, vcc_lo, s20, v12
	v_add_co_ci_u32_e32 v13, vcc_lo, s21, v13, vcc_lo
	global_load_b128 v[15:18], v[12:13], off
	s_waitcnt vmcnt(0)
	v_mul_f64 v[12:13], v[17:18], -v[7:8]
	v_mul_f64 v[17:18], v[5:6], v[17:18]
	s_delay_alu instid0(VALU_DEP_2) | instskip(NEXT) | instid1(VALU_DEP_2)
	v_fma_f64 v[13:14], v[5:6], v[15:16], v[12:13]
	v_fma_f64 v[15:16], v[7:8], v[15:16], v[17:18]
	s_branch .LBB74_15
.LBB74_14:                              ;   in Loop: Header=BB74_15 Depth=2
	s_or_b32 exec_lo, exec_lo, s16
	v_add_nc_u32_e32 v11, 32, v11
	s_delay_alu instid0(VALU_DEP_1) | instskip(SKIP_1) | instid1(SALU_CYCLE_1)
	v_cmp_ge_i32_e32 vcc_lo, v11, v27
	s_or_b32 s15, vcc_lo, s15
	s_and_not1_b32 exec_lo, exec_lo, s15
	s_cbranch_execz .LBB74_11
.LBB74_15:                              ;   Parent Loop BB74_12 Depth=1
                                        ; =>  This Loop Header: Depth=2
                                        ;       Child Loop BB74_17 Depth 3
                                        ;         Child Loop BB74_23 Depth 4
                                        ;         Child Loop BB74_25 Depth 4
                                        ;         Child Loop BB74_31 Depth 4
                                        ;         Child Loop BB74_33 Depth 4
	v_ashrrev_i32_e32 v12, 31, v11
	s_mov_b32 s16, 0
	s_delay_alu instid0(VALU_DEP_1) | instskip(NEXT) | instid1(VALU_DEP_1)
	v_lshlrev_b64 v[17:18], 4, v[11:12]
	v_add_co_u32 v17, vcc_lo, s38, v17
	s_delay_alu instid0(VALU_DEP_2) | instskip(SKIP_2) | instid1(VALU_DEP_1)
	v_add_co_ci_u32_e32 v18, vcc_lo, s39, v18, vcc_lo
	global_load_b128 v[19:22], v[17:18], off
	v_lshlrev_b64 v[17:18], 2, v[11:12]
	v_add_co_u32 v17, vcc_lo, s36, v17
	s_delay_alu instid0(VALU_DEP_2)
	v_add_co_ci_u32_e32 v18, vcc_lo, s37, v18, vcc_lo
	global_load_b32 v10, v[17:18], off
	s_waitcnt vmcnt(1)
	v_mul_f64 v[17:18], v[21:22], -v[15:16]
	v_mul_f64 v[21:22], v[13:14], v[21:22]
	s_waitcnt vmcnt(0)
	v_subrev_nc_u32_e32 v10, s25, v10
	s_delay_alu instid0(VALU_DEP_1) | instskip(NEXT) | instid1(VALU_DEP_1)
	v_mul_lo_u32 v12, 0x89, v10
	v_and_b32_e32 v12, 0x3ff, v12
	v_fma_f64 v[17:18], v[13:14], v[19:20], v[17:18]
	v_fma_f64 v[19:20], v[15:16], v[19:20], v[21:22]
	s_branch .LBB74_17
.LBB74_16:                              ;   in Loop: Header=BB74_17 Depth=3
	s_or_b32 exec_lo, exec_lo, s17
	s_xor_b32 s17, s33, -1
	s_delay_alu instid0(SALU_CYCLE_1) | instskip(NEXT) | instid1(SALU_CYCLE_1)
	s_and_b32 s17, exec_lo, s17
	s_or_b32 s16, s17, s16
	s_delay_alu instid0(SALU_CYCLE_1)
	s_and_not1_b32 exec_lo, exec_lo, s16
	s_cbranch_execz .LBB74_14
.LBB74_17:                              ;   Parent Loop BB74_12 Depth=1
                                        ;     Parent Loop BB74_15 Depth=2
                                        ; =>    This Loop Header: Depth=3
                                        ;         Child Loop BB74_23 Depth 4
                                        ;         Child Loop BB74_25 Depth 4
	;; [unrolled: 1-line block ×4, first 2 shown]
	s_delay_alu instid0(VALU_DEP_3)
	v_lshl_add_u32 v21, v12, 2, 0
	s_mov_b32 s17, exec_lo
                                        ; implicit-def: $sgpr33
	ds_load_b32 v22, v21
	s_waitcnt lgkmcnt(0)
	v_cmpx_ne_u32_e64 v22, v10
	s_xor_b32 s17, exec_lo, s17
	s_cbranch_execz .LBB74_29
; %bb.18:                               ;   in Loop: Header=BB74_17 Depth=3
	s_mov_b32 s34, exec_lo
                                        ; implicit-def: $sgpr33
	v_cmpx_ne_u32_e64 s14, v22
	s_xor_b32 s34, exec_lo, s34
; %bb.19:                               ;   in Loop: Header=BB74_17 Depth=3
	v_add_nc_u32_e32 v12, 1, v12
	s_mov_b32 s33, -1
                                        ; implicit-def: $vgpr21
	s_delay_alu instid0(VALU_DEP_1)
	v_and_b32_e32 v12, 0x3ff, v12
; %bb.20:                               ;   in Loop: Header=BB74_17 Depth=3
	s_and_not1_saveexec_b32 s34, s34
	s_cbranch_execz .LBB74_28
; %bb.21:                               ;   in Loop: Header=BB74_17 Depth=3
	v_mov_b32_e32 v22, s14
	s_mov_b32 s40, -1
	s_mov_b32 s35, exec_lo
	ds_cmpstore_rtn_b32 v22, v21, v10, v22
	s_waitcnt lgkmcnt(0)
	v_cmpx_eq_u32_e64 s14, v22
	s_cbranch_execz .LBB74_27
; %bb.22:                               ;   in Loop: Header=BB74_17 Depth=3
	v_mul_lo_u32 v22, v12, 12
	s_mov_b32 s40, 0
	s_delay_alu instid0(VALU_DEP_1)
	v_add_nc_u32_e32 v28, v21, v22
	ds_load_b64 v[21:22], v28 offset:4096
.LBB74_23:                              ;   Parent Loop BB74_12 Depth=1
                                        ;     Parent Loop BB74_15 Depth=2
                                        ;       Parent Loop BB74_17 Depth=3
                                        ; =>      This Inner Loop Header: Depth=4
	s_waitcnt lgkmcnt(0)
	v_add_f64 v[29:30], v[21:22], v[17:18]
	ds_cmpstore_rtn_b64 v[29:30], v28, v[29:30], v[21:22] offset:4096
	s_waitcnt lgkmcnt(0)
	v_cmp_eq_u64_e32 vcc_lo, v[29:30], v[21:22]
	v_dual_mov_b32 v21, v29 :: v_dual_mov_b32 v22, v30
	s_or_b32 s40, vcc_lo, s40
	s_delay_alu instid0(SALU_CYCLE_1)
	s_and_not1_b32 exec_lo, exec_lo, s40
	s_cbranch_execnz .LBB74_23
; %bb.24:                               ;   in Loop: Header=BB74_17 Depth=3
	s_or_b32 exec_lo, exec_lo, s40
	ds_load_b64 v[21:22], v28 offset:4104
	s_mov_b32 s40, 0
.LBB74_25:                              ;   Parent Loop BB74_12 Depth=1
                                        ;     Parent Loop BB74_15 Depth=2
                                        ;       Parent Loop BB74_17 Depth=3
                                        ; =>      This Inner Loop Header: Depth=4
	s_waitcnt lgkmcnt(0)
	v_add_f64 v[29:30], v[21:22], v[19:20]
	ds_cmpstore_rtn_b64 v[29:30], v28, v[29:30], v[21:22] offset:4104
	s_waitcnt lgkmcnt(0)
	v_cmp_eq_u64_e32 vcc_lo, v[29:30], v[21:22]
	v_dual_mov_b32 v21, v29 :: v_dual_mov_b32 v22, v30
	s_or_b32 s40, vcc_lo, s40
	s_delay_alu instid0(SALU_CYCLE_1)
	s_and_not1_b32 exec_lo, exec_lo, s40
	s_cbranch_execnz .LBB74_25
; %bb.26:                               ;   in Loop: Header=BB74_17 Depth=3
	s_or_b32 exec_lo, exec_lo, s40
	s_delay_alu instid0(SALU_CYCLE_1)
	s_xor_b32 s40, exec_lo, -1
.LBB74_27:                              ;   in Loop: Header=BB74_17 Depth=3
	s_or_b32 exec_lo, exec_lo, s35
	s_delay_alu instid0(SALU_CYCLE_1) | instskip(SKIP_1) | instid1(SALU_CYCLE_1)
	s_and_not1_b32 s33, s33, exec_lo
	s_and_b32 s35, s40, exec_lo
	s_or_b32 s33, s33, s35
.LBB74_28:                              ;   in Loop: Header=BB74_17 Depth=3
	s_or_b32 exec_lo, exec_lo, s34
	s_delay_alu instid0(SALU_CYCLE_1)
	s_and_b32 s33, s33, exec_lo
                                        ; implicit-def: $vgpr21
.LBB74_29:                              ;   in Loop: Header=BB74_17 Depth=3
	s_and_not1_saveexec_b32 s17, s17
	s_cbranch_execz .LBB74_16
; %bb.30:                               ;   in Loop: Header=BB74_17 Depth=3
	v_mul_lo_u32 v22, v12, 12
	s_mov_b32 s34, 0
	s_delay_alu instid0(VALU_DEP_1)
	v_add_nc_u32_e32 v28, v21, v22
	ds_load_b64 v[21:22], v28 offset:4096
.LBB74_31:                              ;   Parent Loop BB74_12 Depth=1
                                        ;     Parent Loop BB74_15 Depth=2
                                        ;       Parent Loop BB74_17 Depth=3
                                        ; =>      This Inner Loop Header: Depth=4
	s_waitcnt lgkmcnt(0)
	v_add_f64 v[29:30], v[21:22], v[17:18]
	ds_cmpstore_rtn_b64 v[29:30], v28, v[29:30], v[21:22] offset:4096
	s_waitcnt lgkmcnt(0)
	v_cmp_eq_u64_e32 vcc_lo, v[29:30], v[21:22]
	v_dual_mov_b32 v21, v29 :: v_dual_mov_b32 v22, v30
	s_or_b32 s34, vcc_lo, s34
	s_delay_alu instid0(SALU_CYCLE_1)
	s_and_not1_b32 exec_lo, exec_lo, s34
	s_cbranch_execnz .LBB74_31
; %bb.32:                               ;   in Loop: Header=BB74_17 Depth=3
	s_or_b32 exec_lo, exec_lo, s34
	ds_load_b64 v[21:22], v28 offset:4104
	s_mov_b32 s34, 0
.LBB74_33:                              ;   Parent Loop BB74_12 Depth=1
                                        ;     Parent Loop BB74_15 Depth=2
                                        ;       Parent Loop BB74_17 Depth=3
                                        ; =>      This Inner Loop Header: Depth=4
	s_waitcnt lgkmcnt(0)
	v_add_f64 v[29:30], v[21:22], v[19:20]
	ds_cmpstore_rtn_b64 v[29:30], v28, v[29:30], v[21:22] offset:4104
	s_waitcnt lgkmcnt(0)
	v_cmp_eq_u64_e32 vcc_lo, v[29:30], v[21:22]
	v_dual_mov_b32 v21, v29 :: v_dual_mov_b32 v22, v30
	s_or_b32 s34, vcc_lo, s34
	s_delay_alu instid0(SALU_CYCLE_1)
	s_and_not1_b32 exec_lo, exec_lo, s34
	s_cbranch_execnz .LBB74_33
; %bb.34:                               ;   in Loop: Header=BB74_17 Depth=3
	s_or_b32 exec_lo, exec_lo, s34
	s_delay_alu instid0(SALU_CYCLE_1)
	s_and_not1_b32 s33, s33, exec_lo
	s_branch .LBB74_16
.LBB74_35:
	s_or_b32 exec_lo, exec_lo, s1
.LBB74_36:
	s_delay_alu instid0(SALU_CYCLE_1)
	s_and_not1_b32 vcc_lo, exec_lo, s3
	s_cbranch_vccnz .LBB74_61
; %bb.37:
	s_waitcnt lgkmcnt(0)
	s_ashr_i32 s13, s12, 31
	v_subrev_nc_u32_e32 v5, s27, v0
	s_lshl_b64 s[0:1], s[12:13], 2
	s_delay_alu instid0(SALU_CYCLE_1)
	s_add_u32 s0, s4, s0
	s_addc_u32 s1, s5, s1
	s_load_b64 s[0:1], s[0:1], 0x0
	s_waitcnt lgkmcnt(0)
	v_add_nc_u32_e32 v5, s0, v5
	s_sub_i32 s0, s1, s27
	s_mov_b32 s1, exec_lo
	s_delay_alu instid0(VALU_DEP_1)
	v_cmpx_gt_i32_e64 s0, v5
	s_cbranch_execz .LBB74_60
; %bb.38:
	s_mov_b32 s2, 0
	s_branch .LBB74_40
.LBB74_39:                              ;   in Loop: Header=BB74_40 Depth=1
	s_or_b32 exec_lo, exec_lo, s3
	v_add_nc_u32_e32 v5, 0x200, v5
	s_delay_alu instid0(VALU_DEP_1) | instskip(SKIP_1) | instid1(SALU_CYCLE_1)
	v_cmp_le_i32_e32 vcc_lo, s0, v5
	s_or_b32 s2, vcc_lo, s2
	s_and_not1_b32 exec_lo, exec_lo, s2
	s_cbranch_execz .LBB74_60
.LBB74_40:                              ; =>This Loop Header: Depth=1
                                        ;     Child Loop BB74_42 Depth 2
                                        ;       Child Loop BB74_48 Depth 3
                                        ;       Child Loop BB74_50 Depth 3
	;; [unrolled: 1-line block ×4, first 2 shown]
	v_ashrrev_i32_e32 v6, 31, v5
	s_mov_b32 s3, 0
	s_delay_alu instid0(VALU_DEP_1) | instskip(NEXT) | instid1(VALU_DEP_1)
	v_lshlrev_b64 v[7:8], 4, v[5:6]
	v_add_co_u32 v7, vcc_lo, s8, v7
	s_delay_alu instid0(VALU_DEP_2) | instskip(SKIP_2) | instid1(VALU_DEP_1)
	v_add_co_ci_u32_e32 v8, vcc_lo, s9, v8, vcc_lo
	global_load_b128 v[8:11], v[7:8], off
	v_lshlrev_b64 v[6:7], 2, v[5:6]
	v_add_co_u32 v6, vcc_lo, s6, v6
	s_delay_alu instid0(VALU_DEP_2)
	v_add_co_ci_u32_e32 v7, vcc_lo, s7, v7, vcc_lo
	global_load_b32 v12, v[6:7], off
	s_waitcnt vmcnt(1)
	v_mul_f64 v[6:7], v[10:11], -v[1:2]
	v_mul_f64 v[10:11], v[3:4], v[10:11]
	s_waitcnt vmcnt(0)
	v_subrev_nc_u32_e32 v12, s27, v12
	s_delay_alu instid0(VALU_DEP_3) | instskip(NEXT) | instid1(VALU_DEP_3)
	v_fma_f64 v[6:7], v[3:4], v[8:9], v[6:7]
	v_fma_f64 v[8:9], v[1:2], v[8:9], v[10:11]
	s_delay_alu instid0(VALU_DEP_3) | instskip(NEXT) | instid1(VALU_DEP_1)
	v_mul_lo_u32 v10, 0x89, v12
	v_and_b32_e32 v13, 0x3ff, v10
	s_branch .LBB74_42
.LBB74_41:                              ;   in Loop: Header=BB74_42 Depth=2
	s_or_b32 exec_lo, exec_lo, s4
	s_xor_b32 s4, s5, -1
	s_delay_alu instid0(SALU_CYCLE_1) | instskip(NEXT) | instid1(SALU_CYCLE_1)
	s_and_b32 s4, exec_lo, s4
	s_or_b32 s3, s4, s3
	s_delay_alu instid0(SALU_CYCLE_1)
	s_and_not1_b32 exec_lo, exec_lo, s3
	s_cbranch_execz .LBB74_39
.LBB74_42:                              ;   Parent Loop BB74_40 Depth=1
                                        ; =>  This Loop Header: Depth=2
                                        ;       Child Loop BB74_48 Depth 3
                                        ;       Child Loop BB74_50 Depth 3
	;; [unrolled: 1-line block ×4, first 2 shown]
	s_delay_alu instid0(VALU_DEP_1)
	v_lshl_add_u32 v10, v13, 2, 0
	s_mov_b32 s4, exec_lo
                                        ; implicit-def: $sgpr5
	ds_load_b32 v11, v10
	s_waitcnt lgkmcnt(0)
	v_cmpx_ne_u32_e64 v11, v12
	s_xor_b32 s4, exec_lo, s4
	s_cbranch_execz .LBB74_54
; %bb.43:                               ;   in Loop: Header=BB74_42 Depth=2
	s_mov_b32 s13, exec_lo
                                        ; implicit-def: $sgpr5
	v_cmpx_ne_u32_e64 s14, v11
	s_xor_b32 s13, exec_lo, s13
; %bb.44:                               ;   in Loop: Header=BB74_42 Depth=2
	v_add_nc_u32_e32 v10, 1, v13
	s_mov_b32 s5, -1
	s_delay_alu instid0(VALU_DEP_1)
	v_and_b32_e32 v13, 0x3ff, v10
                                        ; implicit-def: $vgpr10
; %bb.45:                               ;   in Loop: Header=BB74_42 Depth=2
	s_and_not1_saveexec_b32 s13, s13
	s_cbranch_execz .LBB74_53
; %bb.46:                               ;   in Loop: Header=BB74_42 Depth=2
	v_mov_b32_e32 v11, s14
	s_mov_b32 s16, -1
	s_mov_b32 s15, exec_lo
	ds_cmpstore_rtn_b32 v11, v10, v12, v11
	s_waitcnt lgkmcnt(0)
	v_cmpx_eq_u32_e64 s14, v11
	s_cbranch_execz .LBB74_52
; %bb.47:                               ;   in Loop: Header=BB74_42 Depth=2
	v_mul_lo_u32 v11, v13, 12
	s_mov_b32 s16, 0
	s_delay_alu instid0(VALU_DEP_1)
	v_add_nc_u32_e32 v14, v10, v11
	ds_load_b64 v[10:11], v14 offset:4096
.LBB74_48:                              ;   Parent Loop BB74_40 Depth=1
                                        ;     Parent Loop BB74_42 Depth=2
                                        ; =>    This Inner Loop Header: Depth=3
	s_waitcnt lgkmcnt(0)
	v_add_f64 v[15:16], v[10:11], v[6:7]
	ds_cmpstore_rtn_b64 v[15:16], v14, v[15:16], v[10:11] offset:4096
	s_waitcnt lgkmcnt(0)
	v_cmp_eq_u64_e32 vcc_lo, v[15:16], v[10:11]
	v_dual_mov_b32 v10, v15 :: v_dual_mov_b32 v11, v16
	s_or_b32 s16, vcc_lo, s16
	s_delay_alu instid0(SALU_CYCLE_1)
	s_and_not1_b32 exec_lo, exec_lo, s16
	s_cbranch_execnz .LBB74_48
; %bb.49:                               ;   in Loop: Header=BB74_42 Depth=2
	s_or_b32 exec_lo, exec_lo, s16
	ds_load_b64 v[10:11], v14 offset:4104
	s_mov_b32 s16, 0
.LBB74_50:                              ;   Parent Loop BB74_40 Depth=1
                                        ;     Parent Loop BB74_42 Depth=2
                                        ; =>    This Inner Loop Header: Depth=3
	s_waitcnt lgkmcnt(0)
	v_add_f64 v[15:16], v[10:11], v[8:9]
	ds_cmpstore_rtn_b64 v[15:16], v14, v[15:16], v[10:11] offset:4104
	s_waitcnt lgkmcnt(0)
	v_cmp_eq_u64_e32 vcc_lo, v[15:16], v[10:11]
	v_dual_mov_b32 v10, v15 :: v_dual_mov_b32 v11, v16
	s_or_b32 s16, vcc_lo, s16
	s_delay_alu instid0(SALU_CYCLE_1)
	s_and_not1_b32 exec_lo, exec_lo, s16
	s_cbranch_execnz .LBB74_50
; %bb.51:                               ;   in Loop: Header=BB74_42 Depth=2
	s_or_b32 exec_lo, exec_lo, s16
	s_delay_alu instid0(SALU_CYCLE_1)
	s_xor_b32 s16, exec_lo, -1
.LBB74_52:                              ;   in Loop: Header=BB74_42 Depth=2
	s_or_b32 exec_lo, exec_lo, s15
	s_delay_alu instid0(SALU_CYCLE_1) | instskip(SKIP_1) | instid1(SALU_CYCLE_1)
	s_and_not1_b32 s5, s5, exec_lo
	s_and_b32 s15, s16, exec_lo
	s_or_b32 s5, s5, s15
.LBB74_53:                              ;   in Loop: Header=BB74_42 Depth=2
	s_or_b32 exec_lo, exec_lo, s13
	s_delay_alu instid0(SALU_CYCLE_1)
	s_and_b32 s5, s5, exec_lo
                                        ; implicit-def: $vgpr10
.LBB74_54:                              ;   in Loop: Header=BB74_42 Depth=2
	s_and_not1_saveexec_b32 s4, s4
	s_cbranch_execz .LBB74_41
; %bb.55:                               ;   in Loop: Header=BB74_42 Depth=2
	v_mul_lo_u32 v11, v13, 12
	s_mov_b32 s13, 0
	s_delay_alu instid0(VALU_DEP_1)
	v_add_nc_u32_e32 v14, v10, v11
	ds_load_b64 v[10:11], v14 offset:4096
.LBB74_56:                              ;   Parent Loop BB74_40 Depth=1
                                        ;     Parent Loop BB74_42 Depth=2
                                        ; =>    This Inner Loop Header: Depth=3
	s_waitcnt lgkmcnt(0)
	v_add_f64 v[15:16], v[10:11], v[6:7]
	ds_cmpstore_rtn_b64 v[15:16], v14, v[15:16], v[10:11] offset:4096
	s_waitcnt lgkmcnt(0)
	v_cmp_eq_u64_e32 vcc_lo, v[15:16], v[10:11]
	v_dual_mov_b32 v10, v15 :: v_dual_mov_b32 v11, v16
	s_or_b32 s13, vcc_lo, s13
	s_delay_alu instid0(SALU_CYCLE_1)
	s_and_not1_b32 exec_lo, exec_lo, s13
	s_cbranch_execnz .LBB74_56
; %bb.57:                               ;   in Loop: Header=BB74_42 Depth=2
	s_or_b32 exec_lo, exec_lo, s13
	ds_load_b64 v[10:11], v14 offset:4104
	s_mov_b32 s13, 0
.LBB74_58:                              ;   Parent Loop BB74_40 Depth=1
                                        ;     Parent Loop BB74_42 Depth=2
                                        ; =>    This Inner Loop Header: Depth=3
	s_waitcnt lgkmcnt(0)
	v_add_f64 v[15:16], v[10:11], v[8:9]
	ds_cmpstore_rtn_b64 v[15:16], v14, v[15:16], v[10:11] offset:4104
	s_waitcnt lgkmcnt(0)
	v_cmp_eq_u64_e32 vcc_lo, v[15:16], v[10:11]
	v_dual_mov_b32 v10, v15 :: v_dual_mov_b32 v11, v16
	s_or_b32 s13, vcc_lo, s13
	s_delay_alu instid0(SALU_CYCLE_1)
	s_and_not1_b32 exec_lo, exec_lo, s13
	s_cbranch_execnz .LBB74_58
; %bb.59:                               ;   in Loop: Header=BB74_42 Depth=2
	s_or_b32 exec_lo, exec_lo, s13
	s_delay_alu instid0(SALU_CYCLE_1)
	s_and_not1_b32 s5, s5, exec_lo
	s_branch .LBB74_41
.LBB74_60:
	s_or_b32 exec_lo, exec_lo, s1
.LBB74_61:
	v_mbcnt_lo_u32_b32 v1, -1, 0
	v_lshrrev_b32_e32 v2, 4, v0
	v_cmp_eq_u32_e32 vcc_lo, 0x1ff, v0
	v_cmp_lt_u32_e64 s0, 63, v0
	v_cmp_lt_u32_e64 s1, 0x7f, v0
	v_xor_b32_e32 v1, 63, v1
	v_dual_mov_b32 v4, 0 :: v_dual_and_b32 v3, 28, v2
	v_cmp_lt_u32_e64 s2, 0xbf, v0
	v_cmp_lt_u32_e64 s3, 0xff, v0
	s_delay_alu instid0(VALU_DEP_4) | instskip(NEXT) | instid1(VALU_DEP_4)
	v_lshrrev_b64 v[1:2], v1, -1
	v_dual_mov_b32 v3, 0 :: v_dual_add_nc_u32 v2, 0, v3
	v_cmp_lt_u32_e64 s4, 0x13f, v0
	v_cmp_lt_u32_e64 s5, 0x17f, v0
	;; [unrolled: 1-line block ×3, first 2 shown]
	s_mov_b32 s8, 0
	s_waitcnt lgkmcnt(0)
	s_barrier
	buffer_gl0_inv
	s_branch .LBB74_63
.LBB74_62:                              ;   in Loop: Header=BB74_63 Depth=1
	s_or_b32 exec_lo, exec_lo, s7
	s_waitcnt lgkmcnt(0)
	s_barrier
	buffer_gl0_inv
	ds_load_b32 v5, v3 offset:20508
	v_add_co_u32 v23, s7, 0x200, v23
	s_delay_alu instid0(VALU_DEP_1) | instskip(SKIP_3) | instid1(SALU_CYCLE_1)
	s_xor_b32 s7, s7, -1
	v_add_nc_u32_e32 v25, 0x2000, v25
	v_add_nc_u32_e32 v24, 0x800, v24
	s_and_b32 s7, exec_lo, s7
	s_or_b32 s8, s7, s8
	s_waitcnt lgkmcnt(0)
	v_add_nc_u32_e32 v4, v5, v4
	s_and_not1_b32 exec_lo, exec_lo, s8
	s_cbranch_execz .LBB74_81
.LBB74_63:                              ; =>This Inner Loop Header: Depth=1
	ds_load_b32 v5, v24
	ds_load_2addr_b64 v[6:9], v25 offset1:1
	s_waitcnt lgkmcnt(1)
	v_cmp_gt_i32_e64 s7, s14, v5
	s_waitcnt lgkmcnt(0)
	scratch_store_b128 off, v[6:9], off
	s_waitcnt_vscnt null, 0x0
	s_barrier
	buffer_gl0_inv
	s_bcnt1_i32_b32 s9, s7
	s_delay_alu instid0(SALU_CYCLE_1) | instskip(NEXT) | instid1(VALU_DEP_1)
	v_dual_mov_b32 v7, s9 :: v_dual_and_b32 v6, s7, v1
	v_bcnt_u32_b32 v6, v6, 0
	ds_store_b32 v2, v7 offset:20480
	s_waitcnt lgkmcnt(0)
	s_barrier
	buffer_gl0_inv
	s_and_saveexec_b32 s9, s0
	s_cbranch_execnz .LBB74_72
; %bb.64:                               ;   in Loop: Header=BB74_63 Depth=1
	s_or_b32 exec_lo, exec_lo, s9
	s_and_saveexec_b32 s9, s1
	s_cbranch_execnz .LBB74_73
.LBB74_65:                              ;   in Loop: Header=BB74_63 Depth=1
	s_or_b32 exec_lo, exec_lo, s9
	s_and_saveexec_b32 s9, s2
	s_cbranch_execnz .LBB74_74
.LBB74_66:                              ;   in Loop: Header=BB74_63 Depth=1
	s_or_b32 exec_lo, exec_lo, s9
	s_and_saveexec_b32 s9, s3
	s_cbranch_execnz .LBB74_75
.LBB74_67:                              ;   in Loop: Header=BB74_63 Depth=1
	s_or_b32 exec_lo, exec_lo, s9
	s_and_saveexec_b32 s9, s4
	s_cbranch_execnz .LBB74_76
.LBB74_68:                              ;   in Loop: Header=BB74_63 Depth=1
	s_or_b32 exec_lo, exec_lo, s9
	s_and_saveexec_b32 s9, s5
	s_cbranch_execnz .LBB74_77
.LBB74_69:                              ;   in Loop: Header=BB74_63 Depth=1
	s_or_b32 exec_lo, exec_lo, s9
	s_and_saveexec_b32 s9, s6
	s_cbranch_execnz .LBB74_78
.LBB74_70:                              ;   in Loop: Header=BB74_63 Depth=1
	s_or_b32 exec_lo, exec_lo, s9
	s_and_saveexec_b32 s9, s7
	s_cbranch_execnz .LBB74_79
.LBB74_71:                              ;   in Loop: Header=BB74_63 Depth=1
	s_or_b32 exec_lo, exec_lo, s9
	s_and_saveexec_b32 s7, vcc_lo
	s_cbranch_execz .LBB74_62
	s_branch .LBB74_80
.LBB74_72:                              ;   in Loop: Header=BB74_63 Depth=1
	ds_load_b32 v7, v3 offset:20480
	s_waitcnt lgkmcnt(0)
	v_add_nc_u32_e32 v6, v7, v6
	s_or_b32 exec_lo, exec_lo, s9
	s_and_saveexec_b32 s9, s1
	s_cbranch_execz .LBB74_65
.LBB74_73:                              ;   in Loop: Header=BB74_63 Depth=1
	ds_load_b32 v7, v3 offset:20484
	s_waitcnt lgkmcnt(0)
	v_add_nc_u32_e32 v6, v7, v6
	s_or_b32 exec_lo, exec_lo, s9
	s_and_saveexec_b32 s9, s2
	s_cbranch_execz .LBB74_66
.LBB74_74:                              ;   in Loop: Header=BB74_63 Depth=1
	ds_load_b32 v7, v3 offset:20488
	s_waitcnt lgkmcnt(0)
	v_add_nc_u32_e32 v6, v7, v6
	s_or_b32 exec_lo, exec_lo, s9
	s_and_saveexec_b32 s9, s3
	s_cbranch_execz .LBB74_67
.LBB74_75:                              ;   in Loop: Header=BB74_63 Depth=1
	ds_load_b32 v7, v3 offset:20492
	s_waitcnt lgkmcnt(0)
	v_add_nc_u32_e32 v6, v7, v6
	s_or_b32 exec_lo, exec_lo, s9
	s_and_saveexec_b32 s9, s4
	s_cbranch_execz .LBB74_68
.LBB74_76:                              ;   in Loop: Header=BB74_63 Depth=1
	ds_load_b32 v7, v3 offset:20496
	s_waitcnt lgkmcnt(0)
	v_add_nc_u32_e32 v6, v7, v6
	s_or_b32 exec_lo, exec_lo, s9
	s_and_saveexec_b32 s9, s5
	s_cbranch_execz .LBB74_69
.LBB74_77:                              ;   in Loop: Header=BB74_63 Depth=1
	ds_load_b32 v7, v3 offset:20500
	s_waitcnt lgkmcnt(0)
	v_add_nc_u32_e32 v6, v7, v6
	s_or_b32 exec_lo, exec_lo, s9
	s_and_saveexec_b32 s9, s6
	s_cbranch_execz .LBB74_70
.LBB74_78:                              ;   in Loop: Header=BB74_63 Depth=1
	ds_load_b32 v7, v3 offset:20504
	s_waitcnt lgkmcnt(0)
	v_add_nc_u32_e32 v6, v7, v6
	s_or_b32 exec_lo, exec_lo, s9
	s_and_saveexec_b32 s9, s7
	s_cbranch_execz .LBB74_71
.LBB74_79:                              ;   in Loop: Header=BB74_63 Depth=1
	scratch_load_b128 v[7:10], off, off
	v_add3_u32 v11, v4, -1, v6
	s_delay_alu instid0(VALU_DEP_1) | instskip(SKIP_1) | instid1(VALU_DEP_2)
	v_lshlrev_b32_e32 v12, 4, v11
	v_lshl_add_u32 v11, v11, 2, 0
	v_add3_u32 v12, 0, v12, 0x1000
	ds_store_b32 v11, v5
	s_waitcnt vmcnt(0)
	ds_store_2addr_b64 v12, v[7:8], v[9:10] offset1:1
	s_or_b32 exec_lo, exec_lo, s9
	s_and_saveexec_b32 s7, vcc_lo
	s_cbranch_execz .LBB74_62
.LBB74_80:                              ;   in Loop: Header=BB74_63 Depth=1
	ds_store_b32 v3, v6 offset:20508
	s_branch .LBB74_62
.LBB74_81:
	s_or_b32 exec_lo, exec_lo, s8
	s_ashr_i32 s13, s12, 31
	s_mov_b32 s3, exec_lo
	s_lshl_b64 s[0:1], s[12:13], 2
	s_delay_alu instid0(SALU_CYCLE_1) | instskip(SKIP_4) | instid1(SALU_CYCLE_1)
	s_add_u32 s0, s10, s0
	s_addc_u32 s1, s11, s1
	s_load_b64 s[0:1], s[0:1], 0x0
	s_waitcnt lgkmcnt(0)
	s_sub_i32 s2, s1, s0
	v_cmpx_gt_i32_e64 s2, v0
	s_cbranch_execz .LBB74_91
; %bb.82:
	s_sub_i32 s3, s0, s26
	s_sub_i32 s0, s0, s1
	s_and_b32 s1, s2, 7
	s_cmp_lt_u32 s0, -7
	s_mov_b32 s7, 0
	s_cselect_b32 s4, -1, 0
	s_and_b32 s5, s2, -8
	s_cmp_lg_u32 s1, 0
	s_cselect_b32 s6, -1, 0
	s_branch .LBB74_84
.LBB74_83:                              ;   in Loop: Header=BB74_84 Depth=1
	v_mul_lo_u32 v4, v0, 12
	v_add_nc_u32_e32 v0, 0x200, v0
	s_waitcnt lgkmcnt(0)
	v_add_nc_u32_e32 v3, s26, v3
	s_delay_alu instid0(VALU_DEP_3) | instskip(SKIP_4) | instid1(VALU_DEP_2)
	v_add3_u32 v4, v2, v4, 0x1000
	v_ashrrev_i32_e32 v2, 31, v1
	ds_load_2addr_b64 v[4:7], v4 offset1:1
	v_lshlrev_b64 v[8:9], 2, v[1:2]
	v_lshlrev_b64 v[1:2], 4, v[1:2]
	v_add_co_u32 v8, vcc_lo, s28, v8
	s_delay_alu instid0(VALU_DEP_3) | instskip(SKIP_1) | instid1(VALU_DEP_4)
	v_add_co_ci_u32_e32 v9, vcc_lo, s29, v9, vcc_lo
	v_cmp_le_i32_e32 vcc_lo, s2, v0
	v_add_co_u32 v1, s0, s30, v1
	s_delay_alu instid0(VALU_DEP_1)
	v_add_co_ci_u32_e64 v2, s0, s31, v2, s0
	s_or_b32 s7, vcc_lo, s7
	global_store_b32 v[8:9], v3, off
	s_waitcnt lgkmcnt(0)
	global_store_b128 v[1:2], v[4:7], off
	s_and_not1_b32 exec_lo, exec_lo, s7
	s_cbranch_execz .LBB74_91
.LBB74_84:                              ; =>This Loop Header: Depth=1
                                        ;     Child Loop BB74_86 Depth 2
                                        ;     Child Loop BB74_90 Depth 2
	v_lshl_add_u32 v2, v0, 2, 0
	v_mov_b32_e32 v1, s3
	s_and_not1_b32 vcc_lo, exec_lo, s4
	s_mov_b32 s0, 0
	ds_load_b32 v3, v2
	s_cbranch_vccnz .LBB74_88
; %bb.85:                               ;   in Loop: Header=BB74_84 Depth=1
	v_mov_b32_e32 v1, s3
	s_mov_b32 s8, 0
	s_set_inst_prefetch_distance 0x1
	.p2align	6
.LBB74_86:                              ;   Parent Loop BB74_84 Depth=1
                                        ; =>  This Inner Loop Header: Depth=2
	v_mov_b32_e32 v10, s8
	s_add_i32 s0, s0, 8
	s_add_i32 s8, s8, 32
	s_cmp_eq_u32 s5, s0
	ds_load_2addr_b32 v[4:5], v10 offset1:1
	ds_load_2addr_b32 v[6:7], v10 offset0:2 offset1:3
	ds_load_2addr_b32 v[8:9], v10 offset0:4 offset1:5
	;; [unrolled: 1-line block ×3, first 2 shown]
	s_waitcnt lgkmcnt(3)
	v_cmp_gt_i32_e32 vcc_lo, v3, v4
	v_cndmask_b32_e64 v4, 0, 1, vcc_lo
	s_waitcnt lgkmcnt(2)
	v_cmp_gt_i32_e32 vcc_lo, v3, v6
	v_cndmask_b32_e64 v6, 0, 1, vcc_lo
	v_cmp_gt_i32_e32 vcc_lo, v3, v5
	v_add_co_ci_u32_e32 v1, vcc_lo, v1, v4, vcc_lo
	s_waitcnt lgkmcnt(1)
	v_cmp_gt_i32_e32 vcc_lo, v3, v8
	v_cndmask_b32_e64 v4, 0, 1, vcc_lo
	v_cmp_gt_i32_e32 vcc_lo, v3, v7
	v_add_co_ci_u32_e32 v1, vcc_lo, v1, v6, vcc_lo
	;; [unrolled: 5-line block ×3, first 2 shown]
	v_cmp_gt_i32_e32 vcc_lo, v3, v11
	s_delay_alu instid0(VALU_DEP_2)
	v_add_co_ci_u32_e32 v1, vcc_lo, v1, v5, vcc_lo
	s_cbranch_scc0 .LBB74_86
; %bb.87:                               ;   in Loop: Header=BB74_84 Depth=1
	s_set_inst_prefetch_distance 0x2
	s_mov_b32 s0, s5
.LBB74_88:                              ;   in Loop: Header=BB74_84 Depth=1
	s_and_not1_b32 vcc_lo, exec_lo, s6
	s_cbranch_vccnz .LBB74_83
; %bb.89:                               ;   in Loop: Header=BB74_84 Depth=1
	s_lshl_b32 s0, s0, 2
	s_mov_b32 s8, s1
	s_add_i32 s0, s0, 0
.LBB74_90:                              ;   Parent Loop BB74_84 Depth=1
                                        ; =>  This Inner Loop Header: Depth=2
	s_delay_alu instid0(SALU_CYCLE_1)
	v_mov_b32_e32 v4, s0
	s_add_i32 s8, s8, -1
	s_add_i32 s0, s0, 4
	s_cmp_lg_u32 s8, 0
	ds_load_b32 v4, v4
	s_waitcnt lgkmcnt(0)
	v_cmp_gt_i32_e32 vcc_lo, v3, v4
	v_add_co_ci_u32_e32 v1, vcc_lo, 0, v1, vcc_lo
	s_cbranch_scc1 .LBB74_90
	s_branch .LBB74_83
.LBB74_91:
	s_nop 0
	s_sendmsg sendmsg(MSG_DEALLOC_VGPRS)
	s_endpgm
	.section	.rodata,"a",@progbits
	.p2align	6, 0x0
	.amdhsa_kernel _ZN9rocsparseL26csrgemm_fill_block_per_rowILj512ELj32ELj1024ELj137ELj64Eii21rocsparse_complex_numIdEEEvT5_PKS3_S5_NS_24const_host_device_scalarIT6_EEPKT4_S5_PKS7_SB_S5_SD_S8_SB_S5_SD_SB_PS3_PS7_21rocsparse_index_base_SG_SG_SG_bbb
		.amdhsa_group_segment_fixed_size 0
		.amdhsa_private_segment_fixed_size 40
		.amdhsa_kernarg_size 172
		.amdhsa_user_sgpr_count 15
		.amdhsa_user_sgpr_dispatch_ptr 0
		.amdhsa_user_sgpr_queue_ptr 0
		.amdhsa_user_sgpr_kernarg_segment_ptr 1
		.amdhsa_user_sgpr_dispatch_id 0
		.amdhsa_user_sgpr_private_segment_size 0
		.amdhsa_wavefront_size32 1
		.amdhsa_uses_dynamic_stack 0
		.amdhsa_enable_private_segment 1
		.amdhsa_system_sgpr_workgroup_id_x 1
		.amdhsa_system_sgpr_workgroup_id_y 0
		.amdhsa_system_sgpr_workgroup_id_z 0
		.amdhsa_system_sgpr_workgroup_info 0
		.amdhsa_system_vgpr_workitem_id 0
		.amdhsa_next_free_vgpr 31
		.amdhsa_next_free_sgpr 48
		.amdhsa_reserve_vcc 1
		.amdhsa_float_round_mode_32 0
		.amdhsa_float_round_mode_16_64 0
		.amdhsa_float_denorm_mode_32 3
		.amdhsa_float_denorm_mode_16_64 3
		.amdhsa_dx10_clamp 1
		.amdhsa_ieee_mode 1
		.amdhsa_fp16_overflow 0
		.amdhsa_workgroup_processor_mode 1
		.amdhsa_memory_ordered 1
		.amdhsa_forward_progress 0
		.amdhsa_shared_vgpr_count 0
		.amdhsa_exception_fp_ieee_invalid_op 0
		.amdhsa_exception_fp_denorm_src 0
		.amdhsa_exception_fp_ieee_div_zero 0
		.amdhsa_exception_fp_ieee_overflow 0
		.amdhsa_exception_fp_ieee_underflow 0
		.amdhsa_exception_fp_ieee_inexact 0
		.amdhsa_exception_int_div_zero 0
	.end_amdhsa_kernel
	.section	.text._ZN9rocsparseL26csrgemm_fill_block_per_rowILj512ELj32ELj1024ELj137ELj64Eii21rocsparse_complex_numIdEEEvT5_PKS3_S5_NS_24const_host_device_scalarIT6_EEPKT4_S5_PKS7_SB_S5_SD_S8_SB_S5_SD_SB_PS3_PS7_21rocsparse_index_base_SG_SG_SG_bbb,"axG",@progbits,_ZN9rocsparseL26csrgemm_fill_block_per_rowILj512ELj32ELj1024ELj137ELj64Eii21rocsparse_complex_numIdEEEvT5_PKS3_S5_NS_24const_host_device_scalarIT6_EEPKT4_S5_PKS7_SB_S5_SD_S8_SB_S5_SD_SB_PS3_PS7_21rocsparse_index_base_SG_SG_SG_bbb,comdat
.Lfunc_end74:
	.size	_ZN9rocsparseL26csrgemm_fill_block_per_rowILj512ELj32ELj1024ELj137ELj64Eii21rocsparse_complex_numIdEEEvT5_PKS3_S5_NS_24const_host_device_scalarIT6_EEPKT4_S5_PKS7_SB_S5_SD_S8_SB_S5_SD_SB_PS3_PS7_21rocsparse_index_base_SG_SG_SG_bbb, .Lfunc_end74-_ZN9rocsparseL26csrgemm_fill_block_per_rowILj512ELj32ELj1024ELj137ELj64Eii21rocsparse_complex_numIdEEEvT5_PKS3_S5_NS_24const_host_device_scalarIT6_EEPKT4_S5_PKS7_SB_S5_SD_S8_SB_S5_SD_SB_PS3_PS7_21rocsparse_index_base_SG_SG_SG_bbb
                                        ; -- End function
	.section	.AMDGPU.csdata,"",@progbits
; Kernel info:
; codeLenInByte = 3684
; NumSgprs: 50
; NumVgprs: 31
; ScratchSize: 40
; MemoryBound: 0
; FloatMode: 240
; IeeeMode: 1
; LDSByteSize: 0 bytes/workgroup (compile time only)
; SGPRBlocks: 6
; VGPRBlocks: 3
; NumSGPRsForWavesPerEU: 50
; NumVGPRsForWavesPerEU: 31
; Occupancy: 16
; WaveLimiterHint : 1
; COMPUTE_PGM_RSRC2:SCRATCH_EN: 1
; COMPUTE_PGM_RSRC2:USER_SGPR: 15
; COMPUTE_PGM_RSRC2:TRAP_HANDLER: 0
; COMPUTE_PGM_RSRC2:TGID_X_EN: 1
; COMPUTE_PGM_RSRC2:TGID_Y_EN: 0
; COMPUTE_PGM_RSRC2:TGID_Z_EN: 0
; COMPUTE_PGM_RSRC2:TIDIG_COMP_CNT: 0
	.section	.text._ZN9rocsparseL26csrgemm_fill_block_per_rowILj1024ELj32ELj2048ELj137ELj32Eii21rocsparse_complex_numIdEEEvT5_PKS3_S5_NS_24const_host_device_scalarIT6_EEPKT4_S5_PKS7_SB_S5_SD_S8_SB_S5_SD_SB_PS3_PS7_21rocsparse_index_base_SG_SG_SG_bbb,"axG",@progbits,_ZN9rocsparseL26csrgemm_fill_block_per_rowILj1024ELj32ELj2048ELj137ELj32Eii21rocsparse_complex_numIdEEEvT5_PKS3_S5_NS_24const_host_device_scalarIT6_EEPKT4_S5_PKS7_SB_S5_SD_S8_SB_S5_SD_SB_PS3_PS7_21rocsparse_index_base_SG_SG_SG_bbb,comdat
	.globl	_ZN9rocsparseL26csrgemm_fill_block_per_rowILj1024ELj32ELj2048ELj137ELj32Eii21rocsparse_complex_numIdEEEvT5_PKS3_S5_NS_24const_host_device_scalarIT6_EEPKT4_S5_PKS7_SB_S5_SD_S8_SB_S5_SD_SB_PS3_PS7_21rocsparse_index_base_SG_SG_SG_bbb ; -- Begin function _ZN9rocsparseL26csrgemm_fill_block_per_rowILj1024ELj32ELj2048ELj137ELj32Eii21rocsparse_complex_numIdEEEvT5_PKS3_S5_NS_24const_host_device_scalarIT6_EEPKT4_S5_PKS7_SB_S5_SD_S8_SB_S5_SD_SB_PS3_PS7_21rocsparse_index_base_SG_SG_SG_bbb
	.p2align	8
	.type	_ZN9rocsparseL26csrgemm_fill_block_per_rowILj1024ELj32ELj2048ELj137ELj32Eii21rocsparse_complex_numIdEEEvT5_PKS3_S5_NS_24const_host_device_scalarIT6_EEPKT4_S5_PKS7_SB_S5_SD_S8_SB_S5_SD_SB_PS3_PS7_21rocsparse_index_base_SG_SG_SG_bbb,@function
_ZN9rocsparseL26csrgemm_fill_block_per_rowILj1024ELj32ELj2048ELj137ELj32Eii21rocsparse_complex_numIdEEEvT5_PKS3_S5_NS_24const_host_device_scalarIT6_EEPKT4_S5_PKS7_SB_S5_SD_S8_SB_S5_SD_SB_PS3_PS7_21rocsparse_index_base_SG_SG_SG_bbb: ; @_ZN9rocsparseL26csrgemm_fill_block_per_rowILj1024ELj32ELj2048ELj137ELj32Eii21rocsparse_complex_numIdEEEvT5_PKS3_S5_NS_24const_host_device_scalarIT6_EEPKT4_S5_PKS7_SB_S5_SD_S8_SB_S5_SD_SB_PS3_PS7_21rocsparse_index_base_SG_SG_SG_bbb
; %bb.0:
	s_clause 0x3
	s_load_b32 s14, s[0:1], 0xa8
	s_load_b128 s[4:7], s[0:1], 0x18
	s_load_b128 s[20:23], s[0:1], 0x58
	;; [unrolled: 1-line block ×3, first 2 shown]
	v_mov_b32_e32 v1, 0
	v_mov_b32_e32 v2, 0
	s_waitcnt lgkmcnt(0)
	s_bitcmp1_b32 s14, 0
	v_mov_b32_e32 v3, s4
	s_cselect_b32 s12, -1, 0
	s_bitcmp1_b32 s14, 16
	v_dual_mov_b32 v6, v2 :: v_dual_mov_b32 v5, v1
	s_cselect_b32 s2, -1, 0
	v_mov_b32_e32 v4, s5
	s_xor_b32 s13, s2, -1
	v_dual_mov_b32 v9, s20 :: v_dual_mov_b32 v10, s21
	v_cndmask_b32_e64 v7, 0, 1, s13
	s_bitcmp0_b32 s14, 0
	s_clause 0x1
	scratch_store_b64 off, v[3:4], off offset:16
	scratch_store_b64 off, v[9:10], off offset:24
	v_cmp_ne_u32_e32 vcc_lo, 1, v7
	v_dual_mov_b32 v8, v2 :: v_dual_mov_b32 v7, v1
	s_cbranch_scc1 .LBB75_3
; %bb.1:
	s_mov_b64 s[8:9], src_private_base
	s_and_b32 s3, s2, exec_lo
	s_cselect_b32 s3, s9, s5
	s_delay_alu instid0(SALU_CYCLE_1) | instskip(SKIP_2) | instid1(VALU_DEP_2)
	v_dual_mov_b32 v3, 16 :: v_dual_mov_b32 v4, s3
	v_dual_mov_b32 v8, s7 :: v_dual_mov_b32 v7, s6
	s_and_b32 vcc_lo, exec_lo, vcc_lo
	v_cndmask_b32_e64 v3, s4, v3, s2
	flat_load_b64 v[5:6], v[3:4]
	s_cbranch_vccnz .LBB75_3
; %bb.2:
	v_dual_mov_b32 v3, s4 :: v_dual_mov_b32 v4, s5
	flat_load_b64 v[7:8], v[3:4] offset:8
.LBB75_3:
	s_clause 0x4
	s_load_b128 s[48:51], s[0:1], 0x88
	s_load_b256 s[36:43], s[0:1], 0x68
	s_load_b128 s[16:19], s[0:1], 0x48
	s_load_b128 s[24:27], s[0:1], 0x8
	s_load_b256 s[4:11], s[0:1], 0x28
	s_bitcmp1_b32 s14, 8
	v_dual_mov_b32 v4, v2 :: v_dual_mov_b32 v3, v1
	s_cselect_b32 s3, -1, 0
	s_bfe_u32 s14, s14, 0x10008
	s_delay_alu instid0(SALU_CYCLE_1)
	s_cmp_eq_u32 s14, 0
	s_cbranch_scc1 .LBB75_6
; %bb.4:
	s_mov_b64 s[28:29], src_private_base
	s_and_b32 s14, s2, exec_lo
	s_cselect_b32 s14, s29, s21
	s_delay_alu instid0(SALU_CYCLE_1) | instskip(SKIP_1) | instid1(VALU_DEP_1)
	v_dual_mov_b32 v1, 24 :: v_dual_mov_b32 v2, s14
	s_and_not1_b32 vcc_lo, exec_lo, s13
	v_cndmask_b32_e64 v1, s20, v1, s2
	flat_load_b64 v[3:4], v[1:2]
	v_dual_mov_b32 v1, s22 :: v_dual_mov_b32 v2, s23
	s_cbranch_vccnz .LBB75_6
; %bb.5:
	v_dual_mov_b32 v1, s20 :: v_dual_mov_b32 v2, s21
	flat_load_b64 v[1:2], v[1:2] offset:8
.LBB75_6:
	s_load_b32 s33, s[0:1], 0x0
	s_mov_b32 s0, 0
	v_or_b32_e32 v23, 0xfffffc00, v0
	s_mov_b32 s1, s0
	s_delay_alu instid0(SALU_CYCLE_1) | instskip(SKIP_3) | instid1(VALU_DEP_2)
	v_dual_mov_b32 v10, s1 :: v_dual_lshlrev_b32 v11, 4, v0
	v_lshl_add_u32 v24, v0, 2, 0
	s_mov_b32 s20, s0
	s_mov_b32 s21, s0
	v_add3_u32 v25, v11, 0, 0x2000
	v_dual_mov_b32 v11, s20 :: v_dual_mov_b32 v14, v23
	v_dual_mov_b32 v9, s0 :: v_dual_mov_b32 v12, s21
	s_delay_alu instid0(VALU_DEP_3)
	v_dual_mov_b32 v13, v24 :: v_dual_mov_b32 v16, v25
	s_waitcnt lgkmcnt(0)
	v_mov_b32_e32 v15, s33
.LBB75_7:                               ; =>This Inner Loop Header: Depth=1
	v_add_co_u32 v14, s1, 0x400, v14
	s_delay_alu instid0(VALU_DEP_1)
	s_xor_b32 s1, s1, -1
	ds_store_b32 v13, v15
	ds_store_2addr_b64 v16, v[9:10], v[11:12] offset1:1
	v_add_nc_u32_e32 v16, 0x4000, v16
	v_add_nc_u32_e32 v13, 0x1000, v13
	s_and_b32 s1, exec_lo, s1
	s_delay_alu instid0(SALU_CYCLE_1) | instskip(NEXT) | instid1(SALU_CYCLE_1)
	s_or_b32 s0, s1, s0
	s_and_not1_b32 exec_lo, exec_lo, s0
	s_cbranch_execnz .LBB75_7
; %bb.8:
	s_or_b32 exec_lo, exec_lo, s0
	s_waitcnt vmcnt(0) lgkmcnt(0)
	s_waitcnt_vscnt null, 0x0
	s_barrier
	buffer_gl0_inv
	s_load_b32 s0, s[24:25], 0x0
	s_mov_b32 s1, 0
	v_lshrrev_b32_e32 v26, 5, v0
	s_waitcnt lgkmcnt(0)
	s_add_i32 s0, s0, s15
	s_delay_alu instid0(SALU_CYCLE_1) | instskip(NEXT) | instid1(SALU_CYCLE_1)
	s_lshl_b64 s[0:1], s[0:1], 2
	s_add_u32 s0, s26, s0
	s_addc_u32 s1, s27, s1
	s_and_b32 vcc_lo, exec_lo, s12
	s_load_b32 s34, s[0:1], 0x0
	s_cbranch_vccz .LBB75_36
; %bb.9:
	s_waitcnt lgkmcnt(0)
	s_ashr_i32 s35, s34, 31
	v_subrev_nc_u32_e32 v9, s44, v26
	s_lshl_b64 s[0:1], s[34:35], 2
	s_delay_alu instid0(SALU_CYCLE_1)
	s_add_u32 s0, s4, s0
	s_addc_u32 s1, s5, s1
	s_load_b64 s[0:1], s[0:1], 0x0
	s_waitcnt lgkmcnt(0)
	v_add_nc_u32_e32 v9, s0, v9
	s_sub_i32 s0, s1, s44
	s_mov_b32 s1, exec_lo
	s_delay_alu instid0(VALU_DEP_1)
	v_cmpx_gt_i32_e64 s0, v9
	s_cbranch_execz .LBB75_35
; %bb.10:
	v_and_b32_e32 v10, 31, v0
	s_mov_b32 s2, 0
	s_delay_alu instid0(VALU_DEP_1)
	v_subrev_nc_u32_e32 v27, s45, v10
	s_branch .LBB75_12
.LBB75_11:                              ;   in Loop: Header=BB75_12 Depth=1
	s_or_b32 exec_lo, exec_lo, s4
	v_add_nc_u32_e32 v9, 32, v9
	s_delay_alu instid0(VALU_DEP_1) | instskip(SKIP_1) | instid1(SALU_CYCLE_1)
	v_cmp_le_i32_e32 vcc_lo, s0, v9
	s_or_b32 s2, vcc_lo, s2
	s_and_not1_b32 exec_lo, exec_lo, s2
	s_cbranch_execz .LBB75_35
.LBB75_12:                              ; =>This Loop Header: Depth=1
                                        ;     Child Loop BB75_15 Depth 2
                                        ;       Child Loop BB75_17 Depth 3
                                        ;         Child Loop BB75_23 Depth 4
                                        ;         Child Loop BB75_25 Depth 4
	;; [unrolled: 1-line block ×4, first 2 shown]
	v_ashrrev_i32_e32 v10, 31, v9
	s_mov_b32 s4, exec_lo
	s_delay_alu instid0(VALU_DEP_1) | instskip(NEXT) | instid1(VALU_DEP_1)
	v_lshlrev_b64 v[11:12], 2, v[9:10]
	v_add_co_u32 v11, vcc_lo, s6, v11
	s_delay_alu instid0(VALU_DEP_2) | instskip(SKIP_3) | instid1(VALU_DEP_1)
	v_add_co_ci_u32_e32 v12, vcc_lo, s7, v12, vcc_lo
	global_load_b32 v11, v[11:12], off
	s_waitcnt vmcnt(0)
	v_subrev_nc_u32_e32 v11, s44, v11
	v_ashrrev_i32_e32 v12, 31, v11
	s_delay_alu instid0(VALU_DEP_1) | instskip(NEXT) | instid1(VALU_DEP_1)
	v_lshlrev_b64 v[11:12], 2, v[11:12]
	v_add_co_u32 v11, vcc_lo, s10, v11
	s_delay_alu instid0(VALU_DEP_2) | instskip(SKIP_4) | instid1(VALU_DEP_1)
	v_add_co_ci_u32_e32 v12, vcc_lo, s11, v12, vcc_lo
	global_load_b64 v[11:12], v[11:12], off
	s_waitcnt vmcnt(0)
	v_subrev_nc_u32_e32 v28, s45, v12
	v_add_nc_u32_e32 v11, v11, v27
	v_cmpx_lt_i32_e64 v11, v28
	s_cbranch_execz .LBB75_11
; %bb.13:                               ;   in Loop: Header=BB75_12 Depth=1
	v_lshlrev_b64 v[12:13], 4, v[9:10]
	s_mov_b32 s5, 0
	s_delay_alu instid0(VALU_DEP_1) | instskip(NEXT) | instid1(VALU_DEP_2)
	v_add_co_u32 v12, vcc_lo, s8, v12
	v_add_co_ci_u32_e32 v13, vcc_lo, s9, v13, vcc_lo
	global_load_b128 v[15:18], v[12:13], off
	s_waitcnt vmcnt(0)
	v_mul_f64 v[12:13], v[17:18], -v[7:8]
	v_mul_f64 v[17:18], v[5:6], v[17:18]
	s_delay_alu instid0(VALU_DEP_2) | instskip(NEXT) | instid1(VALU_DEP_2)
	v_fma_f64 v[13:14], v[5:6], v[15:16], v[12:13]
	v_fma_f64 v[15:16], v[7:8], v[15:16], v[17:18]
	s_branch .LBB75_15
.LBB75_14:                              ;   in Loop: Header=BB75_15 Depth=2
	s_or_b32 exec_lo, exec_lo, s12
	v_add_nc_u32_e32 v11, 32, v11
	s_delay_alu instid0(VALU_DEP_1) | instskip(SKIP_1) | instid1(SALU_CYCLE_1)
	v_cmp_ge_i32_e32 vcc_lo, v11, v28
	s_or_b32 s5, vcc_lo, s5
	s_and_not1_b32 exec_lo, exec_lo, s5
	s_cbranch_execz .LBB75_11
.LBB75_15:                              ;   Parent Loop BB75_12 Depth=1
                                        ; =>  This Loop Header: Depth=2
                                        ;       Child Loop BB75_17 Depth 3
                                        ;         Child Loop BB75_23 Depth 4
                                        ;         Child Loop BB75_25 Depth 4
	;; [unrolled: 1-line block ×4, first 2 shown]
	v_ashrrev_i32_e32 v12, 31, v11
	s_mov_b32 s12, 0
	s_delay_alu instid0(VALU_DEP_1) | instskip(NEXT) | instid1(VALU_DEP_1)
	v_lshlrev_b64 v[17:18], 4, v[11:12]
	v_add_co_u32 v17, vcc_lo, s18, v17
	s_delay_alu instid0(VALU_DEP_2) | instskip(SKIP_2) | instid1(VALU_DEP_1)
	v_add_co_ci_u32_e32 v18, vcc_lo, s19, v18, vcc_lo
	global_load_b128 v[19:22], v[17:18], off
	v_lshlrev_b64 v[17:18], 2, v[11:12]
	v_add_co_u32 v17, vcc_lo, s16, v17
	s_delay_alu instid0(VALU_DEP_2)
	v_add_co_ci_u32_e32 v18, vcc_lo, s17, v18, vcc_lo
	global_load_b32 v10, v[17:18], off
	s_waitcnt vmcnt(1)
	v_mul_f64 v[17:18], v[21:22], -v[15:16]
	v_mul_f64 v[21:22], v[13:14], v[21:22]
	s_waitcnt vmcnt(0)
	v_subrev_nc_u32_e32 v10, s45, v10
	s_delay_alu instid0(VALU_DEP_1) | instskip(NEXT) | instid1(VALU_DEP_1)
	v_mul_lo_u32 v12, 0x89, v10
	v_and_b32_e32 v12, 0x7ff, v12
	v_fma_f64 v[17:18], v[13:14], v[19:20], v[17:18]
	v_fma_f64 v[19:20], v[15:16], v[19:20], v[21:22]
	s_branch .LBB75_17
.LBB75_16:                              ;   in Loop: Header=BB75_17 Depth=3
	s_or_b32 exec_lo, exec_lo, s13
	s_xor_b32 s13, s14, -1
	s_delay_alu instid0(SALU_CYCLE_1) | instskip(NEXT) | instid1(SALU_CYCLE_1)
	s_and_b32 s13, exec_lo, s13
	s_or_b32 s12, s13, s12
	s_delay_alu instid0(SALU_CYCLE_1)
	s_and_not1_b32 exec_lo, exec_lo, s12
	s_cbranch_execz .LBB75_14
.LBB75_17:                              ;   Parent Loop BB75_12 Depth=1
                                        ;     Parent Loop BB75_15 Depth=2
                                        ; =>    This Loop Header: Depth=3
                                        ;         Child Loop BB75_23 Depth 4
                                        ;         Child Loop BB75_25 Depth 4
	;; [unrolled: 1-line block ×4, first 2 shown]
	s_delay_alu instid0(VALU_DEP_3)
	v_lshl_add_u32 v21, v12, 2, 0
	s_mov_b32 s13, exec_lo
                                        ; implicit-def: $sgpr14
	ds_load_b32 v22, v21
	s_waitcnt lgkmcnt(0)
	v_cmpx_ne_u32_e64 v22, v10
	s_xor_b32 s13, exec_lo, s13
	s_cbranch_execz .LBB75_29
; %bb.18:                               ;   in Loop: Header=BB75_17 Depth=3
	s_mov_b32 s15, exec_lo
                                        ; implicit-def: $sgpr14
	v_cmpx_ne_u32_e64 s33, v22
	s_xor_b32 s15, exec_lo, s15
; %bb.19:                               ;   in Loop: Header=BB75_17 Depth=3
	v_add_nc_u32_e32 v12, 1, v12
	s_mov_b32 s14, -1
                                        ; implicit-def: $vgpr21
	s_delay_alu instid0(VALU_DEP_1)
	v_and_b32_e32 v12, 0x7ff, v12
; %bb.20:                               ;   in Loop: Header=BB75_17 Depth=3
	s_and_not1_saveexec_b32 s15, s15
	s_cbranch_execz .LBB75_28
; %bb.21:                               ;   in Loop: Header=BB75_17 Depth=3
	v_mov_b32_e32 v22, s33
	s_mov_b32 s21, -1
	s_mov_b32 s20, exec_lo
	ds_cmpstore_rtn_b32 v22, v21, v10, v22
	s_waitcnt lgkmcnt(0)
	v_cmpx_eq_u32_e64 s33, v22
	s_cbranch_execz .LBB75_27
; %bb.22:                               ;   in Loop: Header=BB75_17 Depth=3
	v_mul_lo_u32 v22, v12, 12
	s_mov_b32 s21, 0
	s_delay_alu instid0(VALU_DEP_1)
	v_add_nc_u32_e32 v29, v21, v22
	ds_load_b64 v[21:22], v29 offset:8192
.LBB75_23:                              ;   Parent Loop BB75_12 Depth=1
                                        ;     Parent Loop BB75_15 Depth=2
                                        ;       Parent Loop BB75_17 Depth=3
                                        ; =>      This Inner Loop Header: Depth=4
	s_waitcnt lgkmcnt(0)
	v_add_f64 v[30:31], v[21:22], v[17:18]
	ds_cmpstore_rtn_b64 v[30:31], v29, v[30:31], v[21:22] offset:8192
	s_waitcnt lgkmcnt(0)
	v_cmp_eq_u64_e32 vcc_lo, v[30:31], v[21:22]
	v_dual_mov_b32 v21, v30 :: v_dual_mov_b32 v22, v31
	s_or_b32 s21, vcc_lo, s21
	s_delay_alu instid0(SALU_CYCLE_1)
	s_and_not1_b32 exec_lo, exec_lo, s21
	s_cbranch_execnz .LBB75_23
; %bb.24:                               ;   in Loop: Header=BB75_17 Depth=3
	s_or_b32 exec_lo, exec_lo, s21
	ds_load_b64 v[21:22], v29 offset:8200
	s_mov_b32 s21, 0
.LBB75_25:                              ;   Parent Loop BB75_12 Depth=1
                                        ;     Parent Loop BB75_15 Depth=2
                                        ;       Parent Loop BB75_17 Depth=3
                                        ; =>      This Inner Loop Header: Depth=4
	s_waitcnt lgkmcnt(0)
	v_add_f64 v[30:31], v[21:22], v[19:20]
	ds_cmpstore_rtn_b64 v[30:31], v29, v[30:31], v[21:22] offset:8200
	s_waitcnt lgkmcnt(0)
	v_cmp_eq_u64_e32 vcc_lo, v[30:31], v[21:22]
	v_dual_mov_b32 v21, v30 :: v_dual_mov_b32 v22, v31
	s_or_b32 s21, vcc_lo, s21
	s_delay_alu instid0(SALU_CYCLE_1)
	s_and_not1_b32 exec_lo, exec_lo, s21
	s_cbranch_execnz .LBB75_25
; %bb.26:                               ;   in Loop: Header=BB75_17 Depth=3
	s_or_b32 exec_lo, exec_lo, s21
	s_delay_alu instid0(SALU_CYCLE_1)
	s_xor_b32 s21, exec_lo, -1
.LBB75_27:                              ;   in Loop: Header=BB75_17 Depth=3
	s_or_b32 exec_lo, exec_lo, s20
	s_delay_alu instid0(SALU_CYCLE_1) | instskip(SKIP_1) | instid1(SALU_CYCLE_1)
	s_and_not1_b32 s14, s14, exec_lo
	s_and_b32 s20, s21, exec_lo
	s_or_b32 s14, s14, s20
.LBB75_28:                              ;   in Loop: Header=BB75_17 Depth=3
	s_or_b32 exec_lo, exec_lo, s15
	s_delay_alu instid0(SALU_CYCLE_1)
	s_and_b32 s14, s14, exec_lo
                                        ; implicit-def: $vgpr21
.LBB75_29:                              ;   in Loop: Header=BB75_17 Depth=3
	s_and_not1_saveexec_b32 s13, s13
	s_cbranch_execz .LBB75_16
; %bb.30:                               ;   in Loop: Header=BB75_17 Depth=3
	v_mul_lo_u32 v22, v12, 12
	s_mov_b32 s15, 0
	s_delay_alu instid0(VALU_DEP_1)
	v_add_nc_u32_e32 v29, v21, v22
	ds_load_b64 v[21:22], v29 offset:8192
.LBB75_31:                              ;   Parent Loop BB75_12 Depth=1
                                        ;     Parent Loop BB75_15 Depth=2
                                        ;       Parent Loop BB75_17 Depth=3
                                        ; =>      This Inner Loop Header: Depth=4
	s_waitcnt lgkmcnt(0)
	v_add_f64 v[30:31], v[21:22], v[17:18]
	ds_cmpstore_rtn_b64 v[30:31], v29, v[30:31], v[21:22] offset:8192
	s_waitcnt lgkmcnt(0)
	v_cmp_eq_u64_e32 vcc_lo, v[30:31], v[21:22]
	v_dual_mov_b32 v21, v30 :: v_dual_mov_b32 v22, v31
	s_or_b32 s15, vcc_lo, s15
	s_delay_alu instid0(SALU_CYCLE_1)
	s_and_not1_b32 exec_lo, exec_lo, s15
	s_cbranch_execnz .LBB75_31
; %bb.32:                               ;   in Loop: Header=BB75_17 Depth=3
	s_or_b32 exec_lo, exec_lo, s15
	ds_load_b64 v[21:22], v29 offset:8200
	s_mov_b32 s15, 0
.LBB75_33:                              ;   Parent Loop BB75_12 Depth=1
                                        ;     Parent Loop BB75_15 Depth=2
                                        ;       Parent Loop BB75_17 Depth=3
                                        ; =>      This Inner Loop Header: Depth=4
	s_waitcnt lgkmcnt(0)
	v_add_f64 v[30:31], v[21:22], v[19:20]
	ds_cmpstore_rtn_b64 v[30:31], v29, v[30:31], v[21:22] offset:8200
	s_waitcnt lgkmcnt(0)
	v_cmp_eq_u64_e32 vcc_lo, v[30:31], v[21:22]
	v_dual_mov_b32 v21, v30 :: v_dual_mov_b32 v22, v31
	s_or_b32 s15, vcc_lo, s15
	s_delay_alu instid0(SALU_CYCLE_1)
	s_and_not1_b32 exec_lo, exec_lo, s15
	s_cbranch_execnz .LBB75_33
; %bb.34:                               ;   in Loop: Header=BB75_17 Depth=3
	s_or_b32 exec_lo, exec_lo, s15
	s_delay_alu instid0(SALU_CYCLE_1)
	s_and_not1_b32 s14, s14, exec_lo
	s_branch .LBB75_16
.LBB75_35:
	s_or_b32 exec_lo, exec_lo, s1
.LBB75_36:
	s_delay_alu instid0(SALU_CYCLE_1)
	s_and_not1_b32 vcc_lo, exec_lo, s3
	s_cbranch_vccnz .LBB75_61
; %bb.37:
	s_waitcnt lgkmcnt(0)
	s_ashr_i32 s35, s34, 31
	v_subrev_nc_u32_e32 v5, s47, v0
	s_lshl_b64 s[0:1], s[34:35], 2
	s_delay_alu instid0(SALU_CYCLE_1)
	s_add_u32 s0, s36, s0
	s_addc_u32 s1, s37, s1
	s_load_b64 s[0:1], s[0:1], 0x0
	s_waitcnt lgkmcnt(0)
	v_add_nc_u32_e32 v5, s0, v5
	s_sub_i32 s0, s1, s47
	s_mov_b32 s1, exec_lo
	s_delay_alu instid0(VALU_DEP_1)
	v_cmpx_gt_i32_e64 s0, v5
	s_cbranch_execz .LBB75_60
; %bb.38:
	s_mov_b32 s2, 0
	s_branch .LBB75_40
.LBB75_39:                              ;   in Loop: Header=BB75_40 Depth=1
	s_or_b32 exec_lo, exec_lo, s3
	v_add_nc_u32_e32 v5, 0x400, v5
	s_delay_alu instid0(VALU_DEP_1) | instskip(SKIP_1) | instid1(SALU_CYCLE_1)
	v_cmp_le_i32_e32 vcc_lo, s0, v5
	s_or_b32 s2, vcc_lo, s2
	s_and_not1_b32 exec_lo, exec_lo, s2
	s_cbranch_execz .LBB75_60
.LBB75_40:                              ; =>This Loop Header: Depth=1
                                        ;     Child Loop BB75_42 Depth 2
                                        ;       Child Loop BB75_48 Depth 3
                                        ;       Child Loop BB75_50 Depth 3
	;; [unrolled: 1-line block ×4, first 2 shown]
	v_ashrrev_i32_e32 v6, 31, v5
	s_mov_b32 s3, 0
	s_delay_alu instid0(VALU_DEP_1) | instskip(NEXT) | instid1(VALU_DEP_1)
	v_lshlrev_b64 v[7:8], 4, v[5:6]
	v_add_co_u32 v7, vcc_lo, s40, v7
	s_delay_alu instid0(VALU_DEP_2) | instskip(SKIP_2) | instid1(VALU_DEP_1)
	v_add_co_ci_u32_e32 v8, vcc_lo, s41, v8, vcc_lo
	global_load_b128 v[8:11], v[7:8], off
	v_lshlrev_b64 v[6:7], 2, v[5:6]
	v_add_co_u32 v6, vcc_lo, s38, v6
	s_delay_alu instid0(VALU_DEP_2)
	v_add_co_ci_u32_e32 v7, vcc_lo, s39, v7, vcc_lo
	global_load_b32 v12, v[6:7], off
	s_waitcnt vmcnt(1)
	v_mul_f64 v[6:7], v[10:11], -v[1:2]
	v_mul_f64 v[10:11], v[3:4], v[10:11]
	s_waitcnt vmcnt(0)
	v_subrev_nc_u32_e32 v12, s47, v12
	s_delay_alu instid0(VALU_DEP_3) | instskip(NEXT) | instid1(VALU_DEP_3)
	v_fma_f64 v[6:7], v[3:4], v[8:9], v[6:7]
	v_fma_f64 v[8:9], v[1:2], v[8:9], v[10:11]
	s_delay_alu instid0(VALU_DEP_3) | instskip(NEXT) | instid1(VALU_DEP_1)
	v_mul_lo_u32 v10, 0x89, v12
	v_and_b32_e32 v13, 0x7ff, v10
	s_branch .LBB75_42
.LBB75_41:                              ;   in Loop: Header=BB75_42 Depth=2
	s_or_b32 exec_lo, exec_lo, s4
	s_xor_b32 s4, s5, -1
	s_delay_alu instid0(SALU_CYCLE_1) | instskip(NEXT) | instid1(SALU_CYCLE_1)
	s_and_b32 s4, exec_lo, s4
	s_or_b32 s3, s4, s3
	s_delay_alu instid0(SALU_CYCLE_1)
	s_and_not1_b32 exec_lo, exec_lo, s3
	s_cbranch_execz .LBB75_39
.LBB75_42:                              ;   Parent Loop BB75_40 Depth=1
                                        ; =>  This Loop Header: Depth=2
                                        ;       Child Loop BB75_48 Depth 3
                                        ;       Child Loop BB75_50 Depth 3
	;; [unrolled: 1-line block ×4, first 2 shown]
	s_delay_alu instid0(VALU_DEP_1)
	v_lshl_add_u32 v10, v13, 2, 0
	s_mov_b32 s4, exec_lo
                                        ; implicit-def: $sgpr5
	ds_load_b32 v11, v10
	s_waitcnt lgkmcnt(0)
	v_cmpx_ne_u32_e64 v11, v12
	s_xor_b32 s4, exec_lo, s4
	s_cbranch_execz .LBB75_54
; %bb.43:                               ;   in Loop: Header=BB75_42 Depth=2
	s_mov_b32 s6, exec_lo
                                        ; implicit-def: $sgpr5
	v_cmpx_ne_u32_e64 s33, v11
	s_xor_b32 s6, exec_lo, s6
; %bb.44:                               ;   in Loop: Header=BB75_42 Depth=2
	v_add_nc_u32_e32 v10, 1, v13
	s_mov_b32 s5, -1
	s_delay_alu instid0(VALU_DEP_1)
	v_and_b32_e32 v13, 0x7ff, v10
                                        ; implicit-def: $vgpr10
; %bb.45:                               ;   in Loop: Header=BB75_42 Depth=2
	s_and_not1_saveexec_b32 s6, s6
	s_cbranch_execz .LBB75_53
; %bb.46:                               ;   in Loop: Header=BB75_42 Depth=2
	v_mov_b32_e32 v11, s33
	s_mov_b32 s8, -1
	s_mov_b32 s7, exec_lo
	ds_cmpstore_rtn_b32 v11, v10, v12, v11
	s_waitcnt lgkmcnt(0)
	v_cmpx_eq_u32_e64 s33, v11
	s_cbranch_execz .LBB75_52
; %bb.47:                               ;   in Loop: Header=BB75_42 Depth=2
	v_mul_lo_u32 v11, v13, 12
	s_mov_b32 s8, 0
	s_delay_alu instid0(VALU_DEP_1)
	v_add_nc_u32_e32 v14, v10, v11
	ds_load_b64 v[10:11], v14 offset:8192
.LBB75_48:                              ;   Parent Loop BB75_40 Depth=1
                                        ;     Parent Loop BB75_42 Depth=2
                                        ; =>    This Inner Loop Header: Depth=3
	s_waitcnt lgkmcnt(0)
	v_add_f64 v[15:16], v[10:11], v[6:7]
	ds_cmpstore_rtn_b64 v[15:16], v14, v[15:16], v[10:11] offset:8192
	s_waitcnt lgkmcnt(0)
	v_cmp_eq_u64_e32 vcc_lo, v[15:16], v[10:11]
	v_dual_mov_b32 v10, v15 :: v_dual_mov_b32 v11, v16
	s_or_b32 s8, vcc_lo, s8
	s_delay_alu instid0(SALU_CYCLE_1)
	s_and_not1_b32 exec_lo, exec_lo, s8
	s_cbranch_execnz .LBB75_48
; %bb.49:                               ;   in Loop: Header=BB75_42 Depth=2
	s_or_b32 exec_lo, exec_lo, s8
	ds_load_b64 v[10:11], v14 offset:8200
	s_mov_b32 s8, 0
.LBB75_50:                              ;   Parent Loop BB75_40 Depth=1
                                        ;     Parent Loop BB75_42 Depth=2
                                        ; =>    This Inner Loop Header: Depth=3
	s_waitcnt lgkmcnt(0)
	v_add_f64 v[15:16], v[10:11], v[8:9]
	ds_cmpstore_rtn_b64 v[15:16], v14, v[15:16], v[10:11] offset:8200
	s_waitcnt lgkmcnt(0)
	v_cmp_eq_u64_e32 vcc_lo, v[15:16], v[10:11]
	v_dual_mov_b32 v10, v15 :: v_dual_mov_b32 v11, v16
	s_or_b32 s8, vcc_lo, s8
	s_delay_alu instid0(SALU_CYCLE_1)
	s_and_not1_b32 exec_lo, exec_lo, s8
	s_cbranch_execnz .LBB75_50
; %bb.51:                               ;   in Loop: Header=BB75_42 Depth=2
	s_or_b32 exec_lo, exec_lo, s8
	s_delay_alu instid0(SALU_CYCLE_1)
	s_xor_b32 s8, exec_lo, -1
.LBB75_52:                              ;   in Loop: Header=BB75_42 Depth=2
	s_or_b32 exec_lo, exec_lo, s7
	s_delay_alu instid0(SALU_CYCLE_1) | instskip(SKIP_1) | instid1(SALU_CYCLE_1)
	s_and_not1_b32 s5, s5, exec_lo
	s_and_b32 s7, s8, exec_lo
	s_or_b32 s5, s5, s7
.LBB75_53:                              ;   in Loop: Header=BB75_42 Depth=2
	s_or_b32 exec_lo, exec_lo, s6
	s_delay_alu instid0(SALU_CYCLE_1)
	s_and_b32 s5, s5, exec_lo
                                        ; implicit-def: $vgpr10
.LBB75_54:                              ;   in Loop: Header=BB75_42 Depth=2
	s_and_not1_saveexec_b32 s4, s4
	s_cbranch_execz .LBB75_41
; %bb.55:                               ;   in Loop: Header=BB75_42 Depth=2
	v_mul_lo_u32 v11, v13, 12
	s_mov_b32 s6, 0
	s_delay_alu instid0(VALU_DEP_1)
	v_add_nc_u32_e32 v14, v10, v11
	ds_load_b64 v[10:11], v14 offset:8192
.LBB75_56:                              ;   Parent Loop BB75_40 Depth=1
                                        ;     Parent Loop BB75_42 Depth=2
                                        ; =>    This Inner Loop Header: Depth=3
	s_waitcnt lgkmcnt(0)
	v_add_f64 v[15:16], v[10:11], v[6:7]
	ds_cmpstore_rtn_b64 v[15:16], v14, v[15:16], v[10:11] offset:8192
	s_waitcnt lgkmcnt(0)
	v_cmp_eq_u64_e32 vcc_lo, v[15:16], v[10:11]
	v_dual_mov_b32 v10, v15 :: v_dual_mov_b32 v11, v16
	s_or_b32 s6, vcc_lo, s6
	s_delay_alu instid0(SALU_CYCLE_1)
	s_and_not1_b32 exec_lo, exec_lo, s6
	s_cbranch_execnz .LBB75_56
; %bb.57:                               ;   in Loop: Header=BB75_42 Depth=2
	s_or_b32 exec_lo, exec_lo, s6
	ds_load_b64 v[10:11], v14 offset:8200
	s_mov_b32 s6, 0
.LBB75_58:                              ;   Parent Loop BB75_40 Depth=1
                                        ;     Parent Loop BB75_42 Depth=2
                                        ; =>    This Inner Loop Header: Depth=3
	s_waitcnt lgkmcnt(0)
	v_add_f64 v[15:16], v[10:11], v[8:9]
	ds_cmpstore_rtn_b64 v[15:16], v14, v[15:16], v[10:11] offset:8200
	s_waitcnt lgkmcnt(0)
	v_cmp_eq_u64_e32 vcc_lo, v[15:16], v[10:11]
	v_dual_mov_b32 v10, v15 :: v_dual_mov_b32 v11, v16
	s_or_b32 s6, vcc_lo, s6
	s_delay_alu instid0(SALU_CYCLE_1)
	s_and_not1_b32 exec_lo, exec_lo, s6
	s_cbranch_execnz .LBB75_58
; %bb.59:                               ;   in Loop: Header=BB75_42 Depth=2
	s_or_b32 exec_lo, exec_lo, s6
	s_delay_alu instid0(SALU_CYCLE_1)
	s_and_not1_b32 s5, s5, exec_lo
	s_branch .LBB75_41
.LBB75_60:
	s_or_b32 exec_lo, exec_lo, s1
.LBB75_61:
	v_mbcnt_lo_u32_b32 v1, -1, 0
	v_lshl_add_u32 v3, v26, 2, 0
	v_cmp_eq_u32_e32 vcc_lo, 0x3ff, v0
	v_cmp_lt_u32_e64 s0, 31, v0
	v_cmp_lt_u32_e64 s1, 63, v0
	v_xor_b32_e32 v1, 63, v1
	v_cmp_lt_u32_e64 s2, 0x5f, v0
	v_cmp_lt_u32_e64 s3, 0x7f, v0
	;; [unrolled: 1-line block ×4, first 2 shown]
	v_lshrrev_b64 v[1:2], v1, -1
	v_cmp_lt_u32_e64 s6, 0xdf, v0
	v_cmp_lt_u32_e64 s7, 0xff, v0
	;; [unrolled: 1-line block ×25, first 2 shown]
	v_mov_b32_e32 v2, 0
	v_mov_b32_e32 v4, 0
	s_mov_b32 s35, 0
	s_waitcnt lgkmcnt(0)
	s_barrier
	buffer_gl0_inv
	s_branch .LBB75_63
.LBB75_62:                              ;   in Loop: Header=BB75_63 Depth=1
	s_or_b32 exec_lo, exec_lo, s31
	s_waitcnt lgkmcnt(0)
	s_barrier
	buffer_gl0_inv
	ds_load_b32 v5, v2 offset:41084
	v_add_co_u32 v23, s31, 0x400, v23
	s_delay_alu instid0(VALU_DEP_1) | instskip(SKIP_3) | instid1(SALU_CYCLE_1)
	s_xor_b32 s31, s31, -1
	v_add_nc_u32_e32 v25, 0x4000, v25
	v_add_nc_u32_e32 v24, 0x1000, v24
	s_and_b32 s31, exec_lo, s31
	s_or_b32 s35, s31, s35
	s_waitcnt lgkmcnt(0)
	v_add_nc_u32_e32 v4, v5, v4
	s_and_not1_b32 exec_lo, exec_lo, s35
	s_cbranch_execz .LBB75_129
.LBB75_63:                              ; =>This Inner Loop Header: Depth=1
	ds_load_b32 v5, v24
	ds_load_2addr_b64 v[6:9], v25 offset1:1
	s_waitcnt lgkmcnt(1)
	v_cmp_gt_i32_e64 s31, s33, v5
	s_waitcnt lgkmcnt(0)
	scratch_store_b128 off, v[6:9], off
	s_waitcnt_vscnt null, 0x0
	s_barrier
	buffer_gl0_inv
	s_bcnt1_i32_b32 s36, s31
	s_delay_alu instid0(SALU_CYCLE_1) | instskip(NEXT) | instid1(VALU_DEP_1)
	v_dual_mov_b32 v7, s36 :: v_dual_and_b32 v6, s31, v1
	v_bcnt_u32_b32 v6, v6, 0
	ds_store_b32 v3, v7 offset:40960
	s_waitcnt lgkmcnt(0)
	s_barrier
	buffer_gl0_inv
	s_and_saveexec_b32 s36, s0
	s_cbranch_execnz .LBB75_96
; %bb.64:                               ;   in Loop: Header=BB75_63 Depth=1
	s_or_b32 exec_lo, exec_lo, s36
	s_and_saveexec_b32 s36, s1
	s_cbranch_execnz .LBB75_97
.LBB75_65:                              ;   in Loop: Header=BB75_63 Depth=1
	s_or_b32 exec_lo, exec_lo, s36
	s_and_saveexec_b32 s36, s2
	s_cbranch_execnz .LBB75_98
.LBB75_66:                              ;   in Loop: Header=BB75_63 Depth=1
	s_or_b32 exec_lo, exec_lo, s36
	s_and_saveexec_b32 s36, s3
	s_cbranch_execnz .LBB75_99
.LBB75_67:                              ;   in Loop: Header=BB75_63 Depth=1
	s_or_b32 exec_lo, exec_lo, s36
	s_and_saveexec_b32 s36, s4
	s_cbranch_execnz .LBB75_100
.LBB75_68:                              ;   in Loop: Header=BB75_63 Depth=1
	s_or_b32 exec_lo, exec_lo, s36
	s_and_saveexec_b32 s36, s5
	s_cbranch_execnz .LBB75_101
.LBB75_69:                              ;   in Loop: Header=BB75_63 Depth=1
	s_or_b32 exec_lo, exec_lo, s36
	s_and_saveexec_b32 s36, s6
	s_cbranch_execnz .LBB75_102
.LBB75_70:                              ;   in Loop: Header=BB75_63 Depth=1
	s_or_b32 exec_lo, exec_lo, s36
	s_and_saveexec_b32 s36, s7
	s_cbranch_execnz .LBB75_103
.LBB75_71:                              ;   in Loop: Header=BB75_63 Depth=1
	s_or_b32 exec_lo, exec_lo, s36
	s_and_saveexec_b32 s36, s8
	s_cbranch_execnz .LBB75_104
.LBB75_72:                              ;   in Loop: Header=BB75_63 Depth=1
	s_or_b32 exec_lo, exec_lo, s36
	s_and_saveexec_b32 s36, s9
	s_cbranch_execnz .LBB75_105
.LBB75_73:                              ;   in Loop: Header=BB75_63 Depth=1
	s_or_b32 exec_lo, exec_lo, s36
	s_and_saveexec_b32 s36, s10
	s_cbranch_execnz .LBB75_106
.LBB75_74:                              ;   in Loop: Header=BB75_63 Depth=1
	s_or_b32 exec_lo, exec_lo, s36
	s_and_saveexec_b32 s36, s11
	s_cbranch_execnz .LBB75_107
.LBB75_75:                              ;   in Loop: Header=BB75_63 Depth=1
	s_or_b32 exec_lo, exec_lo, s36
	s_and_saveexec_b32 s36, s12
	s_cbranch_execnz .LBB75_108
.LBB75_76:                              ;   in Loop: Header=BB75_63 Depth=1
	s_or_b32 exec_lo, exec_lo, s36
	s_and_saveexec_b32 s36, s13
	s_cbranch_execnz .LBB75_109
.LBB75_77:                              ;   in Loop: Header=BB75_63 Depth=1
	s_or_b32 exec_lo, exec_lo, s36
	s_and_saveexec_b32 s36, s14
	s_cbranch_execnz .LBB75_110
.LBB75_78:                              ;   in Loop: Header=BB75_63 Depth=1
	s_or_b32 exec_lo, exec_lo, s36
	s_and_saveexec_b32 s36, s15
	s_cbranch_execnz .LBB75_111
.LBB75_79:                              ;   in Loop: Header=BB75_63 Depth=1
	s_or_b32 exec_lo, exec_lo, s36
	s_and_saveexec_b32 s36, s16
	s_cbranch_execnz .LBB75_112
.LBB75_80:                              ;   in Loop: Header=BB75_63 Depth=1
	s_or_b32 exec_lo, exec_lo, s36
	s_and_saveexec_b32 s36, s17
	s_cbranch_execnz .LBB75_113
.LBB75_81:                              ;   in Loop: Header=BB75_63 Depth=1
	s_or_b32 exec_lo, exec_lo, s36
	s_and_saveexec_b32 s36, s18
	s_cbranch_execnz .LBB75_114
.LBB75_82:                              ;   in Loop: Header=BB75_63 Depth=1
	s_or_b32 exec_lo, exec_lo, s36
	s_and_saveexec_b32 s36, s19
	s_cbranch_execnz .LBB75_115
.LBB75_83:                              ;   in Loop: Header=BB75_63 Depth=1
	s_or_b32 exec_lo, exec_lo, s36
	s_and_saveexec_b32 s36, s20
	s_cbranch_execnz .LBB75_116
.LBB75_84:                              ;   in Loop: Header=BB75_63 Depth=1
	s_or_b32 exec_lo, exec_lo, s36
	s_and_saveexec_b32 s36, s21
	s_cbranch_execnz .LBB75_117
.LBB75_85:                              ;   in Loop: Header=BB75_63 Depth=1
	s_or_b32 exec_lo, exec_lo, s36
	s_and_saveexec_b32 s36, s22
	s_cbranch_execnz .LBB75_118
.LBB75_86:                              ;   in Loop: Header=BB75_63 Depth=1
	s_or_b32 exec_lo, exec_lo, s36
	s_and_saveexec_b32 s36, s23
	s_cbranch_execnz .LBB75_119
.LBB75_87:                              ;   in Loop: Header=BB75_63 Depth=1
	s_or_b32 exec_lo, exec_lo, s36
	s_and_saveexec_b32 s36, s24
	s_cbranch_execnz .LBB75_120
.LBB75_88:                              ;   in Loop: Header=BB75_63 Depth=1
	s_or_b32 exec_lo, exec_lo, s36
	s_and_saveexec_b32 s36, s25
	s_cbranch_execnz .LBB75_121
.LBB75_89:                              ;   in Loop: Header=BB75_63 Depth=1
	s_or_b32 exec_lo, exec_lo, s36
	s_and_saveexec_b32 s36, s26
	s_cbranch_execnz .LBB75_122
.LBB75_90:                              ;   in Loop: Header=BB75_63 Depth=1
	s_or_b32 exec_lo, exec_lo, s36
	s_and_saveexec_b32 s36, s27
	s_cbranch_execnz .LBB75_123
.LBB75_91:                              ;   in Loop: Header=BB75_63 Depth=1
	s_or_b32 exec_lo, exec_lo, s36
	s_and_saveexec_b32 s36, s28
	s_cbranch_execnz .LBB75_124
.LBB75_92:                              ;   in Loop: Header=BB75_63 Depth=1
	s_or_b32 exec_lo, exec_lo, s36
	s_and_saveexec_b32 s36, s29
	s_cbranch_execnz .LBB75_125
.LBB75_93:                              ;   in Loop: Header=BB75_63 Depth=1
	s_or_b32 exec_lo, exec_lo, s36
	s_and_saveexec_b32 s36, s30
	s_cbranch_execnz .LBB75_126
.LBB75_94:                              ;   in Loop: Header=BB75_63 Depth=1
	s_or_b32 exec_lo, exec_lo, s36
	s_and_saveexec_b32 s36, s31
	s_cbranch_execnz .LBB75_127
.LBB75_95:                              ;   in Loop: Header=BB75_63 Depth=1
	s_or_b32 exec_lo, exec_lo, s36
	s_and_saveexec_b32 s31, vcc_lo
	s_cbranch_execz .LBB75_62
	s_branch .LBB75_128
.LBB75_96:                              ;   in Loop: Header=BB75_63 Depth=1
	ds_load_b32 v7, v2 offset:40960
	s_waitcnt lgkmcnt(0)
	v_add_nc_u32_e32 v6, v7, v6
	s_or_b32 exec_lo, exec_lo, s36
	s_and_saveexec_b32 s36, s1
	s_cbranch_execz .LBB75_65
.LBB75_97:                              ;   in Loop: Header=BB75_63 Depth=1
	ds_load_b32 v7, v2 offset:40964
	s_waitcnt lgkmcnt(0)
	v_add_nc_u32_e32 v6, v7, v6
	s_or_b32 exec_lo, exec_lo, s36
	s_and_saveexec_b32 s36, s2
	s_cbranch_execz .LBB75_66
.LBB75_98:                              ;   in Loop: Header=BB75_63 Depth=1
	ds_load_b32 v7, v2 offset:40968
	s_waitcnt lgkmcnt(0)
	v_add_nc_u32_e32 v6, v7, v6
	s_or_b32 exec_lo, exec_lo, s36
	s_and_saveexec_b32 s36, s3
	s_cbranch_execz .LBB75_67
.LBB75_99:                              ;   in Loop: Header=BB75_63 Depth=1
	ds_load_b32 v7, v2 offset:40972
	s_waitcnt lgkmcnt(0)
	v_add_nc_u32_e32 v6, v7, v6
	s_or_b32 exec_lo, exec_lo, s36
	s_and_saveexec_b32 s36, s4
	s_cbranch_execz .LBB75_68
.LBB75_100:                             ;   in Loop: Header=BB75_63 Depth=1
	ds_load_b32 v7, v2 offset:40976
	s_waitcnt lgkmcnt(0)
	v_add_nc_u32_e32 v6, v7, v6
	s_or_b32 exec_lo, exec_lo, s36
	s_and_saveexec_b32 s36, s5
	s_cbranch_execz .LBB75_69
.LBB75_101:                             ;   in Loop: Header=BB75_63 Depth=1
	ds_load_b32 v7, v2 offset:40980
	s_waitcnt lgkmcnt(0)
	v_add_nc_u32_e32 v6, v7, v6
	s_or_b32 exec_lo, exec_lo, s36
	s_and_saveexec_b32 s36, s6
	s_cbranch_execz .LBB75_70
.LBB75_102:                             ;   in Loop: Header=BB75_63 Depth=1
	ds_load_b32 v7, v2 offset:40984
	s_waitcnt lgkmcnt(0)
	v_add_nc_u32_e32 v6, v7, v6
	s_or_b32 exec_lo, exec_lo, s36
	s_and_saveexec_b32 s36, s7
	s_cbranch_execz .LBB75_71
.LBB75_103:                             ;   in Loop: Header=BB75_63 Depth=1
	ds_load_b32 v7, v2 offset:40988
	s_waitcnt lgkmcnt(0)
	v_add_nc_u32_e32 v6, v7, v6
	s_or_b32 exec_lo, exec_lo, s36
	s_and_saveexec_b32 s36, s8
	s_cbranch_execz .LBB75_72
.LBB75_104:                             ;   in Loop: Header=BB75_63 Depth=1
	ds_load_b32 v7, v2 offset:40992
	s_waitcnt lgkmcnt(0)
	v_add_nc_u32_e32 v6, v7, v6
	s_or_b32 exec_lo, exec_lo, s36
	s_and_saveexec_b32 s36, s9
	s_cbranch_execz .LBB75_73
.LBB75_105:                             ;   in Loop: Header=BB75_63 Depth=1
	ds_load_b32 v7, v2 offset:40996
	s_waitcnt lgkmcnt(0)
	v_add_nc_u32_e32 v6, v7, v6
	s_or_b32 exec_lo, exec_lo, s36
	s_and_saveexec_b32 s36, s10
	s_cbranch_execz .LBB75_74
.LBB75_106:                             ;   in Loop: Header=BB75_63 Depth=1
	ds_load_b32 v7, v2 offset:41000
	s_waitcnt lgkmcnt(0)
	v_add_nc_u32_e32 v6, v7, v6
	s_or_b32 exec_lo, exec_lo, s36
	s_and_saveexec_b32 s36, s11
	s_cbranch_execz .LBB75_75
.LBB75_107:                             ;   in Loop: Header=BB75_63 Depth=1
	ds_load_b32 v7, v2 offset:41004
	s_waitcnt lgkmcnt(0)
	v_add_nc_u32_e32 v6, v7, v6
	s_or_b32 exec_lo, exec_lo, s36
	s_and_saveexec_b32 s36, s12
	s_cbranch_execz .LBB75_76
.LBB75_108:                             ;   in Loop: Header=BB75_63 Depth=1
	ds_load_b32 v7, v2 offset:41008
	s_waitcnt lgkmcnt(0)
	v_add_nc_u32_e32 v6, v7, v6
	s_or_b32 exec_lo, exec_lo, s36
	s_and_saveexec_b32 s36, s13
	s_cbranch_execz .LBB75_77
.LBB75_109:                             ;   in Loop: Header=BB75_63 Depth=1
	ds_load_b32 v7, v2 offset:41012
	s_waitcnt lgkmcnt(0)
	v_add_nc_u32_e32 v6, v7, v6
	s_or_b32 exec_lo, exec_lo, s36
	s_and_saveexec_b32 s36, s14
	s_cbranch_execz .LBB75_78
.LBB75_110:                             ;   in Loop: Header=BB75_63 Depth=1
	ds_load_b32 v7, v2 offset:41016
	s_waitcnt lgkmcnt(0)
	v_add_nc_u32_e32 v6, v7, v6
	s_or_b32 exec_lo, exec_lo, s36
	s_and_saveexec_b32 s36, s15
	s_cbranch_execz .LBB75_79
.LBB75_111:                             ;   in Loop: Header=BB75_63 Depth=1
	ds_load_b32 v7, v2 offset:41020
	s_waitcnt lgkmcnt(0)
	v_add_nc_u32_e32 v6, v7, v6
	s_or_b32 exec_lo, exec_lo, s36
	s_and_saveexec_b32 s36, s16
	s_cbranch_execz .LBB75_80
.LBB75_112:                             ;   in Loop: Header=BB75_63 Depth=1
	ds_load_b32 v7, v2 offset:41024
	s_waitcnt lgkmcnt(0)
	v_add_nc_u32_e32 v6, v7, v6
	s_or_b32 exec_lo, exec_lo, s36
	s_and_saveexec_b32 s36, s17
	s_cbranch_execz .LBB75_81
.LBB75_113:                             ;   in Loop: Header=BB75_63 Depth=1
	ds_load_b32 v7, v2 offset:41028
	s_waitcnt lgkmcnt(0)
	v_add_nc_u32_e32 v6, v7, v6
	s_or_b32 exec_lo, exec_lo, s36
	s_and_saveexec_b32 s36, s18
	s_cbranch_execz .LBB75_82
.LBB75_114:                             ;   in Loop: Header=BB75_63 Depth=1
	ds_load_b32 v7, v2 offset:41032
	s_waitcnt lgkmcnt(0)
	v_add_nc_u32_e32 v6, v7, v6
	s_or_b32 exec_lo, exec_lo, s36
	s_and_saveexec_b32 s36, s19
	s_cbranch_execz .LBB75_83
.LBB75_115:                             ;   in Loop: Header=BB75_63 Depth=1
	ds_load_b32 v7, v2 offset:41036
	s_waitcnt lgkmcnt(0)
	v_add_nc_u32_e32 v6, v7, v6
	s_or_b32 exec_lo, exec_lo, s36
	s_and_saveexec_b32 s36, s20
	s_cbranch_execz .LBB75_84
.LBB75_116:                             ;   in Loop: Header=BB75_63 Depth=1
	ds_load_b32 v7, v2 offset:41040
	s_waitcnt lgkmcnt(0)
	v_add_nc_u32_e32 v6, v7, v6
	s_or_b32 exec_lo, exec_lo, s36
	s_and_saveexec_b32 s36, s21
	s_cbranch_execz .LBB75_85
.LBB75_117:                             ;   in Loop: Header=BB75_63 Depth=1
	ds_load_b32 v7, v2 offset:41044
	s_waitcnt lgkmcnt(0)
	v_add_nc_u32_e32 v6, v7, v6
	s_or_b32 exec_lo, exec_lo, s36
	s_and_saveexec_b32 s36, s22
	s_cbranch_execz .LBB75_86
.LBB75_118:                             ;   in Loop: Header=BB75_63 Depth=1
	ds_load_b32 v7, v2 offset:41048
	s_waitcnt lgkmcnt(0)
	v_add_nc_u32_e32 v6, v7, v6
	s_or_b32 exec_lo, exec_lo, s36
	s_and_saveexec_b32 s36, s23
	s_cbranch_execz .LBB75_87
.LBB75_119:                             ;   in Loop: Header=BB75_63 Depth=1
	ds_load_b32 v7, v2 offset:41052
	s_waitcnt lgkmcnt(0)
	v_add_nc_u32_e32 v6, v7, v6
	s_or_b32 exec_lo, exec_lo, s36
	s_and_saveexec_b32 s36, s24
	s_cbranch_execz .LBB75_88
.LBB75_120:                             ;   in Loop: Header=BB75_63 Depth=1
	ds_load_b32 v7, v2 offset:41056
	s_waitcnt lgkmcnt(0)
	v_add_nc_u32_e32 v6, v7, v6
	s_or_b32 exec_lo, exec_lo, s36
	s_and_saveexec_b32 s36, s25
	s_cbranch_execz .LBB75_89
.LBB75_121:                             ;   in Loop: Header=BB75_63 Depth=1
	ds_load_b32 v7, v2 offset:41060
	s_waitcnt lgkmcnt(0)
	v_add_nc_u32_e32 v6, v7, v6
	s_or_b32 exec_lo, exec_lo, s36
	s_and_saveexec_b32 s36, s26
	s_cbranch_execz .LBB75_90
.LBB75_122:                             ;   in Loop: Header=BB75_63 Depth=1
	ds_load_b32 v7, v2 offset:41064
	s_waitcnt lgkmcnt(0)
	v_add_nc_u32_e32 v6, v7, v6
	s_or_b32 exec_lo, exec_lo, s36
	s_and_saveexec_b32 s36, s27
	s_cbranch_execz .LBB75_91
.LBB75_123:                             ;   in Loop: Header=BB75_63 Depth=1
	ds_load_b32 v7, v2 offset:41068
	s_waitcnt lgkmcnt(0)
	v_add_nc_u32_e32 v6, v7, v6
	s_or_b32 exec_lo, exec_lo, s36
	s_and_saveexec_b32 s36, s28
	s_cbranch_execz .LBB75_92
.LBB75_124:                             ;   in Loop: Header=BB75_63 Depth=1
	ds_load_b32 v7, v2 offset:41072
	s_waitcnt lgkmcnt(0)
	v_add_nc_u32_e32 v6, v7, v6
	s_or_b32 exec_lo, exec_lo, s36
	s_and_saveexec_b32 s36, s29
	s_cbranch_execz .LBB75_93
.LBB75_125:                             ;   in Loop: Header=BB75_63 Depth=1
	ds_load_b32 v7, v2 offset:41076
	s_waitcnt lgkmcnt(0)
	v_add_nc_u32_e32 v6, v7, v6
	s_or_b32 exec_lo, exec_lo, s36
	s_and_saveexec_b32 s36, s30
	s_cbranch_execz .LBB75_94
.LBB75_126:                             ;   in Loop: Header=BB75_63 Depth=1
	ds_load_b32 v7, v2 offset:41080
	s_waitcnt lgkmcnt(0)
	v_add_nc_u32_e32 v6, v7, v6
	s_or_b32 exec_lo, exec_lo, s36
	s_and_saveexec_b32 s36, s31
	s_cbranch_execz .LBB75_95
.LBB75_127:                             ;   in Loop: Header=BB75_63 Depth=1
	scratch_load_b128 v[7:10], off, off
	v_add3_u32 v11, v4, -1, v6
	s_delay_alu instid0(VALU_DEP_1) | instskip(SKIP_1) | instid1(VALU_DEP_2)
	v_lshlrev_b32_e32 v12, 4, v11
	v_lshl_add_u32 v11, v11, 2, 0
	v_add3_u32 v12, 0, v12, 0x2000
	ds_store_b32 v11, v5
	s_waitcnt vmcnt(0)
	ds_store_2addr_b64 v12, v[7:8], v[9:10] offset1:1
	s_or_b32 exec_lo, exec_lo, s36
	s_and_saveexec_b32 s31, vcc_lo
	s_cbranch_execz .LBB75_62
.LBB75_128:                             ;   in Loop: Header=BB75_63 Depth=1
	ds_store_b32 v2, v6 offset:41084
	s_branch .LBB75_62
.LBB75_129:
	s_or_b32 exec_lo, exec_lo, s35
	s_ashr_i32 s35, s34, 31
	s_mov_b32 s3, exec_lo
	s_lshl_b64 s[0:1], s[34:35], 2
	s_delay_alu instid0(SALU_CYCLE_1) | instskip(SKIP_4) | instid1(SALU_CYCLE_1)
	s_add_u32 s0, s42, s0
	s_addc_u32 s1, s43, s1
	s_load_b64 s[0:1], s[0:1], 0x0
	s_waitcnt lgkmcnt(0)
	s_sub_i32 s2, s1, s0
	v_cmpx_gt_i32_e64 s2, v0
	s_cbranch_execz .LBB75_139
; %bb.130:
	s_sub_i32 s3, s0, s46
	s_sub_i32 s0, s0, s1
	s_and_b32 s1, s2, 7
	s_cmp_lt_u32 s0, -7
	s_mov_b32 s7, 0
	s_cselect_b32 s4, -1, 0
	s_and_b32 s5, s2, -8
	s_cmp_lg_u32 s1, 0
	s_cselect_b32 s6, -1, 0
	s_branch .LBB75_132
.LBB75_131:                             ;   in Loop: Header=BB75_132 Depth=1
	v_mul_lo_u32 v4, v0, 12
	v_add_nc_u32_e32 v0, 0x400, v0
	s_waitcnt lgkmcnt(0)
	v_add_nc_u32_e32 v3, s46, v3
	s_delay_alu instid0(VALU_DEP_3) | instskip(SKIP_4) | instid1(VALU_DEP_2)
	v_add3_u32 v4, v2, v4, 0x2000
	v_ashrrev_i32_e32 v2, 31, v1
	ds_load_2addr_b64 v[4:7], v4 offset1:1
	v_lshlrev_b64 v[8:9], 2, v[1:2]
	v_lshlrev_b64 v[1:2], 4, v[1:2]
	v_add_co_u32 v8, vcc_lo, s48, v8
	s_delay_alu instid0(VALU_DEP_3) | instskip(SKIP_1) | instid1(VALU_DEP_4)
	v_add_co_ci_u32_e32 v9, vcc_lo, s49, v9, vcc_lo
	v_cmp_le_i32_e32 vcc_lo, s2, v0
	v_add_co_u32 v1, s0, s50, v1
	s_delay_alu instid0(VALU_DEP_1)
	v_add_co_ci_u32_e64 v2, s0, s51, v2, s0
	s_or_b32 s7, vcc_lo, s7
	global_store_b32 v[8:9], v3, off
	s_waitcnt lgkmcnt(0)
	global_store_b128 v[1:2], v[4:7], off
	s_and_not1_b32 exec_lo, exec_lo, s7
	s_cbranch_execz .LBB75_139
.LBB75_132:                             ; =>This Loop Header: Depth=1
                                        ;     Child Loop BB75_134 Depth 2
                                        ;     Child Loop BB75_138 Depth 2
	v_lshl_add_u32 v2, v0, 2, 0
	v_mov_b32_e32 v1, s3
	s_and_not1_b32 vcc_lo, exec_lo, s4
	s_mov_b32 s0, 0
	ds_load_b32 v3, v2
	s_cbranch_vccnz .LBB75_136
; %bb.133:                              ;   in Loop: Header=BB75_132 Depth=1
	v_mov_b32_e32 v1, s3
	s_mov_b32 s8, 0
	s_set_inst_prefetch_distance 0x1
	.p2align	6
.LBB75_134:                             ;   Parent Loop BB75_132 Depth=1
                                        ; =>  This Inner Loop Header: Depth=2
	v_mov_b32_e32 v10, s8
	s_add_i32 s0, s0, 8
	s_add_i32 s8, s8, 32
	s_cmp_eq_u32 s5, s0
	ds_load_2addr_b32 v[4:5], v10 offset1:1
	ds_load_2addr_b32 v[6:7], v10 offset0:2 offset1:3
	ds_load_2addr_b32 v[8:9], v10 offset0:4 offset1:5
	;; [unrolled: 1-line block ×3, first 2 shown]
	s_waitcnt lgkmcnt(3)
	v_cmp_gt_i32_e32 vcc_lo, v3, v4
	v_cndmask_b32_e64 v4, 0, 1, vcc_lo
	s_waitcnt lgkmcnt(2)
	v_cmp_gt_i32_e32 vcc_lo, v3, v6
	v_cndmask_b32_e64 v6, 0, 1, vcc_lo
	v_cmp_gt_i32_e32 vcc_lo, v3, v5
	v_add_co_ci_u32_e32 v1, vcc_lo, v1, v4, vcc_lo
	s_waitcnt lgkmcnt(1)
	v_cmp_gt_i32_e32 vcc_lo, v3, v8
	v_cndmask_b32_e64 v4, 0, 1, vcc_lo
	v_cmp_gt_i32_e32 vcc_lo, v3, v7
	v_add_co_ci_u32_e32 v1, vcc_lo, v1, v6, vcc_lo
	;; [unrolled: 5-line block ×3, first 2 shown]
	v_cmp_gt_i32_e32 vcc_lo, v3, v11
	s_delay_alu instid0(VALU_DEP_2)
	v_add_co_ci_u32_e32 v1, vcc_lo, v1, v5, vcc_lo
	s_cbranch_scc0 .LBB75_134
; %bb.135:                              ;   in Loop: Header=BB75_132 Depth=1
	s_set_inst_prefetch_distance 0x2
	s_mov_b32 s0, s5
.LBB75_136:                             ;   in Loop: Header=BB75_132 Depth=1
	s_and_not1_b32 vcc_lo, exec_lo, s6
	s_cbranch_vccnz .LBB75_131
; %bb.137:                              ;   in Loop: Header=BB75_132 Depth=1
	s_lshl_b32 s0, s0, 2
	s_mov_b32 s8, s1
	s_add_i32 s0, s0, 0
.LBB75_138:                             ;   Parent Loop BB75_132 Depth=1
                                        ; =>  This Inner Loop Header: Depth=2
	s_delay_alu instid0(SALU_CYCLE_1)
	v_mov_b32_e32 v4, s0
	s_add_i32 s8, s8, -1
	s_add_i32 s0, s0, 4
	s_cmp_lg_u32 s8, 0
	ds_load_b32 v4, v4
	s_waitcnt lgkmcnt(0)
	v_cmp_gt_i32_e32 vcc_lo, v3, v4
	v_add_co_ci_u32_e32 v1, vcc_lo, 0, v1, vcc_lo
	s_cbranch_scc1 .LBB75_138
	s_branch .LBB75_131
.LBB75_139:
	s_nop 0
	s_sendmsg sendmsg(MSG_DEALLOC_VGPRS)
	s_endpgm
	.section	.rodata,"a",@progbits
	.p2align	6, 0x0
	.amdhsa_kernel _ZN9rocsparseL26csrgemm_fill_block_per_rowILj1024ELj32ELj2048ELj137ELj32Eii21rocsparse_complex_numIdEEEvT5_PKS3_S5_NS_24const_host_device_scalarIT6_EEPKT4_S5_PKS7_SB_S5_SD_S8_SB_S5_SD_SB_PS3_PS7_21rocsparse_index_base_SG_SG_SG_bbb
		.amdhsa_group_segment_fixed_size 0
		.amdhsa_private_segment_fixed_size 40
		.amdhsa_kernarg_size 172
		.amdhsa_user_sgpr_count 15
		.amdhsa_user_sgpr_dispatch_ptr 0
		.amdhsa_user_sgpr_queue_ptr 0
		.amdhsa_user_sgpr_kernarg_segment_ptr 1
		.amdhsa_user_sgpr_dispatch_id 0
		.amdhsa_user_sgpr_private_segment_size 0
		.amdhsa_wavefront_size32 1
		.amdhsa_uses_dynamic_stack 0
		.amdhsa_enable_private_segment 1
		.amdhsa_system_sgpr_workgroup_id_x 1
		.amdhsa_system_sgpr_workgroup_id_y 0
		.amdhsa_system_sgpr_workgroup_id_z 0
		.amdhsa_system_sgpr_workgroup_info 0
		.amdhsa_system_vgpr_workitem_id 0
		.amdhsa_next_free_vgpr 32
		.amdhsa_next_free_sgpr 52
		.amdhsa_reserve_vcc 1
		.amdhsa_float_round_mode_32 0
		.amdhsa_float_round_mode_16_64 0
		.amdhsa_float_denorm_mode_32 3
		.amdhsa_float_denorm_mode_16_64 3
		.amdhsa_dx10_clamp 1
		.amdhsa_ieee_mode 1
		.amdhsa_fp16_overflow 0
		.amdhsa_workgroup_processor_mode 1
		.amdhsa_memory_ordered 1
		.amdhsa_forward_progress 0
		.amdhsa_shared_vgpr_count 0
		.amdhsa_exception_fp_ieee_invalid_op 0
		.amdhsa_exception_fp_denorm_src 0
		.amdhsa_exception_fp_ieee_div_zero 0
		.amdhsa_exception_fp_ieee_overflow 0
		.amdhsa_exception_fp_ieee_underflow 0
		.amdhsa_exception_fp_ieee_inexact 0
		.amdhsa_exception_int_div_zero 0
	.end_amdhsa_kernel
	.section	.text._ZN9rocsparseL26csrgemm_fill_block_per_rowILj1024ELj32ELj2048ELj137ELj32Eii21rocsparse_complex_numIdEEEvT5_PKS3_S5_NS_24const_host_device_scalarIT6_EEPKT4_S5_PKS7_SB_S5_SD_S8_SB_S5_SD_SB_PS3_PS7_21rocsparse_index_base_SG_SG_SG_bbb,"axG",@progbits,_ZN9rocsparseL26csrgemm_fill_block_per_rowILj1024ELj32ELj2048ELj137ELj32Eii21rocsparse_complex_numIdEEEvT5_PKS3_S5_NS_24const_host_device_scalarIT6_EEPKT4_S5_PKS7_SB_S5_SD_S8_SB_S5_SD_SB_PS3_PS7_21rocsparse_index_base_SG_SG_SG_bbb,comdat
.Lfunc_end75:
	.size	_ZN9rocsparseL26csrgemm_fill_block_per_rowILj1024ELj32ELj2048ELj137ELj32Eii21rocsparse_complex_numIdEEEvT5_PKS3_S5_NS_24const_host_device_scalarIT6_EEPKT4_S5_PKS7_SB_S5_SD_S8_SB_S5_SD_SB_PS3_PS7_21rocsparse_index_base_SG_SG_SG_bbb, .Lfunc_end75-_ZN9rocsparseL26csrgemm_fill_block_per_rowILj1024ELj32ELj2048ELj137ELj32Eii21rocsparse_complex_numIdEEEvT5_PKS3_S5_NS_24const_host_device_scalarIT6_EEPKT4_S5_PKS7_SB_S5_SD_S8_SB_S5_SD_SB_PS3_PS7_21rocsparse_index_base_SG_SG_SG_bbb
                                        ; -- End function
	.section	.AMDGPU.csdata,"",@progbits
; Kernel info:
; codeLenInByte = 4920
; NumSgprs: 54
; NumVgprs: 32
; ScratchSize: 40
; MemoryBound: 0
; FloatMode: 240
; IeeeMode: 1
; LDSByteSize: 0 bytes/workgroup (compile time only)
; SGPRBlocks: 6
; VGPRBlocks: 3
; NumSGPRsForWavesPerEU: 54
; NumVGPRsForWavesPerEU: 32
; Occupancy: 16
; WaveLimiterHint : 1
; COMPUTE_PGM_RSRC2:SCRATCH_EN: 1
; COMPUTE_PGM_RSRC2:USER_SGPR: 15
; COMPUTE_PGM_RSRC2:TRAP_HANDLER: 0
; COMPUTE_PGM_RSRC2:TGID_X_EN: 1
; COMPUTE_PGM_RSRC2:TGID_Y_EN: 0
; COMPUTE_PGM_RSRC2:TGID_Z_EN: 0
; COMPUTE_PGM_RSRC2:TIDIG_COMP_CNT: 0
	.section	.text._ZN9rocsparseL26csrgemm_fill_block_per_rowILj1024ELj32ELj2048ELj137ELj64Eii21rocsparse_complex_numIdEEEvT5_PKS3_S5_NS_24const_host_device_scalarIT6_EEPKT4_S5_PKS7_SB_S5_SD_S8_SB_S5_SD_SB_PS3_PS7_21rocsparse_index_base_SG_SG_SG_bbb,"axG",@progbits,_ZN9rocsparseL26csrgemm_fill_block_per_rowILj1024ELj32ELj2048ELj137ELj64Eii21rocsparse_complex_numIdEEEvT5_PKS3_S5_NS_24const_host_device_scalarIT6_EEPKT4_S5_PKS7_SB_S5_SD_S8_SB_S5_SD_SB_PS3_PS7_21rocsparse_index_base_SG_SG_SG_bbb,comdat
	.globl	_ZN9rocsparseL26csrgemm_fill_block_per_rowILj1024ELj32ELj2048ELj137ELj64Eii21rocsparse_complex_numIdEEEvT5_PKS3_S5_NS_24const_host_device_scalarIT6_EEPKT4_S5_PKS7_SB_S5_SD_S8_SB_S5_SD_SB_PS3_PS7_21rocsparse_index_base_SG_SG_SG_bbb ; -- Begin function _ZN9rocsparseL26csrgemm_fill_block_per_rowILj1024ELj32ELj2048ELj137ELj64Eii21rocsparse_complex_numIdEEEvT5_PKS3_S5_NS_24const_host_device_scalarIT6_EEPKT4_S5_PKS7_SB_S5_SD_S8_SB_S5_SD_SB_PS3_PS7_21rocsparse_index_base_SG_SG_SG_bbb
	.p2align	8
	.type	_ZN9rocsparseL26csrgemm_fill_block_per_rowILj1024ELj32ELj2048ELj137ELj64Eii21rocsparse_complex_numIdEEEvT5_PKS3_S5_NS_24const_host_device_scalarIT6_EEPKT4_S5_PKS7_SB_S5_SD_S8_SB_S5_SD_SB_PS3_PS7_21rocsparse_index_base_SG_SG_SG_bbb,@function
_ZN9rocsparseL26csrgemm_fill_block_per_rowILj1024ELj32ELj2048ELj137ELj64Eii21rocsparse_complex_numIdEEEvT5_PKS3_S5_NS_24const_host_device_scalarIT6_EEPKT4_S5_PKS7_SB_S5_SD_S8_SB_S5_SD_SB_PS3_PS7_21rocsparse_index_base_SG_SG_SG_bbb: ; @_ZN9rocsparseL26csrgemm_fill_block_per_rowILj1024ELj32ELj2048ELj137ELj64Eii21rocsparse_complex_numIdEEEvT5_PKS3_S5_NS_24const_host_device_scalarIT6_EEPKT4_S5_PKS7_SB_S5_SD_S8_SB_S5_SD_SB_PS3_PS7_21rocsparse_index_base_SG_SG_SG_bbb
; %bb.0:
	s_clause 0x3
	s_load_b32 s14, s[0:1], 0xa8
	s_load_b128 s[4:7], s[0:1], 0x18
	s_load_b128 s[40:43], s[0:1], 0x58
	;; [unrolled: 1-line block ×3, first 2 shown]
	v_mov_b32_e32 v1, 0
	v_mov_b32_e32 v2, 0
	s_waitcnt lgkmcnt(0)
	s_bitcmp1_b32 s14, 0
	v_mov_b32_e32 v3, s4
	s_cselect_b32 s12, -1, 0
	s_bitcmp1_b32 s14, 16
	v_dual_mov_b32 v6, v2 :: v_dual_mov_b32 v5, v1
	s_cselect_b32 s2, -1, 0
	v_mov_b32_e32 v4, s5
	s_xor_b32 s13, s2, -1
	v_dual_mov_b32 v9, s40 :: v_dual_mov_b32 v10, s41
	v_cndmask_b32_e64 v7, 0, 1, s13
	s_bitcmp0_b32 s14, 0
	s_clause 0x1
	scratch_store_b64 off, v[3:4], off offset:16
	scratch_store_b64 off, v[9:10], off offset:24
	v_cmp_ne_u32_e32 vcc_lo, 1, v7
	v_dual_mov_b32 v8, v2 :: v_dual_mov_b32 v7, v1
	s_cbranch_scc1 .LBB76_3
; %bb.1:
	s_mov_b64 s[8:9], src_private_base
	s_and_b32 s3, s2, exec_lo
	s_cselect_b32 s3, s9, s5
	s_delay_alu instid0(SALU_CYCLE_1) | instskip(SKIP_2) | instid1(VALU_DEP_2)
	v_dual_mov_b32 v3, 16 :: v_dual_mov_b32 v4, s3
	v_dual_mov_b32 v8, s7 :: v_dual_mov_b32 v7, s6
	s_and_b32 vcc_lo, exec_lo, vcc_lo
	v_cndmask_b32_e64 v3, s4, v3, s2
	flat_load_b64 v[5:6], v[3:4]
	s_cbranch_vccnz .LBB76_3
; %bb.2:
	v_dual_mov_b32 v3, s4 :: v_dual_mov_b32 v4, s5
	flat_load_b64 v[7:8], v[3:4] offset:8
.LBB76_3:
	s_clause 0x4
	s_load_b128 s[28:31], s[0:1], 0x88
	s_load_b256 s[16:23], s[0:1], 0x68
	s_load_b128 s[36:39], s[0:1], 0x48
	s_load_b128 s[44:47], s[0:1], 0x8
	s_load_b256 s[4:11], s[0:1], 0x28
	s_bitcmp1_b32 s14, 8
	v_dual_mov_b32 v4, v2 :: v_dual_mov_b32 v3, v1
	s_cselect_b32 s3, -1, 0
	s_bfe_u32 s14, s14, 0x10008
	s_delay_alu instid0(SALU_CYCLE_1)
	s_cmp_eq_u32 s14, 0
	s_cbranch_scc1 .LBB76_6
; %bb.4:
	s_mov_b64 s[34:35], src_private_base
	s_and_b32 s14, s2, exec_lo
	s_cselect_b32 s14, s35, s41
	s_delay_alu instid0(SALU_CYCLE_1) | instskip(SKIP_1) | instid1(VALU_DEP_1)
	v_dual_mov_b32 v1, 24 :: v_dual_mov_b32 v2, s14
	s_and_not1_b32 vcc_lo, exec_lo, s13
	v_cndmask_b32_e64 v1, s40, v1, s2
	flat_load_b64 v[3:4], v[1:2]
	v_dual_mov_b32 v1, s42 :: v_dual_mov_b32 v2, s43
	s_cbranch_vccnz .LBB76_6
; %bb.5:
	v_dual_mov_b32 v1, s40 :: v_dual_mov_b32 v2, s41
	flat_load_b64 v[1:2], v[1:2] offset:8
.LBB76_6:
	s_load_b32 s33, s[0:1], 0x0
	s_mov_b32 s0, 0
	v_or_b32_e32 v23, 0xfffffc00, v0
	s_mov_b32 s1, s0
	s_delay_alu instid0(SALU_CYCLE_1) | instskip(SKIP_3) | instid1(VALU_DEP_2)
	v_dual_mov_b32 v10, s1 :: v_dual_lshlrev_b32 v11, 4, v0
	v_lshl_add_u32 v24, v0, 2, 0
	s_mov_b32 s34, s0
	s_mov_b32 s35, s0
	v_add3_u32 v25, v11, 0, 0x2000
	v_dual_mov_b32 v11, s34 :: v_dual_mov_b32 v14, v23
	v_dual_mov_b32 v9, s0 :: v_dual_mov_b32 v12, s35
	s_delay_alu instid0(VALU_DEP_3)
	v_dual_mov_b32 v13, v24 :: v_dual_mov_b32 v16, v25
	s_waitcnt lgkmcnt(0)
	v_mov_b32_e32 v15, s33
.LBB76_7:                               ; =>This Inner Loop Header: Depth=1
	v_add_co_u32 v14, s1, 0x400, v14
	s_delay_alu instid0(VALU_DEP_1)
	s_xor_b32 s1, s1, -1
	ds_store_b32 v13, v15
	ds_store_2addr_b64 v16, v[9:10], v[11:12] offset1:1
	v_add_nc_u32_e32 v16, 0x4000, v16
	v_add_nc_u32_e32 v13, 0x1000, v13
	s_and_b32 s1, exec_lo, s1
	s_delay_alu instid0(SALU_CYCLE_1) | instskip(NEXT) | instid1(SALU_CYCLE_1)
	s_or_b32 s0, s1, s0
	s_and_not1_b32 exec_lo, exec_lo, s0
	s_cbranch_execnz .LBB76_7
; %bb.8:
	s_or_b32 exec_lo, exec_lo, s0
	s_waitcnt vmcnt(0) lgkmcnt(0)
	s_waitcnt_vscnt null, 0x0
	s_barrier
	buffer_gl0_inv
	s_load_b32 s0, s[44:45], 0x0
	s_mov_b32 s1, 0
	s_waitcnt lgkmcnt(0)
	s_add_i32 s0, s0, s15
	s_delay_alu instid0(SALU_CYCLE_1) | instskip(NEXT) | instid1(SALU_CYCLE_1)
	s_lshl_b64 s[0:1], s[0:1], 2
	s_add_u32 s0, s46, s0
	s_addc_u32 s1, s47, s1
	s_and_b32 vcc_lo, exec_lo, s12
	s_load_b32 s34, s[0:1], 0x0
	s_cbranch_vccz .LBB76_36
; %bb.9:
	s_waitcnt lgkmcnt(0)
	s_ashr_i32 s35, s34, 31
	v_lshrrev_b32_e32 v9, 5, v0
	s_lshl_b64 s[0:1], s[34:35], 2
	s_delay_alu instid0(SALU_CYCLE_1) | instskip(SKIP_1) | instid1(VALU_DEP_1)
	s_add_u32 s0, s4, s0
	s_addc_u32 s1, s5, s1
	v_subrev_nc_u32_e32 v9, s24, v9
	s_load_b64 s[0:1], s[0:1], 0x0
	s_waitcnt lgkmcnt(0)
	s_delay_alu instid0(VALU_DEP_1) | instskip(SKIP_2) | instid1(VALU_DEP_1)
	v_add_nc_u32_e32 v9, s0, v9
	s_sub_i32 s0, s1, s24
	s_mov_b32 s1, exec_lo
	v_cmpx_gt_i32_e64 s0, v9
	s_cbranch_execz .LBB76_35
; %bb.10:
	v_and_b32_e32 v10, 31, v0
	s_mov_b32 s2, 0
	s_delay_alu instid0(VALU_DEP_1)
	v_subrev_nc_u32_e32 v26, s25, v10
	s_branch .LBB76_12
.LBB76_11:                              ;   in Loop: Header=BB76_12 Depth=1
	s_or_b32 exec_lo, exec_lo, s4
	v_add_nc_u32_e32 v9, 32, v9
	s_delay_alu instid0(VALU_DEP_1) | instskip(SKIP_1) | instid1(SALU_CYCLE_1)
	v_cmp_le_i32_e32 vcc_lo, s0, v9
	s_or_b32 s2, vcc_lo, s2
	s_and_not1_b32 exec_lo, exec_lo, s2
	s_cbranch_execz .LBB76_35
.LBB76_12:                              ; =>This Loop Header: Depth=1
                                        ;     Child Loop BB76_15 Depth 2
                                        ;       Child Loop BB76_17 Depth 3
                                        ;         Child Loop BB76_23 Depth 4
                                        ;         Child Loop BB76_25 Depth 4
	;; [unrolled: 1-line block ×4, first 2 shown]
	v_ashrrev_i32_e32 v10, 31, v9
	s_mov_b32 s4, exec_lo
	s_delay_alu instid0(VALU_DEP_1) | instskip(NEXT) | instid1(VALU_DEP_1)
	v_lshlrev_b64 v[11:12], 2, v[9:10]
	v_add_co_u32 v11, vcc_lo, s6, v11
	s_delay_alu instid0(VALU_DEP_2) | instskip(SKIP_3) | instid1(VALU_DEP_1)
	v_add_co_ci_u32_e32 v12, vcc_lo, s7, v12, vcc_lo
	global_load_b32 v11, v[11:12], off
	s_waitcnt vmcnt(0)
	v_subrev_nc_u32_e32 v11, s24, v11
	v_ashrrev_i32_e32 v12, 31, v11
	s_delay_alu instid0(VALU_DEP_1) | instskip(NEXT) | instid1(VALU_DEP_1)
	v_lshlrev_b64 v[11:12], 2, v[11:12]
	v_add_co_u32 v11, vcc_lo, s10, v11
	s_delay_alu instid0(VALU_DEP_2) | instskip(SKIP_4) | instid1(VALU_DEP_1)
	v_add_co_ci_u32_e32 v12, vcc_lo, s11, v12, vcc_lo
	global_load_b64 v[11:12], v[11:12], off
	s_waitcnt vmcnt(0)
	v_subrev_nc_u32_e32 v27, s25, v12
	v_add_nc_u32_e32 v11, v11, v26
	v_cmpx_lt_i32_e64 v11, v27
	s_cbranch_execz .LBB76_11
; %bb.13:                               ;   in Loop: Header=BB76_12 Depth=1
	v_lshlrev_b64 v[12:13], 4, v[9:10]
	s_mov_b32 s5, 0
	s_delay_alu instid0(VALU_DEP_1) | instskip(NEXT) | instid1(VALU_DEP_2)
	v_add_co_u32 v12, vcc_lo, s8, v12
	v_add_co_ci_u32_e32 v13, vcc_lo, s9, v13, vcc_lo
	global_load_b128 v[15:18], v[12:13], off
	s_waitcnt vmcnt(0)
	v_mul_f64 v[12:13], v[17:18], -v[7:8]
	v_mul_f64 v[17:18], v[5:6], v[17:18]
	s_delay_alu instid0(VALU_DEP_2) | instskip(NEXT) | instid1(VALU_DEP_2)
	v_fma_f64 v[13:14], v[5:6], v[15:16], v[12:13]
	v_fma_f64 v[15:16], v[7:8], v[15:16], v[17:18]
	s_branch .LBB76_15
.LBB76_14:                              ;   in Loop: Header=BB76_15 Depth=2
	s_or_b32 exec_lo, exec_lo, s12
	v_add_nc_u32_e32 v11, 32, v11
	s_delay_alu instid0(VALU_DEP_1) | instskip(SKIP_1) | instid1(SALU_CYCLE_1)
	v_cmp_ge_i32_e32 vcc_lo, v11, v27
	s_or_b32 s5, vcc_lo, s5
	s_and_not1_b32 exec_lo, exec_lo, s5
	s_cbranch_execz .LBB76_11
.LBB76_15:                              ;   Parent Loop BB76_12 Depth=1
                                        ; =>  This Loop Header: Depth=2
                                        ;       Child Loop BB76_17 Depth 3
                                        ;         Child Loop BB76_23 Depth 4
                                        ;         Child Loop BB76_25 Depth 4
	;; [unrolled: 1-line block ×4, first 2 shown]
	v_ashrrev_i32_e32 v12, 31, v11
	s_mov_b32 s12, 0
	s_delay_alu instid0(VALU_DEP_1) | instskip(NEXT) | instid1(VALU_DEP_1)
	v_lshlrev_b64 v[17:18], 4, v[11:12]
	v_add_co_u32 v17, vcc_lo, s38, v17
	s_delay_alu instid0(VALU_DEP_2) | instskip(SKIP_2) | instid1(VALU_DEP_1)
	v_add_co_ci_u32_e32 v18, vcc_lo, s39, v18, vcc_lo
	global_load_b128 v[19:22], v[17:18], off
	v_lshlrev_b64 v[17:18], 2, v[11:12]
	v_add_co_u32 v17, vcc_lo, s36, v17
	s_delay_alu instid0(VALU_DEP_2)
	v_add_co_ci_u32_e32 v18, vcc_lo, s37, v18, vcc_lo
	global_load_b32 v10, v[17:18], off
	s_waitcnt vmcnt(1)
	v_mul_f64 v[17:18], v[21:22], -v[15:16]
	v_mul_f64 v[21:22], v[13:14], v[21:22]
	s_waitcnt vmcnt(0)
	v_subrev_nc_u32_e32 v10, s25, v10
	s_delay_alu instid0(VALU_DEP_1) | instskip(NEXT) | instid1(VALU_DEP_1)
	v_mul_lo_u32 v12, 0x89, v10
	v_and_b32_e32 v12, 0x7ff, v12
	v_fma_f64 v[17:18], v[13:14], v[19:20], v[17:18]
	v_fma_f64 v[19:20], v[15:16], v[19:20], v[21:22]
	s_branch .LBB76_17
.LBB76_16:                              ;   in Loop: Header=BB76_17 Depth=3
	s_or_b32 exec_lo, exec_lo, s13
	s_xor_b32 s13, s14, -1
	s_delay_alu instid0(SALU_CYCLE_1) | instskip(NEXT) | instid1(SALU_CYCLE_1)
	s_and_b32 s13, exec_lo, s13
	s_or_b32 s12, s13, s12
	s_delay_alu instid0(SALU_CYCLE_1)
	s_and_not1_b32 exec_lo, exec_lo, s12
	s_cbranch_execz .LBB76_14
.LBB76_17:                              ;   Parent Loop BB76_12 Depth=1
                                        ;     Parent Loop BB76_15 Depth=2
                                        ; =>    This Loop Header: Depth=3
                                        ;         Child Loop BB76_23 Depth 4
                                        ;         Child Loop BB76_25 Depth 4
	;; [unrolled: 1-line block ×4, first 2 shown]
	s_delay_alu instid0(VALU_DEP_3)
	v_lshl_add_u32 v21, v12, 2, 0
	s_mov_b32 s13, exec_lo
                                        ; implicit-def: $sgpr14
	ds_load_b32 v22, v21
	s_waitcnt lgkmcnt(0)
	v_cmpx_ne_u32_e64 v22, v10
	s_xor_b32 s13, exec_lo, s13
	s_cbranch_execz .LBB76_29
; %bb.18:                               ;   in Loop: Header=BB76_17 Depth=3
	s_mov_b32 s15, exec_lo
                                        ; implicit-def: $sgpr14
	v_cmpx_ne_u32_e64 s33, v22
	s_xor_b32 s15, exec_lo, s15
; %bb.19:                               ;   in Loop: Header=BB76_17 Depth=3
	v_add_nc_u32_e32 v12, 1, v12
	s_mov_b32 s14, -1
                                        ; implicit-def: $vgpr21
	s_delay_alu instid0(VALU_DEP_1)
	v_and_b32_e32 v12, 0x7ff, v12
; %bb.20:                               ;   in Loop: Header=BB76_17 Depth=3
	s_and_not1_saveexec_b32 s15, s15
	s_cbranch_execz .LBB76_28
; %bb.21:                               ;   in Loop: Header=BB76_17 Depth=3
	v_mov_b32_e32 v22, s33
	s_mov_b32 s40, -1
	s_mov_b32 s35, exec_lo
	ds_cmpstore_rtn_b32 v22, v21, v10, v22
	s_waitcnt lgkmcnt(0)
	v_cmpx_eq_u32_e64 s33, v22
	s_cbranch_execz .LBB76_27
; %bb.22:                               ;   in Loop: Header=BB76_17 Depth=3
	v_mul_lo_u32 v22, v12, 12
	s_mov_b32 s40, 0
	s_delay_alu instid0(VALU_DEP_1)
	v_add_nc_u32_e32 v28, v21, v22
	ds_load_b64 v[21:22], v28 offset:8192
.LBB76_23:                              ;   Parent Loop BB76_12 Depth=1
                                        ;     Parent Loop BB76_15 Depth=2
                                        ;       Parent Loop BB76_17 Depth=3
                                        ; =>      This Inner Loop Header: Depth=4
	s_waitcnt lgkmcnt(0)
	v_add_f64 v[29:30], v[21:22], v[17:18]
	ds_cmpstore_rtn_b64 v[29:30], v28, v[29:30], v[21:22] offset:8192
	s_waitcnt lgkmcnt(0)
	v_cmp_eq_u64_e32 vcc_lo, v[29:30], v[21:22]
	v_dual_mov_b32 v21, v29 :: v_dual_mov_b32 v22, v30
	s_or_b32 s40, vcc_lo, s40
	s_delay_alu instid0(SALU_CYCLE_1)
	s_and_not1_b32 exec_lo, exec_lo, s40
	s_cbranch_execnz .LBB76_23
; %bb.24:                               ;   in Loop: Header=BB76_17 Depth=3
	s_or_b32 exec_lo, exec_lo, s40
	ds_load_b64 v[21:22], v28 offset:8200
	s_mov_b32 s40, 0
.LBB76_25:                              ;   Parent Loop BB76_12 Depth=1
                                        ;     Parent Loop BB76_15 Depth=2
                                        ;       Parent Loop BB76_17 Depth=3
                                        ; =>      This Inner Loop Header: Depth=4
	s_waitcnt lgkmcnt(0)
	v_add_f64 v[29:30], v[21:22], v[19:20]
	ds_cmpstore_rtn_b64 v[29:30], v28, v[29:30], v[21:22] offset:8200
	s_waitcnt lgkmcnt(0)
	v_cmp_eq_u64_e32 vcc_lo, v[29:30], v[21:22]
	v_dual_mov_b32 v21, v29 :: v_dual_mov_b32 v22, v30
	s_or_b32 s40, vcc_lo, s40
	s_delay_alu instid0(SALU_CYCLE_1)
	s_and_not1_b32 exec_lo, exec_lo, s40
	s_cbranch_execnz .LBB76_25
; %bb.26:                               ;   in Loop: Header=BB76_17 Depth=3
	s_or_b32 exec_lo, exec_lo, s40
	s_delay_alu instid0(SALU_CYCLE_1)
	s_xor_b32 s40, exec_lo, -1
.LBB76_27:                              ;   in Loop: Header=BB76_17 Depth=3
	s_or_b32 exec_lo, exec_lo, s35
	s_delay_alu instid0(SALU_CYCLE_1) | instskip(SKIP_1) | instid1(SALU_CYCLE_1)
	s_and_not1_b32 s14, s14, exec_lo
	s_and_b32 s35, s40, exec_lo
	s_or_b32 s14, s14, s35
.LBB76_28:                              ;   in Loop: Header=BB76_17 Depth=3
	s_or_b32 exec_lo, exec_lo, s15
	s_delay_alu instid0(SALU_CYCLE_1)
	s_and_b32 s14, s14, exec_lo
                                        ; implicit-def: $vgpr21
.LBB76_29:                              ;   in Loop: Header=BB76_17 Depth=3
	s_and_not1_saveexec_b32 s13, s13
	s_cbranch_execz .LBB76_16
; %bb.30:                               ;   in Loop: Header=BB76_17 Depth=3
	v_mul_lo_u32 v22, v12, 12
	s_mov_b32 s15, 0
	s_delay_alu instid0(VALU_DEP_1)
	v_add_nc_u32_e32 v28, v21, v22
	ds_load_b64 v[21:22], v28 offset:8192
.LBB76_31:                              ;   Parent Loop BB76_12 Depth=1
                                        ;     Parent Loop BB76_15 Depth=2
                                        ;       Parent Loop BB76_17 Depth=3
                                        ; =>      This Inner Loop Header: Depth=4
	s_waitcnt lgkmcnt(0)
	v_add_f64 v[29:30], v[21:22], v[17:18]
	ds_cmpstore_rtn_b64 v[29:30], v28, v[29:30], v[21:22] offset:8192
	s_waitcnt lgkmcnt(0)
	v_cmp_eq_u64_e32 vcc_lo, v[29:30], v[21:22]
	v_dual_mov_b32 v21, v29 :: v_dual_mov_b32 v22, v30
	s_or_b32 s15, vcc_lo, s15
	s_delay_alu instid0(SALU_CYCLE_1)
	s_and_not1_b32 exec_lo, exec_lo, s15
	s_cbranch_execnz .LBB76_31
; %bb.32:                               ;   in Loop: Header=BB76_17 Depth=3
	s_or_b32 exec_lo, exec_lo, s15
	ds_load_b64 v[21:22], v28 offset:8200
	s_mov_b32 s15, 0
.LBB76_33:                              ;   Parent Loop BB76_12 Depth=1
                                        ;     Parent Loop BB76_15 Depth=2
                                        ;       Parent Loop BB76_17 Depth=3
                                        ; =>      This Inner Loop Header: Depth=4
	s_waitcnt lgkmcnt(0)
	v_add_f64 v[29:30], v[21:22], v[19:20]
	ds_cmpstore_rtn_b64 v[29:30], v28, v[29:30], v[21:22] offset:8200
	s_waitcnt lgkmcnt(0)
	v_cmp_eq_u64_e32 vcc_lo, v[29:30], v[21:22]
	v_dual_mov_b32 v21, v29 :: v_dual_mov_b32 v22, v30
	s_or_b32 s15, vcc_lo, s15
	s_delay_alu instid0(SALU_CYCLE_1)
	s_and_not1_b32 exec_lo, exec_lo, s15
	s_cbranch_execnz .LBB76_33
; %bb.34:                               ;   in Loop: Header=BB76_17 Depth=3
	s_or_b32 exec_lo, exec_lo, s15
	s_delay_alu instid0(SALU_CYCLE_1)
	s_and_not1_b32 s14, s14, exec_lo
	s_branch .LBB76_16
.LBB76_35:
	s_or_b32 exec_lo, exec_lo, s1
.LBB76_36:
	s_delay_alu instid0(SALU_CYCLE_1)
	s_and_not1_b32 vcc_lo, exec_lo, s3
	s_cbranch_vccnz .LBB76_61
; %bb.37:
	s_waitcnt lgkmcnt(0)
	s_ashr_i32 s35, s34, 31
	v_subrev_nc_u32_e32 v5, s27, v0
	s_lshl_b64 s[0:1], s[34:35], 2
	s_delay_alu instid0(SALU_CYCLE_1)
	s_add_u32 s0, s16, s0
	s_addc_u32 s1, s17, s1
	s_load_b64 s[0:1], s[0:1], 0x0
	s_waitcnt lgkmcnt(0)
	v_add_nc_u32_e32 v5, s0, v5
	s_sub_i32 s0, s1, s27
	s_mov_b32 s1, exec_lo
	s_delay_alu instid0(VALU_DEP_1)
	v_cmpx_gt_i32_e64 s0, v5
	s_cbranch_execz .LBB76_60
; %bb.38:
	s_mov_b32 s2, 0
	s_branch .LBB76_40
.LBB76_39:                              ;   in Loop: Header=BB76_40 Depth=1
	s_or_b32 exec_lo, exec_lo, s3
	v_add_nc_u32_e32 v5, 0x400, v5
	s_delay_alu instid0(VALU_DEP_1) | instskip(SKIP_1) | instid1(SALU_CYCLE_1)
	v_cmp_le_i32_e32 vcc_lo, s0, v5
	s_or_b32 s2, vcc_lo, s2
	s_and_not1_b32 exec_lo, exec_lo, s2
	s_cbranch_execz .LBB76_60
.LBB76_40:                              ; =>This Loop Header: Depth=1
                                        ;     Child Loop BB76_42 Depth 2
                                        ;       Child Loop BB76_48 Depth 3
                                        ;       Child Loop BB76_50 Depth 3
	;; [unrolled: 1-line block ×4, first 2 shown]
	v_ashrrev_i32_e32 v6, 31, v5
	s_mov_b32 s3, 0
	s_delay_alu instid0(VALU_DEP_1) | instskip(NEXT) | instid1(VALU_DEP_1)
	v_lshlrev_b64 v[7:8], 4, v[5:6]
	v_add_co_u32 v7, vcc_lo, s20, v7
	s_delay_alu instid0(VALU_DEP_2) | instskip(SKIP_2) | instid1(VALU_DEP_1)
	v_add_co_ci_u32_e32 v8, vcc_lo, s21, v8, vcc_lo
	global_load_b128 v[8:11], v[7:8], off
	v_lshlrev_b64 v[6:7], 2, v[5:6]
	v_add_co_u32 v6, vcc_lo, s18, v6
	s_delay_alu instid0(VALU_DEP_2)
	v_add_co_ci_u32_e32 v7, vcc_lo, s19, v7, vcc_lo
	global_load_b32 v12, v[6:7], off
	s_waitcnt vmcnt(1)
	v_mul_f64 v[6:7], v[10:11], -v[1:2]
	v_mul_f64 v[10:11], v[3:4], v[10:11]
	s_waitcnt vmcnt(0)
	v_subrev_nc_u32_e32 v12, s27, v12
	s_delay_alu instid0(VALU_DEP_3) | instskip(NEXT) | instid1(VALU_DEP_3)
	v_fma_f64 v[6:7], v[3:4], v[8:9], v[6:7]
	v_fma_f64 v[8:9], v[1:2], v[8:9], v[10:11]
	s_delay_alu instid0(VALU_DEP_3) | instskip(NEXT) | instid1(VALU_DEP_1)
	v_mul_lo_u32 v10, 0x89, v12
	v_and_b32_e32 v13, 0x7ff, v10
	s_branch .LBB76_42
.LBB76_41:                              ;   in Loop: Header=BB76_42 Depth=2
	s_or_b32 exec_lo, exec_lo, s4
	s_xor_b32 s4, s5, -1
	s_delay_alu instid0(SALU_CYCLE_1) | instskip(NEXT) | instid1(SALU_CYCLE_1)
	s_and_b32 s4, exec_lo, s4
	s_or_b32 s3, s4, s3
	s_delay_alu instid0(SALU_CYCLE_1)
	s_and_not1_b32 exec_lo, exec_lo, s3
	s_cbranch_execz .LBB76_39
.LBB76_42:                              ;   Parent Loop BB76_40 Depth=1
                                        ; =>  This Loop Header: Depth=2
                                        ;       Child Loop BB76_48 Depth 3
                                        ;       Child Loop BB76_50 Depth 3
	;; [unrolled: 1-line block ×4, first 2 shown]
	s_delay_alu instid0(VALU_DEP_1)
	v_lshl_add_u32 v10, v13, 2, 0
	s_mov_b32 s4, exec_lo
                                        ; implicit-def: $sgpr5
	ds_load_b32 v11, v10
	s_waitcnt lgkmcnt(0)
	v_cmpx_ne_u32_e64 v11, v12
	s_xor_b32 s4, exec_lo, s4
	s_cbranch_execz .LBB76_54
; %bb.43:                               ;   in Loop: Header=BB76_42 Depth=2
	s_mov_b32 s6, exec_lo
                                        ; implicit-def: $sgpr5
	v_cmpx_ne_u32_e64 s33, v11
	s_xor_b32 s6, exec_lo, s6
; %bb.44:                               ;   in Loop: Header=BB76_42 Depth=2
	v_add_nc_u32_e32 v10, 1, v13
	s_mov_b32 s5, -1
	s_delay_alu instid0(VALU_DEP_1)
	v_and_b32_e32 v13, 0x7ff, v10
                                        ; implicit-def: $vgpr10
; %bb.45:                               ;   in Loop: Header=BB76_42 Depth=2
	s_and_not1_saveexec_b32 s6, s6
	s_cbranch_execz .LBB76_53
; %bb.46:                               ;   in Loop: Header=BB76_42 Depth=2
	v_mov_b32_e32 v11, s33
	s_mov_b32 s8, -1
	s_mov_b32 s7, exec_lo
	ds_cmpstore_rtn_b32 v11, v10, v12, v11
	s_waitcnt lgkmcnt(0)
	v_cmpx_eq_u32_e64 s33, v11
	s_cbranch_execz .LBB76_52
; %bb.47:                               ;   in Loop: Header=BB76_42 Depth=2
	v_mul_lo_u32 v11, v13, 12
	s_mov_b32 s8, 0
	s_delay_alu instid0(VALU_DEP_1)
	v_add_nc_u32_e32 v14, v10, v11
	ds_load_b64 v[10:11], v14 offset:8192
.LBB76_48:                              ;   Parent Loop BB76_40 Depth=1
                                        ;     Parent Loop BB76_42 Depth=2
                                        ; =>    This Inner Loop Header: Depth=3
	s_waitcnt lgkmcnt(0)
	v_add_f64 v[15:16], v[10:11], v[6:7]
	ds_cmpstore_rtn_b64 v[15:16], v14, v[15:16], v[10:11] offset:8192
	s_waitcnt lgkmcnt(0)
	v_cmp_eq_u64_e32 vcc_lo, v[15:16], v[10:11]
	v_dual_mov_b32 v10, v15 :: v_dual_mov_b32 v11, v16
	s_or_b32 s8, vcc_lo, s8
	s_delay_alu instid0(SALU_CYCLE_1)
	s_and_not1_b32 exec_lo, exec_lo, s8
	s_cbranch_execnz .LBB76_48
; %bb.49:                               ;   in Loop: Header=BB76_42 Depth=2
	s_or_b32 exec_lo, exec_lo, s8
	ds_load_b64 v[10:11], v14 offset:8200
	s_mov_b32 s8, 0
.LBB76_50:                              ;   Parent Loop BB76_40 Depth=1
                                        ;     Parent Loop BB76_42 Depth=2
                                        ; =>    This Inner Loop Header: Depth=3
	s_waitcnt lgkmcnt(0)
	v_add_f64 v[15:16], v[10:11], v[8:9]
	ds_cmpstore_rtn_b64 v[15:16], v14, v[15:16], v[10:11] offset:8200
	s_waitcnt lgkmcnt(0)
	v_cmp_eq_u64_e32 vcc_lo, v[15:16], v[10:11]
	v_dual_mov_b32 v10, v15 :: v_dual_mov_b32 v11, v16
	s_or_b32 s8, vcc_lo, s8
	s_delay_alu instid0(SALU_CYCLE_1)
	s_and_not1_b32 exec_lo, exec_lo, s8
	s_cbranch_execnz .LBB76_50
; %bb.51:                               ;   in Loop: Header=BB76_42 Depth=2
	s_or_b32 exec_lo, exec_lo, s8
	s_delay_alu instid0(SALU_CYCLE_1)
	s_xor_b32 s8, exec_lo, -1
.LBB76_52:                              ;   in Loop: Header=BB76_42 Depth=2
	s_or_b32 exec_lo, exec_lo, s7
	s_delay_alu instid0(SALU_CYCLE_1) | instskip(SKIP_1) | instid1(SALU_CYCLE_1)
	s_and_not1_b32 s5, s5, exec_lo
	s_and_b32 s7, s8, exec_lo
	s_or_b32 s5, s5, s7
.LBB76_53:                              ;   in Loop: Header=BB76_42 Depth=2
	s_or_b32 exec_lo, exec_lo, s6
	s_delay_alu instid0(SALU_CYCLE_1)
	s_and_b32 s5, s5, exec_lo
                                        ; implicit-def: $vgpr10
.LBB76_54:                              ;   in Loop: Header=BB76_42 Depth=2
	s_and_not1_saveexec_b32 s4, s4
	s_cbranch_execz .LBB76_41
; %bb.55:                               ;   in Loop: Header=BB76_42 Depth=2
	v_mul_lo_u32 v11, v13, 12
	s_mov_b32 s6, 0
	s_delay_alu instid0(VALU_DEP_1)
	v_add_nc_u32_e32 v14, v10, v11
	ds_load_b64 v[10:11], v14 offset:8192
.LBB76_56:                              ;   Parent Loop BB76_40 Depth=1
                                        ;     Parent Loop BB76_42 Depth=2
                                        ; =>    This Inner Loop Header: Depth=3
	s_waitcnt lgkmcnt(0)
	v_add_f64 v[15:16], v[10:11], v[6:7]
	ds_cmpstore_rtn_b64 v[15:16], v14, v[15:16], v[10:11] offset:8192
	s_waitcnt lgkmcnt(0)
	v_cmp_eq_u64_e32 vcc_lo, v[15:16], v[10:11]
	v_dual_mov_b32 v10, v15 :: v_dual_mov_b32 v11, v16
	s_or_b32 s6, vcc_lo, s6
	s_delay_alu instid0(SALU_CYCLE_1)
	s_and_not1_b32 exec_lo, exec_lo, s6
	s_cbranch_execnz .LBB76_56
; %bb.57:                               ;   in Loop: Header=BB76_42 Depth=2
	s_or_b32 exec_lo, exec_lo, s6
	ds_load_b64 v[10:11], v14 offset:8200
	s_mov_b32 s6, 0
.LBB76_58:                              ;   Parent Loop BB76_40 Depth=1
                                        ;     Parent Loop BB76_42 Depth=2
                                        ; =>    This Inner Loop Header: Depth=3
	s_waitcnt lgkmcnt(0)
	v_add_f64 v[15:16], v[10:11], v[8:9]
	ds_cmpstore_rtn_b64 v[15:16], v14, v[15:16], v[10:11] offset:8200
	s_waitcnt lgkmcnt(0)
	v_cmp_eq_u64_e32 vcc_lo, v[15:16], v[10:11]
	v_dual_mov_b32 v10, v15 :: v_dual_mov_b32 v11, v16
	s_or_b32 s6, vcc_lo, s6
	s_delay_alu instid0(SALU_CYCLE_1)
	s_and_not1_b32 exec_lo, exec_lo, s6
	s_cbranch_execnz .LBB76_58
; %bb.59:                               ;   in Loop: Header=BB76_42 Depth=2
	s_or_b32 exec_lo, exec_lo, s6
	s_delay_alu instid0(SALU_CYCLE_1)
	s_and_not1_b32 s5, s5, exec_lo
	s_branch .LBB76_41
.LBB76_60:
	s_or_b32 exec_lo, exec_lo, s1
.LBB76_61:
	v_mbcnt_lo_u32_b32 v1, -1, 0
	v_lshrrev_b32_e32 v2, 4, v0
	v_cmp_eq_u32_e32 vcc_lo, 0x3ff, v0
	v_cmp_lt_u32_e64 s0, 63, v0
	v_cmp_lt_u32_e64 s1, 0x7f, v0
	v_xor_b32_e32 v1, 63, v1
	v_dual_mov_b32 v4, 0 :: v_dual_and_b32 v3, 60, v2
	v_cmp_lt_u32_e64 s2, 0xbf, v0
	v_cmp_lt_u32_e64 s3, 0xff, v0
	s_delay_alu instid0(VALU_DEP_4) | instskip(NEXT) | instid1(VALU_DEP_4)
	v_lshrrev_b64 v[1:2], v1, -1
	v_dual_mov_b32 v3, 0 :: v_dual_add_nc_u32 v2, 0, v3
	v_cmp_lt_u32_e64 s4, 0x13f, v0
	v_cmp_lt_u32_e64 s5, 0x17f, v0
	;; [unrolled: 1-line block ×11, first 2 shown]
	s_mov_b32 s16, 0
	s_waitcnt lgkmcnt(0)
	s_barrier
	buffer_gl0_inv
	s_branch .LBB76_63
.LBB76_62:                              ;   in Loop: Header=BB76_63 Depth=1
	s_or_b32 exec_lo, exec_lo, s15
	s_waitcnt lgkmcnt(0)
	s_barrier
	buffer_gl0_inv
	ds_load_b32 v5, v3 offset:41020
	v_add_co_u32 v23, s15, 0x400, v23
	s_delay_alu instid0(VALU_DEP_1) | instskip(SKIP_3) | instid1(SALU_CYCLE_1)
	s_xor_b32 s15, s15, -1
	v_add_nc_u32_e32 v25, 0x4000, v25
	v_add_nc_u32_e32 v24, 0x1000, v24
	s_and_b32 s15, exec_lo, s15
	s_or_b32 s16, s15, s16
	s_waitcnt lgkmcnt(0)
	v_add_nc_u32_e32 v4, v5, v4
	s_and_not1_b32 exec_lo, exec_lo, s16
	s_cbranch_execz .LBB76_97
.LBB76_63:                              ; =>This Inner Loop Header: Depth=1
	ds_load_b32 v5, v24
	ds_load_2addr_b64 v[6:9], v25 offset1:1
	s_waitcnt lgkmcnt(1)
	v_cmp_gt_i32_e64 s15, s33, v5
	s_waitcnt lgkmcnt(0)
	scratch_store_b128 off, v[6:9], off
	s_waitcnt_vscnt null, 0x0
	s_barrier
	buffer_gl0_inv
	s_bcnt1_i32_b32 s17, s15
	s_delay_alu instid0(SALU_CYCLE_1) | instskip(NEXT) | instid1(VALU_DEP_1)
	v_dual_mov_b32 v7, s17 :: v_dual_and_b32 v6, s15, v1
	v_bcnt_u32_b32 v6, v6, 0
	ds_store_b32 v2, v7 offset:40960
	s_waitcnt lgkmcnt(0)
	s_barrier
	buffer_gl0_inv
	s_and_saveexec_b32 s17, s0
	s_cbranch_execnz .LBB76_80
; %bb.64:                               ;   in Loop: Header=BB76_63 Depth=1
	s_or_b32 exec_lo, exec_lo, s17
	s_and_saveexec_b32 s17, s1
	s_cbranch_execnz .LBB76_81
.LBB76_65:                              ;   in Loop: Header=BB76_63 Depth=1
	s_or_b32 exec_lo, exec_lo, s17
	s_and_saveexec_b32 s17, s2
	s_cbranch_execnz .LBB76_82
.LBB76_66:                              ;   in Loop: Header=BB76_63 Depth=1
	s_or_b32 exec_lo, exec_lo, s17
	s_and_saveexec_b32 s17, s3
	s_cbranch_execnz .LBB76_83
.LBB76_67:                              ;   in Loop: Header=BB76_63 Depth=1
	s_or_b32 exec_lo, exec_lo, s17
	s_and_saveexec_b32 s17, s4
	s_cbranch_execnz .LBB76_84
.LBB76_68:                              ;   in Loop: Header=BB76_63 Depth=1
	s_or_b32 exec_lo, exec_lo, s17
	s_and_saveexec_b32 s17, s5
	s_cbranch_execnz .LBB76_85
.LBB76_69:                              ;   in Loop: Header=BB76_63 Depth=1
	s_or_b32 exec_lo, exec_lo, s17
	s_and_saveexec_b32 s17, s6
	s_cbranch_execnz .LBB76_86
.LBB76_70:                              ;   in Loop: Header=BB76_63 Depth=1
	s_or_b32 exec_lo, exec_lo, s17
	s_and_saveexec_b32 s17, s7
	s_cbranch_execnz .LBB76_87
.LBB76_71:                              ;   in Loop: Header=BB76_63 Depth=1
	s_or_b32 exec_lo, exec_lo, s17
	s_and_saveexec_b32 s17, s8
	s_cbranch_execnz .LBB76_88
.LBB76_72:                              ;   in Loop: Header=BB76_63 Depth=1
	s_or_b32 exec_lo, exec_lo, s17
	s_and_saveexec_b32 s17, s9
	s_cbranch_execnz .LBB76_89
.LBB76_73:                              ;   in Loop: Header=BB76_63 Depth=1
	s_or_b32 exec_lo, exec_lo, s17
	s_and_saveexec_b32 s17, s10
	s_cbranch_execnz .LBB76_90
.LBB76_74:                              ;   in Loop: Header=BB76_63 Depth=1
	s_or_b32 exec_lo, exec_lo, s17
	s_and_saveexec_b32 s17, s11
	s_cbranch_execnz .LBB76_91
.LBB76_75:                              ;   in Loop: Header=BB76_63 Depth=1
	s_or_b32 exec_lo, exec_lo, s17
	s_and_saveexec_b32 s17, s12
	s_cbranch_execnz .LBB76_92
.LBB76_76:                              ;   in Loop: Header=BB76_63 Depth=1
	s_or_b32 exec_lo, exec_lo, s17
	s_and_saveexec_b32 s17, s13
	s_cbranch_execnz .LBB76_93
.LBB76_77:                              ;   in Loop: Header=BB76_63 Depth=1
	s_or_b32 exec_lo, exec_lo, s17
	s_and_saveexec_b32 s17, s14
	s_cbranch_execnz .LBB76_94
.LBB76_78:                              ;   in Loop: Header=BB76_63 Depth=1
	s_or_b32 exec_lo, exec_lo, s17
	s_and_saveexec_b32 s17, s15
	s_cbranch_execnz .LBB76_95
.LBB76_79:                              ;   in Loop: Header=BB76_63 Depth=1
	s_or_b32 exec_lo, exec_lo, s17
	s_and_saveexec_b32 s15, vcc_lo
	s_cbranch_execz .LBB76_62
	s_branch .LBB76_96
.LBB76_80:                              ;   in Loop: Header=BB76_63 Depth=1
	ds_load_b32 v7, v3 offset:40960
	s_waitcnt lgkmcnt(0)
	v_add_nc_u32_e32 v6, v7, v6
	s_or_b32 exec_lo, exec_lo, s17
	s_and_saveexec_b32 s17, s1
	s_cbranch_execz .LBB76_65
.LBB76_81:                              ;   in Loop: Header=BB76_63 Depth=1
	ds_load_b32 v7, v3 offset:40964
	s_waitcnt lgkmcnt(0)
	v_add_nc_u32_e32 v6, v7, v6
	s_or_b32 exec_lo, exec_lo, s17
	s_and_saveexec_b32 s17, s2
	s_cbranch_execz .LBB76_66
.LBB76_82:                              ;   in Loop: Header=BB76_63 Depth=1
	ds_load_b32 v7, v3 offset:40968
	s_waitcnt lgkmcnt(0)
	v_add_nc_u32_e32 v6, v7, v6
	s_or_b32 exec_lo, exec_lo, s17
	s_and_saveexec_b32 s17, s3
	s_cbranch_execz .LBB76_67
.LBB76_83:                              ;   in Loop: Header=BB76_63 Depth=1
	ds_load_b32 v7, v3 offset:40972
	s_waitcnt lgkmcnt(0)
	v_add_nc_u32_e32 v6, v7, v6
	s_or_b32 exec_lo, exec_lo, s17
	s_and_saveexec_b32 s17, s4
	s_cbranch_execz .LBB76_68
.LBB76_84:                              ;   in Loop: Header=BB76_63 Depth=1
	ds_load_b32 v7, v3 offset:40976
	s_waitcnt lgkmcnt(0)
	v_add_nc_u32_e32 v6, v7, v6
	s_or_b32 exec_lo, exec_lo, s17
	s_and_saveexec_b32 s17, s5
	s_cbranch_execz .LBB76_69
.LBB76_85:                              ;   in Loop: Header=BB76_63 Depth=1
	ds_load_b32 v7, v3 offset:40980
	s_waitcnt lgkmcnt(0)
	v_add_nc_u32_e32 v6, v7, v6
	s_or_b32 exec_lo, exec_lo, s17
	s_and_saveexec_b32 s17, s6
	s_cbranch_execz .LBB76_70
.LBB76_86:                              ;   in Loop: Header=BB76_63 Depth=1
	ds_load_b32 v7, v3 offset:40984
	s_waitcnt lgkmcnt(0)
	v_add_nc_u32_e32 v6, v7, v6
	s_or_b32 exec_lo, exec_lo, s17
	s_and_saveexec_b32 s17, s7
	s_cbranch_execz .LBB76_71
.LBB76_87:                              ;   in Loop: Header=BB76_63 Depth=1
	ds_load_b32 v7, v3 offset:40988
	s_waitcnt lgkmcnt(0)
	v_add_nc_u32_e32 v6, v7, v6
	s_or_b32 exec_lo, exec_lo, s17
	s_and_saveexec_b32 s17, s8
	s_cbranch_execz .LBB76_72
.LBB76_88:                              ;   in Loop: Header=BB76_63 Depth=1
	ds_load_b32 v7, v3 offset:40992
	s_waitcnt lgkmcnt(0)
	v_add_nc_u32_e32 v6, v7, v6
	s_or_b32 exec_lo, exec_lo, s17
	s_and_saveexec_b32 s17, s9
	s_cbranch_execz .LBB76_73
.LBB76_89:                              ;   in Loop: Header=BB76_63 Depth=1
	ds_load_b32 v7, v3 offset:40996
	s_waitcnt lgkmcnt(0)
	v_add_nc_u32_e32 v6, v7, v6
	s_or_b32 exec_lo, exec_lo, s17
	s_and_saveexec_b32 s17, s10
	s_cbranch_execz .LBB76_74
.LBB76_90:                              ;   in Loop: Header=BB76_63 Depth=1
	ds_load_b32 v7, v3 offset:41000
	s_waitcnt lgkmcnt(0)
	v_add_nc_u32_e32 v6, v7, v6
	s_or_b32 exec_lo, exec_lo, s17
	s_and_saveexec_b32 s17, s11
	s_cbranch_execz .LBB76_75
.LBB76_91:                              ;   in Loop: Header=BB76_63 Depth=1
	ds_load_b32 v7, v3 offset:41004
	s_waitcnt lgkmcnt(0)
	v_add_nc_u32_e32 v6, v7, v6
	s_or_b32 exec_lo, exec_lo, s17
	s_and_saveexec_b32 s17, s12
	s_cbranch_execz .LBB76_76
.LBB76_92:                              ;   in Loop: Header=BB76_63 Depth=1
	ds_load_b32 v7, v3 offset:41008
	s_waitcnt lgkmcnt(0)
	v_add_nc_u32_e32 v6, v7, v6
	s_or_b32 exec_lo, exec_lo, s17
	s_and_saveexec_b32 s17, s13
	s_cbranch_execz .LBB76_77
.LBB76_93:                              ;   in Loop: Header=BB76_63 Depth=1
	ds_load_b32 v7, v3 offset:41012
	s_waitcnt lgkmcnt(0)
	v_add_nc_u32_e32 v6, v7, v6
	s_or_b32 exec_lo, exec_lo, s17
	s_and_saveexec_b32 s17, s14
	s_cbranch_execz .LBB76_78
.LBB76_94:                              ;   in Loop: Header=BB76_63 Depth=1
	ds_load_b32 v7, v3 offset:41016
	s_waitcnt lgkmcnt(0)
	v_add_nc_u32_e32 v6, v7, v6
	s_or_b32 exec_lo, exec_lo, s17
	s_and_saveexec_b32 s17, s15
	s_cbranch_execz .LBB76_79
.LBB76_95:                              ;   in Loop: Header=BB76_63 Depth=1
	scratch_load_b128 v[7:10], off, off
	v_add3_u32 v11, v4, -1, v6
	s_delay_alu instid0(VALU_DEP_1) | instskip(SKIP_1) | instid1(VALU_DEP_2)
	v_lshlrev_b32_e32 v12, 4, v11
	v_lshl_add_u32 v11, v11, 2, 0
	v_add3_u32 v12, 0, v12, 0x2000
	ds_store_b32 v11, v5
	s_waitcnt vmcnt(0)
	ds_store_2addr_b64 v12, v[7:8], v[9:10] offset1:1
	s_or_b32 exec_lo, exec_lo, s17
	s_and_saveexec_b32 s15, vcc_lo
	s_cbranch_execz .LBB76_62
.LBB76_96:                              ;   in Loop: Header=BB76_63 Depth=1
	ds_store_b32 v3, v6 offset:41020
	s_branch .LBB76_62
.LBB76_97:
	s_or_b32 exec_lo, exec_lo, s16
	s_ashr_i32 s35, s34, 31
	s_mov_b32 s3, exec_lo
	s_lshl_b64 s[0:1], s[34:35], 2
	s_delay_alu instid0(SALU_CYCLE_1) | instskip(SKIP_4) | instid1(SALU_CYCLE_1)
	s_add_u32 s0, s22, s0
	s_addc_u32 s1, s23, s1
	s_load_b64 s[0:1], s[0:1], 0x0
	s_waitcnt lgkmcnt(0)
	s_sub_i32 s2, s1, s0
	v_cmpx_gt_i32_e64 s2, v0
	s_cbranch_execz .LBB76_107
; %bb.98:
	s_sub_i32 s3, s0, s26
	s_sub_i32 s0, s0, s1
	s_and_b32 s1, s2, 7
	s_cmp_lt_u32 s0, -7
	s_mov_b32 s7, 0
	s_cselect_b32 s4, -1, 0
	s_and_b32 s5, s2, -8
	s_cmp_lg_u32 s1, 0
	s_cselect_b32 s6, -1, 0
	s_branch .LBB76_100
.LBB76_99:                              ;   in Loop: Header=BB76_100 Depth=1
	v_mul_lo_u32 v4, v0, 12
	v_add_nc_u32_e32 v0, 0x400, v0
	s_waitcnt lgkmcnt(0)
	v_add_nc_u32_e32 v3, s26, v3
	s_delay_alu instid0(VALU_DEP_3) | instskip(SKIP_4) | instid1(VALU_DEP_2)
	v_add3_u32 v4, v2, v4, 0x2000
	v_ashrrev_i32_e32 v2, 31, v1
	ds_load_2addr_b64 v[4:7], v4 offset1:1
	v_lshlrev_b64 v[8:9], 2, v[1:2]
	v_lshlrev_b64 v[1:2], 4, v[1:2]
	v_add_co_u32 v8, vcc_lo, s28, v8
	s_delay_alu instid0(VALU_DEP_3) | instskip(SKIP_1) | instid1(VALU_DEP_4)
	v_add_co_ci_u32_e32 v9, vcc_lo, s29, v9, vcc_lo
	v_cmp_le_i32_e32 vcc_lo, s2, v0
	v_add_co_u32 v1, s0, s30, v1
	s_delay_alu instid0(VALU_DEP_1)
	v_add_co_ci_u32_e64 v2, s0, s31, v2, s0
	s_or_b32 s7, vcc_lo, s7
	global_store_b32 v[8:9], v3, off
	s_waitcnt lgkmcnt(0)
	global_store_b128 v[1:2], v[4:7], off
	s_and_not1_b32 exec_lo, exec_lo, s7
	s_cbranch_execz .LBB76_107
.LBB76_100:                             ; =>This Loop Header: Depth=1
                                        ;     Child Loop BB76_102 Depth 2
                                        ;     Child Loop BB76_106 Depth 2
	v_lshl_add_u32 v2, v0, 2, 0
	v_mov_b32_e32 v1, s3
	s_and_not1_b32 vcc_lo, exec_lo, s4
	s_mov_b32 s0, 0
	ds_load_b32 v3, v2
	s_cbranch_vccnz .LBB76_104
; %bb.101:                              ;   in Loop: Header=BB76_100 Depth=1
	v_mov_b32_e32 v1, s3
	s_mov_b32 s8, 0
	s_set_inst_prefetch_distance 0x1
	.p2align	6
.LBB76_102:                             ;   Parent Loop BB76_100 Depth=1
                                        ; =>  This Inner Loop Header: Depth=2
	v_mov_b32_e32 v10, s8
	s_add_i32 s0, s0, 8
	s_add_i32 s8, s8, 32
	s_cmp_eq_u32 s5, s0
	ds_load_2addr_b32 v[4:5], v10 offset1:1
	ds_load_2addr_b32 v[6:7], v10 offset0:2 offset1:3
	ds_load_2addr_b32 v[8:9], v10 offset0:4 offset1:5
	;; [unrolled: 1-line block ×3, first 2 shown]
	s_waitcnt lgkmcnt(3)
	v_cmp_gt_i32_e32 vcc_lo, v3, v4
	v_cndmask_b32_e64 v4, 0, 1, vcc_lo
	s_waitcnt lgkmcnt(2)
	v_cmp_gt_i32_e32 vcc_lo, v3, v6
	v_cndmask_b32_e64 v6, 0, 1, vcc_lo
	v_cmp_gt_i32_e32 vcc_lo, v3, v5
	v_add_co_ci_u32_e32 v1, vcc_lo, v1, v4, vcc_lo
	s_waitcnt lgkmcnt(1)
	v_cmp_gt_i32_e32 vcc_lo, v3, v8
	v_cndmask_b32_e64 v4, 0, 1, vcc_lo
	v_cmp_gt_i32_e32 vcc_lo, v3, v7
	v_add_co_ci_u32_e32 v1, vcc_lo, v1, v6, vcc_lo
	;; [unrolled: 5-line block ×3, first 2 shown]
	v_cmp_gt_i32_e32 vcc_lo, v3, v11
	s_delay_alu instid0(VALU_DEP_2)
	v_add_co_ci_u32_e32 v1, vcc_lo, v1, v5, vcc_lo
	s_cbranch_scc0 .LBB76_102
; %bb.103:                              ;   in Loop: Header=BB76_100 Depth=1
	s_set_inst_prefetch_distance 0x2
	s_mov_b32 s0, s5
.LBB76_104:                             ;   in Loop: Header=BB76_100 Depth=1
	s_and_not1_b32 vcc_lo, exec_lo, s6
	s_cbranch_vccnz .LBB76_99
; %bb.105:                              ;   in Loop: Header=BB76_100 Depth=1
	s_lshl_b32 s0, s0, 2
	s_mov_b32 s8, s1
	s_add_i32 s0, s0, 0
.LBB76_106:                             ;   Parent Loop BB76_100 Depth=1
                                        ; =>  This Inner Loop Header: Depth=2
	s_delay_alu instid0(SALU_CYCLE_1)
	v_mov_b32_e32 v4, s0
	s_add_i32 s8, s8, -1
	s_add_i32 s0, s0, 4
	s_cmp_lg_u32 s8, 0
	ds_load_b32 v4, v4
	s_waitcnt lgkmcnt(0)
	v_cmp_gt_i32_e32 vcc_lo, v3, v4
	v_add_co_ci_u32_e32 v1, vcc_lo, 0, v1, vcc_lo
	s_cbranch_scc1 .LBB76_106
	s_branch .LBB76_99
.LBB76_107:
	s_nop 0
	s_sendmsg sendmsg(MSG_DEALLOC_VGPRS)
	s_endpgm
	.section	.rodata,"a",@progbits
	.p2align	6, 0x0
	.amdhsa_kernel _ZN9rocsparseL26csrgemm_fill_block_per_rowILj1024ELj32ELj2048ELj137ELj64Eii21rocsparse_complex_numIdEEEvT5_PKS3_S5_NS_24const_host_device_scalarIT6_EEPKT4_S5_PKS7_SB_S5_SD_S8_SB_S5_SD_SB_PS3_PS7_21rocsparse_index_base_SG_SG_SG_bbb
		.amdhsa_group_segment_fixed_size 0
		.amdhsa_private_segment_fixed_size 40
		.amdhsa_kernarg_size 172
		.amdhsa_user_sgpr_count 15
		.amdhsa_user_sgpr_dispatch_ptr 0
		.amdhsa_user_sgpr_queue_ptr 0
		.amdhsa_user_sgpr_kernarg_segment_ptr 1
		.amdhsa_user_sgpr_dispatch_id 0
		.amdhsa_user_sgpr_private_segment_size 0
		.amdhsa_wavefront_size32 1
		.amdhsa_uses_dynamic_stack 0
		.amdhsa_enable_private_segment 1
		.amdhsa_system_sgpr_workgroup_id_x 1
		.amdhsa_system_sgpr_workgroup_id_y 0
		.amdhsa_system_sgpr_workgroup_id_z 0
		.amdhsa_system_sgpr_workgroup_info 0
		.amdhsa_system_vgpr_workitem_id 0
		.amdhsa_next_free_vgpr 31
		.amdhsa_next_free_sgpr 48
		.amdhsa_reserve_vcc 1
		.amdhsa_float_round_mode_32 0
		.amdhsa_float_round_mode_16_64 0
		.amdhsa_float_denorm_mode_32 3
		.amdhsa_float_denorm_mode_16_64 3
		.amdhsa_dx10_clamp 1
		.amdhsa_ieee_mode 1
		.amdhsa_fp16_overflow 0
		.amdhsa_workgroup_processor_mode 1
		.amdhsa_memory_ordered 1
		.amdhsa_forward_progress 0
		.amdhsa_shared_vgpr_count 0
		.amdhsa_exception_fp_ieee_invalid_op 0
		.amdhsa_exception_fp_denorm_src 0
		.amdhsa_exception_fp_ieee_div_zero 0
		.amdhsa_exception_fp_ieee_overflow 0
		.amdhsa_exception_fp_ieee_underflow 0
		.amdhsa_exception_fp_ieee_inexact 0
		.amdhsa_exception_int_div_zero 0
	.end_amdhsa_kernel
	.section	.text._ZN9rocsparseL26csrgemm_fill_block_per_rowILj1024ELj32ELj2048ELj137ELj64Eii21rocsparse_complex_numIdEEEvT5_PKS3_S5_NS_24const_host_device_scalarIT6_EEPKT4_S5_PKS7_SB_S5_SD_S8_SB_S5_SD_SB_PS3_PS7_21rocsparse_index_base_SG_SG_SG_bbb,"axG",@progbits,_ZN9rocsparseL26csrgemm_fill_block_per_rowILj1024ELj32ELj2048ELj137ELj64Eii21rocsparse_complex_numIdEEEvT5_PKS3_S5_NS_24const_host_device_scalarIT6_EEPKT4_S5_PKS7_SB_S5_SD_S8_SB_S5_SD_SB_PS3_PS7_21rocsparse_index_base_SG_SG_SG_bbb,comdat
.Lfunc_end76:
	.size	_ZN9rocsparseL26csrgemm_fill_block_per_rowILj1024ELj32ELj2048ELj137ELj64Eii21rocsparse_complex_numIdEEEvT5_PKS3_S5_NS_24const_host_device_scalarIT6_EEPKT4_S5_PKS7_SB_S5_SD_S8_SB_S5_SD_SB_PS3_PS7_21rocsparse_index_base_SG_SG_SG_bbb, .Lfunc_end76-_ZN9rocsparseL26csrgemm_fill_block_per_rowILj1024ELj32ELj2048ELj137ELj64Eii21rocsparse_complex_numIdEEEvT5_PKS3_S5_NS_24const_host_device_scalarIT6_EEPKT4_S5_PKS7_SB_S5_SD_S8_SB_S5_SD_SB_PS3_PS7_21rocsparse_index_base_SG_SG_SG_bbb
                                        ; -- End function
	.section	.AMDGPU.csdata,"",@progbits
; Kernel info:
; codeLenInByte = 4100
; NumSgprs: 50
; NumVgprs: 31
; ScratchSize: 40
; MemoryBound: 0
; FloatMode: 240
; IeeeMode: 1
; LDSByteSize: 0 bytes/workgroup (compile time only)
; SGPRBlocks: 6
; VGPRBlocks: 3
; NumSGPRsForWavesPerEU: 50
; NumVGPRsForWavesPerEU: 31
; Occupancy: 16
; WaveLimiterHint : 1
; COMPUTE_PGM_RSRC2:SCRATCH_EN: 1
; COMPUTE_PGM_RSRC2:USER_SGPR: 15
; COMPUTE_PGM_RSRC2:TRAP_HANDLER: 0
; COMPUTE_PGM_RSRC2:TGID_X_EN: 1
; COMPUTE_PGM_RSRC2:TGID_Y_EN: 0
; COMPUTE_PGM_RSRC2:TGID_Z_EN: 0
; COMPUTE_PGM_RSRC2:TIDIG_COMP_CNT: 0
	.section	.text._ZN9rocsparseL26csrgemm_fill_block_per_rowILj1024ELj64ELj4096ELj137ELj32Eii21rocsparse_complex_numIdEEEvT5_PKS3_S5_NS_24const_host_device_scalarIT6_EEPKT4_S5_PKS7_SB_S5_SD_S8_SB_S5_SD_SB_PS3_PS7_21rocsparse_index_base_SG_SG_SG_bbb,"axG",@progbits,_ZN9rocsparseL26csrgemm_fill_block_per_rowILj1024ELj64ELj4096ELj137ELj32Eii21rocsparse_complex_numIdEEEvT5_PKS3_S5_NS_24const_host_device_scalarIT6_EEPKT4_S5_PKS7_SB_S5_SD_S8_SB_S5_SD_SB_PS3_PS7_21rocsparse_index_base_SG_SG_SG_bbb,comdat
	.globl	_ZN9rocsparseL26csrgemm_fill_block_per_rowILj1024ELj64ELj4096ELj137ELj32Eii21rocsparse_complex_numIdEEEvT5_PKS3_S5_NS_24const_host_device_scalarIT6_EEPKT4_S5_PKS7_SB_S5_SD_S8_SB_S5_SD_SB_PS3_PS7_21rocsparse_index_base_SG_SG_SG_bbb ; -- Begin function _ZN9rocsparseL26csrgemm_fill_block_per_rowILj1024ELj64ELj4096ELj137ELj32Eii21rocsparse_complex_numIdEEEvT5_PKS3_S5_NS_24const_host_device_scalarIT6_EEPKT4_S5_PKS7_SB_S5_SD_S8_SB_S5_SD_SB_PS3_PS7_21rocsparse_index_base_SG_SG_SG_bbb
	.p2align	8
	.type	_ZN9rocsparseL26csrgemm_fill_block_per_rowILj1024ELj64ELj4096ELj137ELj32Eii21rocsparse_complex_numIdEEEvT5_PKS3_S5_NS_24const_host_device_scalarIT6_EEPKT4_S5_PKS7_SB_S5_SD_S8_SB_S5_SD_SB_PS3_PS7_21rocsparse_index_base_SG_SG_SG_bbb,@function
_ZN9rocsparseL26csrgemm_fill_block_per_rowILj1024ELj64ELj4096ELj137ELj32Eii21rocsparse_complex_numIdEEEvT5_PKS3_S5_NS_24const_host_device_scalarIT6_EEPKT4_S5_PKS7_SB_S5_SD_S8_SB_S5_SD_SB_PS3_PS7_21rocsparse_index_base_SG_SG_SG_bbb: ; @_ZN9rocsparseL26csrgemm_fill_block_per_rowILj1024ELj64ELj4096ELj137ELj32Eii21rocsparse_complex_numIdEEEvT5_PKS3_S5_NS_24const_host_device_scalarIT6_EEPKT4_S5_PKS7_SB_S5_SD_S8_SB_S5_SD_SB_PS3_PS7_21rocsparse_index_base_SG_SG_SG_bbb
; %bb.0:
	s_clause 0x3
	s_load_b32 s14, s[0:1], 0xa8
	s_load_b128 s[4:7], s[0:1], 0x18
	s_load_b128 s[20:23], s[0:1], 0x58
	;; [unrolled: 1-line block ×3, first 2 shown]
	v_mov_b32_e32 v1, 0
	v_mov_b32_e32 v2, 0
	s_waitcnt lgkmcnt(0)
	s_bitcmp1_b32 s14, 0
	v_mov_b32_e32 v3, s4
	s_cselect_b32 s12, -1, 0
	s_bitcmp1_b32 s14, 16
	v_dual_mov_b32 v6, v2 :: v_dual_mov_b32 v5, v1
	s_cselect_b32 s2, -1, 0
	v_mov_b32_e32 v4, s5
	s_xor_b32 s13, s2, -1
	v_dual_mov_b32 v9, s20 :: v_dual_mov_b32 v10, s21
	v_cndmask_b32_e64 v7, 0, 1, s13
	s_bitcmp0_b32 s14, 0
	s_clause 0x1
	scratch_store_b64 off, v[3:4], off offset:16
	scratch_store_b64 off, v[9:10], off offset:24
	v_cmp_ne_u32_e32 vcc_lo, 1, v7
	v_dual_mov_b32 v8, v2 :: v_dual_mov_b32 v7, v1
	s_cbranch_scc1 .LBB77_3
; %bb.1:
	s_mov_b64 s[8:9], src_private_base
	s_and_b32 s3, s2, exec_lo
	s_cselect_b32 s3, s9, s5
	s_delay_alu instid0(SALU_CYCLE_1) | instskip(SKIP_2) | instid1(VALU_DEP_2)
	v_dual_mov_b32 v3, 16 :: v_dual_mov_b32 v4, s3
	v_dual_mov_b32 v8, s7 :: v_dual_mov_b32 v7, s6
	s_and_b32 vcc_lo, exec_lo, vcc_lo
	v_cndmask_b32_e64 v3, s4, v3, s2
	flat_load_b64 v[5:6], v[3:4]
	s_cbranch_vccnz .LBB77_3
; %bb.2:
	v_dual_mov_b32 v3, s4 :: v_dual_mov_b32 v4, s5
	flat_load_b64 v[7:8], v[3:4] offset:8
.LBB77_3:
	s_clause 0x4
	s_load_b128 s[48:51], s[0:1], 0x88
	s_load_b256 s[36:43], s[0:1], 0x68
	s_load_b128 s[16:19], s[0:1], 0x48
	s_load_b128 s[24:27], s[0:1], 0x8
	s_load_b256 s[4:11], s[0:1], 0x28
	s_bitcmp1_b32 s14, 8
	v_dual_mov_b32 v4, v2 :: v_dual_mov_b32 v3, v1
	s_cselect_b32 s3, -1, 0
	s_bfe_u32 s14, s14, 0x10008
	s_delay_alu instid0(SALU_CYCLE_1)
	s_cmp_eq_u32 s14, 0
	s_cbranch_scc1 .LBB77_6
; %bb.4:
	s_mov_b64 s[28:29], src_private_base
	s_and_b32 s14, s2, exec_lo
	s_cselect_b32 s14, s29, s21
	s_delay_alu instid0(SALU_CYCLE_1) | instskip(SKIP_1) | instid1(VALU_DEP_1)
	v_dual_mov_b32 v1, 24 :: v_dual_mov_b32 v2, s14
	s_and_not1_b32 vcc_lo, exec_lo, s13
	v_cndmask_b32_e64 v1, s20, v1, s2
	flat_load_b64 v[3:4], v[1:2]
	v_dual_mov_b32 v1, s22 :: v_dual_mov_b32 v2, s23
	s_cbranch_vccnz .LBB77_6
; %bb.5:
	v_dual_mov_b32 v1, s20 :: v_dual_mov_b32 v2, s21
	flat_load_b64 v[1:2], v[1:2] offset:8
.LBB77_6:
	s_load_b32 s33, s[0:1], 0x0
	s_mov_b32 s0, 0
	v_or_b32_e32 v23, 0xfffffc00, v0
	s_mov_b32 s1, s0
	s_delay_alu instid0(SALU_CYCLE_1) | instskip(SKIP_3) | instid1(VALU_DEP_2)
	v_dual_mov_b32 v10, s1 :: v_dual_lshlrev_b32 v11, 4, v0
	v_lshl_add_u32 v24, v0, 2, 0
	s_mov_b32 s20, s0
	s_mov_b32 s21, s0
	v_add3_u32 v25, v11, 0, 0x4000
	v_dual_mov_b32 v11, s20 :: v_dual_mov_b32 v14, v23
	v_dual_mov_b32 v9, s0 :: v_dual_mov_b32 v12, s21
	s_delay_alu instid0(VALU_DEP_3)
	v_dual_mov_b32 v13, v24 :: v_dual_mov_b32 v16, v25
	s_waitcnt lgkmcnt(0)
	v_mov_b32_e32 v15, s33
.LBB77_7:                               ; =>This Inner Loop Header: Depth=1
	v_add_nc_u32_e32 v14, 0x400, v14
	ds_store_b32 v13, v15
	ds_store_2addr_b64 v16, v[9:10], v[11:12] offset1:1
	v_add_nc_u32_e32 v16, 0x4000, v16
	v_add_nc_u32_e32 v13, 0x1000, v13
	v_cmp_lt_u32_e32 vcc_lo, 0xbff, v14
	s_or_b32 s0, vcc_lo, s0
	s_delay_alu instid0(SALU_CYCLE_1)
	s_and_not1_b32 exec_lo, exec_lo, s0
	s_cbranch_execnz .LBB77_7
; %bb.8:
	s_or_b32 exec_lo, exec_lo, s0
	s_waitcnt vmcnt(0) lgkmcnt(0)
	s_waitcnt_vscnt null, 0x0
	s_barrier
	buffer_gl0_inv
	s_load_b32 s0, s[24:25], 0x0
	s_mov_b32 s1, 0
	s_waitcnt lgkmcnt(0)
	s_add_i32 s0, s0, s15
	s_delay_alu instid0(SALU_CYCLE_1) | instskip(NEXT) | instid1(SALU_CYCLE_1)
	s_lshl_b64 s[0:1], s[0:1], 2
	s_add_u32 s0, s26, s0
	s_addc_u32 s1, s27, s1
	s_and_b32 vcc_lo, exec_lo, s12
	s_load_b32 s34, s[0:1], 0x0
	s_cbranch_vccz .LBB77_36
; %bb.9:
	s_waitcnt lgkmcnt(0)
	s_ashr_i32 s35, s34, 31
	v_lshrrev_b32_e32 v9, 6, v0
	s_lshl_b64 s[0:1], s[34:35], 2
	s_delay_alu instid0(SALU_CYCLE_1) | instskip(SKIP_1) | instid1(VALU_DEP_1)
	s_add_u32 s0, s4, s0
	s_addc_u32 s1, s5, s1
	v_subrev_nc_u32_e32 v9, s44, v9
	s_load_b64 s[0:1], s[0:1], 0x0
	s_waitcnt lgkmcnt(0)
	s_delay_alu instid0(VALU_DEP_1) | instskip(SKIP_2) | instid1(VALU_DEP_1)
	v_add_nc_u32_e32 v9, s0, v9
	s_sub_i32 s0, s1, s44
	s_mov_b32 s1, exec_lo
	v_cmpx_gt_i32_e64 s0, v9
	s_cbranch_execz .LBB77_35
; %bb.10:
	v_and_b32_e32 v10, 63, v0
	s_mov_b32 s2, 0
	s_delay_alu instid0(VALU_DEP_1)
	v_subrev_nc_u32_e32 v26, s45, v10
	s_branch .LBB77_12
.LBB77_11:                              ;   in Loop: Header=BB77_12 Depth=1
	s_or_b32 exec_lo, exec_lo, s4
	v_add_nc_u32_e32 v9, 16, v9
	s_delay_alu instid0(VALU_DEP_1) | instskip(SKIP_1) | instid1(SALU_CYCLE_1)
	v_cmp_le_i32_e32 vcc_lo, s0, v9
	s_or_b32 s2, vcc_lo, s2
	s_and_not1_b32 exec_lo, exec_lo, s2
	s_cbranch_execz .LBB77_35
.LBB77_12:                              ; =>This Loop Header: Depth=1
                                        ;     Child Loop BB77_15 Depth 2
                                        ;       Child Loop BB77_17 Depth 3
                                        ;         Child Loop BB77_23 Depth 4
                                        ;         Child Loop BB77_25 Depth 4
	;; [unrolled: 1-line block ×4, first 2 shown]
	v_ashrrev_i32_e32 v10, 31, v9
	s_mov_b32 s4, exec_lo
	s_delay_alu instid0(VALU_DEP_1) | instskip(NEXT) | instid1(VALU_DEP_1)
	v_lshlrev_b64 v[11:12], 2, v[9:10]
	v_add_co_u32 v11, vcc_lo, s6, v11
	s_delay_alu instid0(VALU_DEP_2) | instskip(SKIP_3) | instid1(VALU_DEP_1)
	v_add_co_ci_u32_e32 v12, vcc_lo, s7, v12, vcc_lo
	global_load_b32 v11, v[11:12], off
	s_waitcnt vmcnt(0)
	v_subrev_nc_u32_e32 v11, s44, v11
	v_ashrrev_i32_e32 v12, 31, v11
	s_delay_alu instid0(VALU_DEP_1) | instskip(NEXT) | instid1(VALU_DEP_1)
	v_lshlrev_b64 v[11:12], 2, v[11:12]
	v_add_co_u32 v11, vcc_lo, s10, v11
	s_delay_alu instid0(VALU_DEP_2) | instskip(SKIP_4) | instid1(VALU_DEP_1)
	v_add_co_ci_u32_e32 v12, vcc_lo, s11, v12, vcc_lo
	global_load_b64 v[11:12], v[11:12], off
	s_waitcnt vmcnt(0)
	v_subrev_nc_u32_e32 v27, s45, v12
	v_add_nc_u32_e32 v11, v11, v26
	v_cmpx_lt_i32_e64 v11, v27
	s_cbranch_execz .LBB77_11
; %bb.13:                               ;   in Loop: Header=BB77_12 Depth=1
	v_lshlrev_b64 v[12:13], 4, v[9:10]
	s_mov_b32 s5, 0
	s_delay_alu instid0(VALU_DEP_1) | instskip(NEXT) | instid1(VALU_DEP_2)
	v_add_co_u32 v12, vcc_lo, s8, v12
	v_add_co_ci_u32_e32 v13, vcc_lo, s9, v13, vcc_lo
	global_load_b128 v[15:18], v[12:13], off
	s_waitcnt vmcnt(0)
	v_mul_f64 v[12:13], v[17:18], -v[7:8]
	v_mul_f64 v[17:18], v[5:6], v[17:18]
	s_delay_alu instid0(VALU_DEP_2) | instskip(NEXT) | instid1(VALU_DEP_2)
	v_fma_f64 v[13:14], v[5:6], v[15:16], v[12:13]
	v_fma_f64 v[15:16], v[7:8], v[15:16], v[17:18]
	s_branch .LBB77_15
.LBB77_14:                              ;   in Loop: Header=BB77_15 Depth=2
	s_or_b32 exec_lo, exec_lo, s12
	v_add_nc_u32_e32 v11, 64, v11
	s_delay_alu instid0(VALU_DEP_1) | instskip(SKIP_1) | instid1(SALU_CYCLE_1)
	v_cmp_ge_i32_e32 vcc_lo, v11, v27
	s_or_b32 s5, vcc_lo, s5
	s_and_not1_b32 exec_lo, exec_lo, s5
	s_cbranch_execz .LBB77_11
.LBB77_15:                              ;   Parent Loop BB77_12 Depth=1
                                        ; =>  This Loop Header: Depth=2
                                        ;       Child Loop BB77_17 Depth 3
                                        ;         Child Loop BB77_23 Depth 4
                                        ;         Child Loop BB77_25 Depth 4
	;; [unrolled: 1-line block ×4, first 2 shown]
	v_ashrrev_i32_e32 v12, 31, v11
	s_mov_b32 s12, 0
	s_delay_alu instid0(VALU_DEP_1) | instskip(NEXT) | instid1(VALU_DEP_1)
	v_lshlrev_b64 v[17:18], 4, v[11:12]
	v_add_co_u32 v17, vcc_lo, s18, v17
	s_delay_alu instid0(VALU_DEP_2) | instskip(SKIP_2) | instid1(VALU_DEP_1)
	v_add_co_ci_u32_e32 v18, vcc_lo, s19, v18, vcc_lo
	global_load_b128 v[19:22], v[17:18], off
	v_lshlrev_b64 v[17:18], 2, v[11:12]
	v_add_co_u32 v17, vcc_lo, s16, v17
	s_delay_alu instid0(VALU_DEP_2)
	v_add_co_ci_u32_e32 v18, vcc_lo, s17, v18, vcc_lo
	global_load_b32 v10, v[17:18], off
	s_waitcnt vmcnt(1)
	v_mul_f64 v[17:18], v[21:22], -v[15:16]
	v_mul_f64 v[21:22], v[13:14], v[21:22]
	s_waitcnt vmcnt(0)
	v_subrev_nc_u32_e32 v10, s45, v10
	s_delay_alu instid0(VALU_DEP_1) | instskip(NEXT) | instid1(VALU_DEP_1)
	v_mul_lo_u32 v12, 0x89, v10
	v_and_b32_e32 v12, 0xfff, v12
	v_fma_f64 v[17:18], v[13:14], v[19:20], v[17:18]
	v_fma_f64 v[19:20], v[15:16], v[19:20], v[21:22]
	s_branch .LBB77_17
.LBB77_16:                              ;   in Loop: Header=BB77_17 Depth=3
	s_or_b32 exec_lo, exec_lo, s13
	s_xor_b32 s13, s14, -1
	s_delay_alu instid0(SALU_CYCLE_1) | instskip(NEXT) | instid1(SALU_CYCLE_1)
	s_and_b32 s13, exec_lo, s13
	s_or_b32 s12, s13, s12
	s_delay_alu instid0(SALU_CYCLE_1)
	s_and_not1_b32 exec_lo, exec_lo, s12
	s_cbranch_execz .LBB77_14
.LBB77_17:                              ;   Parent Loop BB77_12 Depth=1
                                        ;     Parent Loop BB77_15 Depth=2
                                        ; =>    This Loop Header: Depth=3
                                        ;         Child Loop BB77_23 Depth 4
                                        ;         Child Loop BB77_25 Depth 4
	;; [unrolled: 1-line block ×4, first 2 shown]
	s_delay_alu instid0(VALU_DEP_3)
	v_lshl_add_u32 v21, v12, 2, 0
	s_mov_b32 s13, exec_lo
                                        ; implicit-def: $sgpr14
	ds_load_b32 v22, v21
	s_waitcnt lgkmcnt(0)
	v_cmpx_ne_u32_e64 v22, v10
	s_xor_b32 s13, exec_lo, s13
	s_cbranch_execz .LBB77_29
; %bb.18:                               ;   in Loop: Header=BB77_17 Depth=3
	s_mov_b32 s15, exec_lo
                                        ; implicit-def: $sgpr14
	v_cmpx_ne_u32_e64 s33, v22
	s_xor_b32 s15, exec_lo, s15
; %bb.19:                               ;   in Loop: Header=BB77_17 Depth=3
	v_add_nc_u32_e32 v12, 1, v12
	s_mov_b32 s14, -1
                                        ; implicit-def: $vgpr21
	s_delay_alu instid0(VALU_DEP_1)
	v_and_b32_e32 v12, 0xfff, v12
; %bb.20:                               ;   in Loop: Header=BB77_17 Depth=3
	s_and_not1_saveexec_b32 s15, s15
	s_cbranch_execz .LBB77_28
; %bb.21:                               ;   in Loop: Header=BB77_17 Depth=3
	v_mov_b32_e32 v22, s33
	s_mov_b32 s21, -1
	s_mov_b32 s20, exec_lo
	ds_cmpstore_rtn_b32 v22, v21, v10, v22
	s_waitcnt lgkmcnt(0)
	v_cmpx_eq_u32_e64 s33, v22
	s_cbranch_execz .LBB77_27
; %bb.22:                               ;   in Loop: Header=BB77_17 Depth=3
	v_mul_lo_u32 v22, v12, 12
	s_mov_b32 s21, 0
	s_delay_alu instid0(VALU_DEP_1)
	v_add_nc_u32_e32 v28, v21, v22
	ds_load_b64 v[21:22], v28 offset:16384
.LBB77_23:                              ;   Parent Loop BB77_12 Depth=1
                                        ;     Parent Loop BB77_15 Depth=2
                                        ;       Parent Loop BB77_17 Depth=3
                                        ; =>      This Inner Loop Header: Depth=4
	s_waitcnt lgkmcnt(0)
	v_add_f64 v[29:30], v[21:22], v[17:18]
	ds_cmpstore_rtn_b64 v[29:30], v28, v[29:30], v[21:22] offset:16384
	s_waitcnt lgkmcnt(0)
	v_cmp_eq_u64_e32 vcc_lo, v[29:30], v[21:22]
	v_dual_mov_b32 v21, v29 :: v_dual_mov_b32 v22, v30
	s_or_b32 s21, vcc_lo, s21
	s_delay_alu instid0(SALU_CYCLE_1)
	s_and_not1_b32 exec_lo, exec_lo, s21
	s_cbranch_execnz .LBB77_23
; %bb.24:                               ;   in Loop: Header=BB77_17 Depth=3
	s_or_b32 exec_lo, exec_lo, s21
	ds_load_b64 v[21:22], v28 offset:16392
	s_mov_b32 s21, 0
.LBB77_25:                              ;   Parent Loop BB77_12 Depth=1
                                        ;     Parent Loop BB77_15 Depth=2
                                        ;       Parent Loop BB77_17 Depth=3
                                        ; =>      This Inner Loop Header: Depth=4
	s_waitcnt lgkmcnt(0)
	v_add_f64 v[29:30], v[21:22], v[19:20]
	ds_cmpstore_rtn_b64 v[29:30], v28, v[29:30], v[21:22] offset:16392
	s_waitcnt lgkmcnt(0)
	v_cmp_eq_u64_e32 vcc_lo, v[29:30], v[21:22]
	v_dual_mov_b32 v21, v29 :: v_dual_mov_b32 v22, v30
	s_or_b32 s21, vcc_lo, s21
	s_delay_alu instid0(SALU_CYCLE_1)
	s_and_not1_b32 exec_lo, exec_lo, s21
	s_cbranch_execnz .LBB77_25
; %bb.26:                               ;   in Loop: Header=BB77_17 Depth=3
	s_or_b32 exec_lo, exec_lo, s21
	s_delay_alu instid0(SALU_CYCLE_1)
	s_xor_b32 s21, exec_lo, -1
.LBB77_27:                              ;   in Loop: Header=BB77_17 Depth=3
	s_or_b32 exec_lo, exec_lo, s20
	s_delay_alu instid0(SALU_CYCLE_1) | instskip(SKIP_1) | instid1(SALU_CYCLE_1)
	s_and_not1_b32 s14, s14, exec_lo
	s_and_b32 s20, s21, exec_lo
	s_or_b32 s14, s14, s20
.LBB77_28:                              ;   in Loop: Header=BB77_17 Depth=3
	s_or_b32 exec_lo, exec_lo, s15
	s_delay_alu instid0(SALU_CYCLE_1)
	s_and_b32 s14, s14, exec_lo
                                        ; implicit-def: $vgpr21
.LBB77_29:                              ;   in Loop: Header=BB77_17 Depth=3
	s_and_not1_saveexec_b32 s13, s13
	s_cbranch_execz .LBB77_16
; %bb.30:                               ;   in Loop: Header=BB77_17 Depth=3
	v_mul_lo_u32 v22, v12, 12
	s_mov_b32 s15, 0
	s_delay_alu instid0(VALU_DEP_1)
	v_add_nc_u32_e32 v28, v21, v22
	ds_load_b64 v[21:22], v28 offset:16384
.LBB77_31:                              ;   Parent Loop BB77_12 Depth=1
                                        ;     Parent Loop BB77_15 Depth=2
                                        ;       Parent Loop BB77_17 Depth=3
                                        ; =>      This Inner Loop Header: Depth=4
	s_waitcnt lgkmcnt(0)
	v_add_f64 v[29:30], v[21:22], v[17:18]
	ds_cmpstore_rtn_b64 v[29:30], v28, v[29:30], v[21:22] offset:16384
	s_waitcnt lgkmcnt(0)
	v_cmp_eq_u64_e32 vcc_lo, v[29:30], v[21:22]
	v_dual_mov_b32 v21, v29 :: v_dual_mov_b32 v22, v30
	s_or_b32 s15, vcc_lo, s15
	s_delay_alu instid0(SALU_CYCLE_1)
	s_and_not1_b32 exec_lo, exec_lo, s15
	s_cbranch_execnz .LBB77_31
; %bb.32:                               ;   in Loop: Header=BB77_17 Depth=3
	s_or_b32 exec_lo, exec_lo, s15
	ds_load_b64 v[21:22], v28 offset:16392
	s_mov_b32 s15, 0
.LBB77_33:                              ;   Parent Loop BB77_12 Depth=1
                                        ;     Parent Loop BB77_15 Depth=2
                                        ;       Parent Loop BB77_17 Depth=3
                                        ; =>      This Inner Loop Header: Depth=4
	s_waitcnt lgkmcnt(0)
	v_add_f64 v[29:30], v[21:22], v[19:20]
	ds_cmpstore_rtn_b64 v[29:30], v28, v[29:30], v[21:22] offset:16392
	s_waitcnt lgkmcnt(0)
	v_cmp_eq_u64_e32 vcc_lo, v[29:30], v[21:22]
	v_dual_mov_b32 v21, v29 :: v_dual_mov_b32 v22, v30
	s_or_b32 s15, vcc_lo, s15
	s_delay_alu instid0(SALU_CYCLE_1)
	s_and_not1_b32 exec_lo, exec_lo, s15
	s_cbranch_execnz .LBB77_33
; %bb.34:                               ;   in Loop: Header=BB77_17 Depth=3
	s_or_b32 exec_lo, exec_lo, s15
	s_delay_alu instid0(SALU_CYCLE_1)
	s_and_not1_b32 s14, s14, exec_lo
	s_branch .LBB77_16
.LBB77_35:
	s_or_b32 exec_lo, exec_lo, s1
.LBB77_36:
	s_delay_alu instid0(SALU_CYCLE_1)
	s_and_not1_b32 vcc_lo, exec_lo, s3
	s_cbranch_vccnz .LBB77_61
; %bb.37:
	s_waitcnt lgkmcnt(0)
	s_ashr_i32 s35, s34, 31
	v_subrev_nc_u32_e32 v5, s47, v0
	s_lshl_b64 s[0:1], s[34:35], 2
	s_delay_alu instid0(SALU_CYCLE_1)
	s_add_u32 s0, s36, s0
	s_addc_u32 s1, s37, s1
	s_load_b64 s[0:1], s[0:1], 0x0
	s_waitcnt lgkmcnt(0)
	v_add_nc_u32_e32 v5, s0, v5
	s_sub_i32 s0, s1, s47
	s_mov_b32 s1, exec_lo
	s_delay_alu instid0(VALU_DEP_1)
	v_cmpx_gt_i32_e64 s0, v5
	s_cbranch_execz .LBB77_60
; %bb.38:
	s_mov_b32 s2, 0
	s_branch .LBB77_40
.LBB77_39:                              ;   in Loop: Header=BB77_40 Depth=1
	s_or_b32 exec_lo, exec_lo, s3
	v_add_nc_u32_e32 v5, 0x400, v5
	s_delay_alu instid0(VALU_DEP_1) | instskip(SKIP_1) | instid1(SALU_CYCLE_1)
	v_cmp_le_i32_e32 vcc_lo, s0, v5
	s_or_b32 s2, vcc_lo, s2
	s_and_not1_b32 exec_lo, exec_lo, s2
	s_cbranch_execz .LBB77_60
.LBB77_40:                              ; =>This Loop Header: Depth=1
                                        ;     Child Loop BB77_42 Depth 2
                                        ;       Child Loop BB77_48 Depth 3
                                        ;       Child Loop BB77_50 Depth 3
	;; [unrolled: 1-line block ×4, first 2 shown]
	v_ashrrev_i32_e32 v6, 31, v5
	s_mov_b32 s3, 0
	s_delay_alu instid0(VALU_DEP_1) | instskip(NEXT) | instid1(VALU_DEP_1)
	v_lshlrev_b64 v[7:8], 4, v[5:6]
	v_add_co_u32 v7, vcc_lo, s40, v7
	s_delay_alu instid0(VALU_DEP_2) | instskip(SKIP_2) | instid1(VALU_DEP_1)
	v_add_co_ci_u32_e32 v8, vcc_lo, s41, v8, vcc_lo
	global_load_b128 v[8:11], v[7:8], off
	v_lshlrev_b64 v[6:7], 2, v[5:6]
	v_add_co_u32 v6, vcc_lo, s38, v6
	s_delay_alu instid0(VALU_DEP_2)
	v_add_co_ci_u32_e32 v7, vcc_lo, s39, v7, vcc_lo
	global_load_b32 v12, v[6:7], off
	s_waitcnt vmcnt(1)
	v_mul_f64 v[6:7], v[10:11], -v[1:2]
	v_mul_f64 v[10:11], v[3:4], v[10:11]
	s_waitcnt vmcnt(0)
	v_subrev_nc_u32_e32 v12, s47, v12
	s_delay_alu instid0(VALU_DEP_3) | instskip(NEXT) | instid1(VALU_DEP_3)
	v_fma_f64 v[6:7], v[3:4], v[8:9], v[6:7]
	v_fma_f64 v[8:9], v[1:2], v[8:9], v[10:11]
	s_delay_alu instid0(VALU_DEP_3) | instskip(NEXT) | instid1(VALU_DEP_1)
	v_mul_lo_u32 v10, 0x89, v12
	v_and_b32_e32 v13, 0xfff, v10
	s_branch .LBB77_42
.LBB77_41:                              ;   in Loop: Header=BB77_42 Depth=2
	s_or_b32 exec_lo, exec_lo, s4
	s_xor_b32 s4, s5, -1
	s_delay_alu instid0(SALU_CYCLE_1) | instskip(NEXT) | instid1(SALU_CYCLE_1)
	s_and_b32 s4, exec_lo, s4
	s_or_b32 s3, s4, s3
	s_delay_alu instid0(SALU_CYCLE_1)
	s_and_not1_b32 exec_lo, exec_lo, s3
	s_cbranch_execz .LBB77_39
.LBB77_42:                              ;   Parent Loop BB77_40 Depth=1
                                        ; =>  This Loop Header: Depth=2
                                        ;       Child Loop BB77_48 Depth 3
                                        ;       Child Loop BB77_50 Depth 3
	;; [unrolled: 1-line block ×4, first 2 shown]
	s_delay_alu instid0(VALU_DEP_1)
	v_lshl_add_u32 v10, v13, 2, 0
	s_mov_b32 s4, exec_lo
                                        ; implicit-def: $sgpr5
	ds_load_b32 v11, v10
	s_waitcnt lgkmcnt(0)
	v_cmpx_ne_u32_e64 v11, v12
	s_xor_b32 s4, exec_lo, s4
	s_cbranch_execz .LBB77_54
; %bb.43:                               ;   in Loop: Header=BB77_42 Depth=2
	s_mov_b32 s6, exec_lo
                                        ; implicit-def: $sgpr5
	v_cmpx_ne_u32_e64 s33, v11
	s_xor_b32 s6, exec_lo, s6
; %bb.44:                               ;   in Loop: Header=BB77_42 Depth=2
	v_add_nc_u32_e32 v10, 1, v13
	s_mov_b32 s5, -1
	s_delay_alu instid0(VALU_DEP_1)
	v_and_b32_e32 v13, 0xfff, v10
                                        ; implicit-def: $vgpr10
; %bb.45:                               ;   in Loop: Header=BB77_42 Depth=2
	s_and_not1_saveexec_b32 s6, s6
	s_cbranch_execz .LBB77_53
; %bb.46:                               ;   in Loop: Header=BB77_42 Depth=2
	v_mov_b32_e32 v11, s33
	s_mov_b32 s8, -1
	s_mov_b32 s7, exec_lo
	ds_cmpstore_rtn_b32 v11, v10, v12, v11
	s_waitcnt lgkmcnt(0)
	v_cmpx_eq_u32_e64 s33, v11
	s_cbranch_execz .LBB77_52
; %bb.47:                               ;   in Loop: Header=BB77_42 Depth=2
	v_mul_lo_u32 v11, v13, 12
	s_mov_b32 s8, 0
	s_delay_alu instid0(VALU_DEP_1)
	v_add_nc_u32_e32 v14, v10, v11
	ds_load_b64 v[10:11], v14 offset:16384
.LBB77_48:                              ;   Parent Loop BB77_40 Depth=1
                                        ;     Parent Loop BB77_42 Depth=2
                                        ; =>    This Inner Loop Header: Depth=3
	s_waitcnt lgkmcnt(0)
	v_add_f64 v[15:16], v[10:11], v[6:7]
	ds_cmpstore_rtn_b64 v[15:16], v14, v[15:16], v[10:11] offset:16384
	s_waitcnt lgkmcnt(0)
	v_cmp_eq_u64_e32 vcc_lo, v[15:16], v[10:11]
	v_dual_mov_b32 v10, v15 :: v_dual_mov_b32 v11, v16
	s_or_b32 s8, vcc_lo, s8
	s_delay_alu instid0(SALU_CYCLE_1)
	s_and_not1_b32 exec_lo, exec_lo, s8
	s_cbranch_execnz .LBB77_48
; %bb.49:                               ;   in Loop: Header=BB77_42 Depth=2
	s_or_b32 exec_lo, exec_lo, s8
	ds_load_b64 v[10:11], v14 offset:16392
	s_mov_b32 s8, 0
.LBB77_50:                              ;   Parent Loop BB77_40 Depth=1
                                        ;     Parent Loop BB77_42 Depth=2
                                        ; =>    This Inner Loop Header: Depth=3
	s_waitcnt lgkmcnt(0)
	v_add_f64 v[15:16], v[10:11], v[8:9]
	ds_cmpstore_rtn_b64 v[15:16], v14, v[15:16], v[10:11] offset:16392
	s_waitcnt lgkmcnt(0)
	v_cmp_eq_u64_e32 vcc_lo, v[15:16], v[10:11]
	v_dual_mov_b32 v10, v15 :: v_dual_mov_b32 v11, v16
	s_or_b32 s8, vcc_lo, s8
	s_delay_alu instid0(SALU_CYCLE_1)
	s_and_not1_b32 exec_lo, exec_lo, s8
	s_cbranch_execnz .LBB77_50
; %bb.51:                               ;   in Loop: Header=BB77_42 Depth=2
	s_or_b32 exec_lo, exec_lo, s8
	s_delay_alu instid0(SALU_CYCLE_1)
	s_xor_b32 s8, exec_lo, -1
.LBB77_52:                              ;   in Loop: Header=BB77_42 Depth=2
	s_or_b32 exec_lo, exec_lo, s7
	s_delay_alu instid0(SALU_CYCLE_1) | instskip(SKIP_1) | instid1(SALU_CYCLE_1)
	s_and_not1_b32 s5, s5, exec_lo
	s_and_b32 s7, s8, exec_lo
	s_or_b32 s5, s5, s7
.LBB77_53:                              ;   in Loop: Header=BB77_42 Depth=2
	s_or_b32 exec_lo, exec_lo, s6
	s_delay_alu instid0(SALU_CYCLE_1)
	s_and_b32 s5, s5, exec_lo
                                        ; implicit-def: $vgpr10
.LBB77_54:                              ;   in Loop: Header=BB77_42 Depth=2
	s_and_not1_saveexec_b32 s4, s4
	s_cbranch_execz .LBB77_41
; %bb.55:                               ;   in Loop: Header=BB77_42 Depth=2
	v_mul_lo_u32 v11, v13, 12
	s_mov_b32 s6, 0
	s_delay_alu instid0(VALU_DEP_1)
	v_add_nc_u32_e32 v14, v10, v11
	ds_load_b64 v[10:11], v14 offset:16384
.LBB77_56:                              ;   Parent Loop BB77_40 Depth=1
                                        ;     Parent Loop BB77_42 Depth=2
                                        ; =>    This Inner Loop Header: Depth=3
	s_waitcnt lgkmcnt(0)
	v_add_f64 v[15:16], v[10:11], v[6:7]
	ds_cmpstore_rtn_b64 v[15:16], v14, v[15:16], v[10:11] offset:16384
	s_waitcnt lgkmcnt(0)
	v_cmp_eq_u64_e32 vcc_lo, v[15:16], v[10:11]
	v_dual_mov_b32 v10, v15 :: v_dual_mov_b32 v11, v16
	s_or_b32 s6, vcc_lo, s6
	s_delay_alu instid0(SALU_CYCLE_1)
	s_and_not1_b32 exec_lo, exec_lo, s6
	s_cbranch_execnz .LBB77_56
; %bb.57:                               ;   in Loop: Header=BB77_42 Depth=2
	s_or_b32 exec_lo, exec_lo, s6
	ds_load_b64 v[10:11], v14 offset:16392
	s_mov_b32 s6, 0
.LBB77_58:                              ;   Parent Loop BB77_40 Depth=1
                                        ;     Parent Loop BB77_42 Depth=2
                                        ; =>    This Inner Loop Header: Depth=3
	s_waitcnt lgkmcnt(0)
	v_add_f64 v[15:16], v[10:11], v[8:9]
	ds_cmpstore_rtn_b64 v[15:16], v14, v[15:16], v[10:11] offset:16392
	s_waitcnt lgkmcnt(0)
	v_cmp_eq_u64_e32 vcc_lo, v[15:16], v[10:11]
	v_dual_mov_b32 v10, v15 :: v_dual_mov_b32 v11, v16
	s_or_b32 s6, vcc_lo, s6
	s_delay_alu instid0(SALU_CYCLE_1)
	s_and_not1_b32 exec_lo, exec_lo, s6
	s_cbranch_execnz .LBB77_58
; %bb.59:                               ;   in Loop: Header=BB77_42 Depth=2
	s_or_b32 exec_lo, exec_lo, s6
	s_delay_alu instid0(SALU_CYCLE_1)
	s_and_not1_b32 s5, s5, exec_lo
	s_branch .LBB77_41
.LBB77_60:
	s_or_b32 exec_lo, exec_lo, s1
.LBB77_61:
	v_mbcnt_lo_u32_b32 v1, -1, 0
	v_lshrrev_b32_e32 v2, 3, v0
	s_add_i32 s70, 0, 0x1407c
	v_cmp_eq_u32_e32 vcc_lo, 0x3ff, v0
	v_cmp_lt_u32_e64 s0, 31, v0
	v_xor_b32_e32 v1, 63, v1
	v_dual_mov_b32 v4, s70 :: v_dual_and_b32 v3, 0x7c, v2
	v_cmp_lt_u32_e64 s1, 63, v0
	v_cmp_lt_u32_e64 s2, 0x5f, v0
	s_delay_alu instid0(VALU_DEP_4) | instskip(NEXT) | instid1(VALU_DEP_4)
	v_lshrrev_b64 v[1:2], v1, -1
	v_add3_u32 v2, 0, 0x14000, v3
	v_cmp_lt_u32_e64 s3, 0x7f, v0
	v_cmp_lt_u32_e64 s4, 0x9f, v0
	;; [unrolled: 1-line block ×28, first 2 shown]
	v_mov_b32_e32 v3, 0
	s_mov_b32 s35, 0
	s_add_i32 s36, 0, 0x14000
	s_add_i32 s37, 0, 0x14004
	;; [unrolled: 1-line block ×31, first 2 shown]
	s_waitcnt lgkmcnt(0)
	s_barrier
	buffer_gl0_inv
	s_branch .LBB77_63
.LBB77_62:                              ;   in Loop: Header=BB77_63 Depth=1
	s_or_b32 exec_lo, exec_lo, s31
	s_waitcnt lgkmcnt(0)
	s_barrier
	buffer_gl0_inv
	ds_load_b32 v5, v4
	v_add_nc_u32_e32 v23, 0x400, v23
	v_add_nc_u32_e32 v25, 0x4000, v25
	;; [unrolled: 1-line block ×3, first 2 shown]
	s_delay_alu instid0(VALU_DEP_3) | instskip(NEXT) | instid1(VALU_DEP_1)
	v_cmp_lt_u32_e64 s31, 0xbff, v23
	s_or_b32 s35, s31, s35
	s_waitcnt lgkmcnt(0)
	v_add_nc_u32_e32 v3, v5, v3
	s_and_not1_b32 exec_lo, exec_lo, s35
	s_cbranch_execz .LBB77_129
.LBB77_63:                              ; =>This Inner Loop Header: Depth=1
	ds_load_b32 v5, v24
	ds_load_2addr_b64 v[6:9], v25 offset1:1
	s_waitcnt lgkmcnt(1)
	v_cmp_gt_i32_e64 s31, s33, v5
	s_waitcnt lgkmcnt(0)
	scratch_store_b128 off, v[6:9], off
	s_waitcnt_vscnt null, 0x0
	s_barrier
	buffer_gl0_inv
	s_bcnt1_i32_b32 s75, s31
	s_delay_alu instid0(SALU_CYCLE_1) | instskip(NEXT) | instid1(VALU_DEP_1)
	v_dual_mov_b32 v7, s75 :: v_dual_and_b32 v6, s31, v1
	v_bcnt_u32_b32 v6, v6, 0
	ds_store_b32 v2, v7
	s_waitcnt lgkmcnt(0)
	s_barrier
	buffer_gl0_inv
	s_and_saveexec_b32 s75, s0
	s_cbranch_execnz .LBB77_96
; %bb.64:                               ;   in Loop: Header=BB77_63 Depth=1
	s_or_b32 exec_lo, exec_lo, s75
	s_and_saveexec_b32 s75, s1
	s_cbranch_execnz .LBB77_97
.LBB77_65:                              ;   in Loop: Header=BB77_63 Depth=1
	s_or_b32 exec_lo, exec_lo, s75
	s_and_saveexec_b32 s75, s2
	s_cbranch_execnz .LBB77_98
.LBB77_66:                              ;   in Loop: Header=BB77_63 Depth=1
	s_or_b32 exec_lo, exec_lo, s75
	s_and_saveexec_b32 s75, s3
	s_cbranch_execnz .LBB77_99
.LBB77_67:                              ;   in Loop: Header=BB77_63 Depth=1
	s_or_b32 exec_lo, exec_lo, s75
	s_and_saveexec_b32 s75, s4
	s_cbranch_execnz .LBB77_100
.LBB77_68:                              ;   in Loop: Header=BB77_63 Depth=1
	s_or_b32 exec_lo, exec_lo, s75
	s_and_saveexec_b32 s75, s5
	s_cbranch_execnz .LBB77_101
.LBB77_69:                              ;   in Loop: Header=BB77_63 Depth=1
	s_or_b32 exec_lo, exec_lo, s75
	s_and_saveexec_b32 s75, s6
	s_cbranch_execnz .LBB77_102
.LBB77_70:                              ;   in Loop: Header=BB77_63 Depth=1
	s_or_b32 exec_lo, exec_lo, s75
	s_and_saveexec_b32 s75, s7
	s_cbranch_execnz .LBB77_103
.LBB77_71:                              ;   in Loop: Header=BB77_63 Depth=1
	s_or_b32 exec_lo, exec_lo, s75
	s_and_saveexec_b32 s75, s8
	s_cbranch_execnz .LBB77_104
.LBB77_72:                              ;   in Loop: Header=BB77_63 Depth=1
	s_or_b32 exec_lo, exec_lo, s75
	s_and_saveexec_b32 s75, s9
	s_cbranch_execnz .LBB77_105
.LBB77_73:                              ;   in Loop: Header=BB77_63 Depth=1
	s_or_b32 exec_lo, exec_lo, s75
	s_and_saveexec_b32 s75, s10
	s_cbranch_execnz .LBB77_106
.LBB77_74:                              ;   in Loop: Header=BB77_63 Depth=1
	s_or_b32 exec_lo, exec_lo, s75
	s_and_saveexec_b32 s75, s11
	s_cbranch_execnz .LBB77_107
.LBB77_75:                              ;   in Loop: Header=BB77_63 Depth=1
	s_or_b32 exec_lo, exec_lo, s75
	s_and_saveexec_b32 s75, s12
	s_cbranch_execnz .LBB77_108
.LBB77_76:                              ;   in Loop: Header=BB77_63 Depth=1
	s_or_b32 exec_lo, exec_lo, s75
	s_and_saveexec_b32 s75, s13
	s_cbranch_execnz .LBB77_109
.LBB77_77:                              ;   in Loop: Header=BB77_63 Depth=1
	s_or_b32 exec_lo, exec_lo, s75
	s_and_saveexec_b32 s75, s14
	s_cbranch_execnz .LBB77_110
.LBB77_78:                              ;   in Loop: Header=BB77_63 Depth=1
	s_or_b32 exec_lo, exec_lo, s75
	s_and_saveexec_b32 s75, s15
	s_cbranch_execnz .LBB77_111
.LBB77_79:                              ;   in Loop: Header=BB77_63 Depth=1
	s_or_b32 exec_lo, exec_lo, s75
	s_and_saveexec_b32 s75, s16
	s_cbranch_execnz .LBB77_112
.LBB77_80:                              ;   in Loop: Header=BB77_63 Depth=1
	s_or_b32 exec_lo, exec_lo, s75
	s_and_saveexec_b32 s75, s17
	s_cbranch_execnz .LBB77_113
.LBB77_81:                              ;   in Loop: Header=BB77_63 Depth=1
	s_or_b32 exec_lo, exec_lo, s75
	s_and_saveexec_b32 s75, s18
	s_cbranch_execnz .LBB77_114
.LBB77_82:                              ;   in Loop: Header=BB77_63 Depth=1
	s_or_b32 exec_lo, exec_lo, s75
	s_and_saveexec_b32 s75, s19
	s_cbranch_execnz .LBB77_115
.LBB77_83:                              ;   in Loop: Header=BB77_63 Depth=1
	s_or_b32 exec_lo, exec_lo, s75
	s_and_saveexec_b32 s75, s20
	s_cbranch_execnz .LBB77_116
.LBB77_84:                              ;   in Loop: Header=BB77_63 Depth=1
	s_or_b32 exec_lo, exec_lo, s75
	s_and_saveexec_b32 s75, s21
	s_cbranch_execnz .LBB77_117
.LBB77_85:                              ;   in Loop: Header=BB77_63 Depth=1
	s_or_b32 exec_lo, exec_lo, s75
	s_and_saveexec_b32 s75, s22
	s_cbranch_execnz .LBB77_118
.LBB77_86:                              ;   in Loop: Header=BB77_63 Depth=1
	s_or_b32 exec_lo, exec_lo, s75
	s_and_saveexec_b32 s75, s23
	s_cbranch_execnz .LBB77_119
.LBB77_87:                              ;   in Loop: Header=BB77_63 Depth=1
	s_or_b32 exec_lo, exec_lo, s75
	s_and_saveexec_b32 s75, s24
	s_cbranch_execnz .LBB77_120
.LBB77_88:                              ;   in Loop: Header=BB77_63 Depth=1
	s_or_b32 exec_lo, exec_lo, s75
	s_and_saveexec_b32 s75, s25
	s_cbranch_execnz .LBB77_121
.LBB77_89:                              ;   in Loop: Header=BB77_63 Depth=1
	s_or_b32 exec_lo, exec_lo, s75
	s_and_saveexec_b32 s75, s26
	s_cbranch_execnz .LBB77_122
.LBB77_90:                              ;   in Loop: Header=BB77_63 Depth=1
	s_or_b32 exec_lo, exec_lo, s75
	s_and_saveexec_b32 s75, s27
	s_cbranch_execnz .LBB77_123
.LBB77_91:                              ;   in Loop: Header=BB77_63 Depth=1
	s_or_b32 exec_lo, exec_lo, s75
	s_and_saveexec_b32 s75, s28
	s_cbranch_execnz .LBB77_124
.LBB77_92:                              ;   in Loop: Header=BB77_63 Depth=1
	s_or_b32 exec_lo, exec_lo, s75
	s_and_saveexec_b32 s75, s29
	s_cbranch_execnz .LBB77_125
.LBB77_93:                              ;   in Loop: Header=BB77_63 Depth=1
	s_or_b32 exec_lo, exec_lo, s75
	s_and_saveexec_b32 s75, s30
	s_cbranch_execnz .LBB77_126
.LBB77_94:                              ;   in Loop: Header=BB77_63 Depth=1
	s_or_b32 exec_lo, exec_lo, s75
	s_and_saveexec_b32 s75, s31
	s_cbranch_execnz .LBB77_127
.LBB77_95:                              ;   in Loop: Header=BB77_63 Depth=1
	s_or_b32 exec_lo, exec_lo, s75
	s_and_saveexec_b32 s31, vcc_lo
	s_cbranch_execz .LBB77_62
	s_branch .LBB77_128
.LBB77_96:                              ;   in Loop: Header=BB77_63 Depth=1
	v_mov_b32_e32 v7, s36
	ds_load_b32 v7, v7
	s_waitcnt lgkmcnt(0)
	v_add_nc_u32_e32 v6, v7, v6
	s_or_b32 exec_lo, exec_lo, s75
	s_and_saveexec_b32 s75, s1
	s_cbranch_execz .LBB77_65
.LBB77_97:                              ;   in Loop: Header=BB77_63 Depth=1
	v_mov_b32_e32 v7, s37
	ds_load_b32 v7, v7
	s_waitcnt lgkmcnt(0)
	v_add_nc_u32_e32 v6, v7, v6
	s_or_b32 exec_lo, exec_lo, s75
	s_and_saveexec_b32 s75, s2
	s_cbranch_execz .LBB77_66
.LBB77_98:                              ;   in Loop: Header=BB77_63 Depth=1
	v_mov_b32_e32 v7, s38
	ds_load_b32 v7, v7
	s_waitcnt lgkmcnt(0)
	v_add_nc_u32_e32 v6, v7, v6
	s_or_b32 exec_lo, exec_lo, s75
	s_and_saveexec_b32 s75, s3
	s_cbranch_execz .LBB77_67
.LBB77_99:                              ;   in Loop: Header=BB77_63 Depth=1
	v_mov_b32_e32 v7, s39
	ds_load_b32 v7, v7
	s_waitcnt lgkmcnt(0)
	v_add_nc_u32_e32 v6, v7, v6
	s_or_b32 exec_lo, exec_lo, s75
	s_and_saveexec_b32 s75, s4
	s_cbranch_execz .LBB77_68
.LBB77_100:                             ;   in Loop: Header=BB77_63 Depth=1
	v_mov_b32_e32 v7, s40
	ds_load_b32 v7, v7
	s_waitcnt lgkmcnt(0)
	v_add_nc_u32_e32 v6, v7, v6
	s_or_b32 exec_lo, exec_lo, s75
	s_and_saveexec_b32 s75, s5
	s_cbranch_execz .LBB77_69
.LBB77_101:                             ;   in Loop: Header=BB77_63 Depth=1
	v_mov_b32_e32 v7, s41
	ds_load_b32 v7, v7
	s_waitcnt lgkmcnt(0)
	v_add_nc_u32_e32 v6, v7, v6
	s_or_b32 exec_lo, exec_lo, s75
	s_and_saveexec_b32 s75, s6
	s_cbranch_execz .LBB77_70
.LBB77_102:                             ;   in Loop: Header=BB77_63 Depth=1
	v_mov_b32_e32 v7, s44
	ds_load_b32 v7, v7
	s_waitcnt lgkmcnt(0)
	v_add_nc_u32_e32 v6, v7, v6
	s_or_b32 exec_lo, exec_lo, s75
	s_and_saveexec_b32 s75, s7
	s_cbranch_execz .LBB77_71
.LBB77_103:                             ;   in Loop: Header=BB77_63 Depth=1
	v_mov_b32_e32 v7, s45
	ds_load_b32 v7, v7
	s_waitcnt lgkmcnt(0)
	v_add_nc_u32_e32 v6, v7, v6
	s_or_b32 exec_lo, exec_lo, s75
	s_and_saveexec_b32 s75, s8
	s_cbranch_execz .LBB77_72
.LBB77_104:                             ;   in Loop: Header=BB77_63 Depth=1
	v_mov_b32_e32 v7, s47
	ds_load_b32 v7, v7
	s_waitcnt lgkmcnt(0)
	v_add_nc_u32_e32 v6, v7, v6
	s_or_b32 exec_lo, exec_lo, s75
	s_and_saveexec_b32 s75, s9
	s_cbranch_execz .LBB77_73
.LBB77_105:                             ;   in Loop: Header=BB77_63 Depth=1
	v_mov_b32_e32 v7, s52
	ds_load_b32 v7, v7
	s_waitcnt lgkmcnt(0)
	v_add_nc_u32_e32 v6, v7, v6
	s_or_b32 exec_lo, exec_lo, s75
	s_and_saveexec_b32 s75, s10
	s_cbranch_execz .LBB77_74
.LBB77_106:                             ;   in Loop: Header=BB77_63 Depth=1
	v_mov_b32_e32 v7, s53
	ds_load_b32 v7, v7
	s_waitcnt lgkmcnt(0)
	v_add_nc_u32_e32 v6, v7, v6
	s_or_b32 exec_lo, exec_lo, s75
	s_and_saveexec_b32 s75, s11
	s_cbranch_execz .LBB77_75
.LBB77_107:                             ;   in Loop: Header=BB77_63 Depth=1
	v_mov_b32_e32 v7, s54
	ds_load_b32 v7, v7
	s_waitcnt lgkmcnt(0)
	v_add_nc_u32_e32 v6, v7, v6
	s_or_b32 exec_lo, exec_lo, s75
	s_and_saveexec_b32 s75, s12
	s_cbranch_execz .LBB77_76
.LBB77_108:                             ;   in Loop: Header=BB77_63 Depth=1
	v_mov_b32_e32 v7, s55
	ds_load_b32 v7, v7
	s_waitcnt lgkmcnt(0)
	v_add_nc_u32_e32 v6, v7, v6
	s_or_b32 exec_lo, exec_lo, s75
	s_and_saveexec_b32 s75, s13
	s_cbranch_execz .LBB77_77
.LBB77_109:                             ;   in Loop: Header=BB77_63 Depth=1
	v_mov_b32_e32 v7, s56
	ds_load_b32 v7, v7
	s_waitcnt lgkmcnt(0)
	v_add_nc_u32_e32 v6, v7, v6
	s_or_b32 exec_lo, exec_lo, s75
	s_and_saveexec_b32 s75, s14
	s_cbranch_execz .LBB77_78
.LBB77_110:                             ;   in Loop: Header=BB77_63 Depth=1
	v_mov_b32_e32 v7, s57
	ds_load_b32 v7, v7
	s_waitcnt lgkmcnt(0)
	v_add_nc_u32_e32 v6, v7, v6
	s_or_b32 exec_lo, exec_lo, s75
	s_and_saveexec_b32 s75, s15
	s_cbranch_execz .LBB77_79
.LBB77_111:                             ;   in Loop: Header=BB77_63 Depth=1
	v_mov_b32_e32 v7, s58
	ds_load_b32 v7, v7
	s_waitcnt lgkmcnt(0)
	v_add_nc_u32_e32 v6, v7, v6
	s_or_b32 exec_lo, exec_lo, s75
	s_and_saveexec_b32 s75, s16
	s_cbranch_execz .LBB77_80
.LBB77_112:                             ;   in Loop: Header=BB77_63 Depth=1
	v_mov_b32_e32 v7, s59
	ds_load_b32 v7, v7
	s_waitcnt lgkmcnt(0)
	v_add_nc_u32_e32 v6, v7, v6
	s_or_b32 exec_lo, exec_lo, s75
	s_and_saveexec_b32 s75, s17
	s_cbranch_execz .LBB77_81
.LBB77_113:                             ;   in Loop: Header=BB77_63 Depth=1
	v_mov_b32_e32 v7, s60
	ds_load_b32 v7, v7
	s_waitcnt lgkmcnt(0)
	v_add_nc_u32_e32 v6, v7, v6
	s_or_b32 exec_lo, exec_lo, s75
	s_and_saveexec_b32 s75, s18
	s_cbranch_execz .LBB77_82
.LBB77_114:                             ;   in Loop: Header=BB77_63 Depth=1
	v_mov_b32_e32 v7, s61
	ds_load_b32 v7, v7
	s_waitcnt lgkmcnt(0)
	v_add_nc_u32_e32 v6, v7, v6
	s_or_b32 exec_lo, exec_lo, s75
	s_and_saveexec_b32 s75, s19
	s_cbranch_execz .LBB77_83
.LBB77_115:                             ;   in Loop: Header=BB77_63 Depth=1
	v_mov_b32_e32 v7, s62
	ds_load_b32 v7, v7
	s_waitcnt lgkmcnt(0)
	v_add_nc_u32_e32 v6, v7, v6
	s_or_b32 exec_lo, exec_lo, s75
	s_and_saveexec_b32 s75, s20
	s_cbranch_execz .LBB77_84
.LBB77_116:                             ;   in Loop: Header=BB77_63 Depth=1
	v_mov_b32_e32 v7, s63
	ds_load_b32 v7, v7
	s_waitcnt lgkmcnt(0)
	v_add_nc_u32_e32 v6, v7, v6
	s_or_b32 exec_lo, exec_lo, s75
	s_and_saveexec_b32 s75, s21
	s_cbranch_execz .LBB77_85
.LBB77_117:                             ;   in Loop: Header=BB77_63 Depth=1
	v_mov_b32_e32 v7, s64
	ds_load_b32 v7, v7
	s_waitcnt lgkmcnt(0)
	v_add_nc_u32_e32 v6, v7, v6
	s_or_b32 exec_lo, exec_lo, s75
	s_and_saveexec_b32 s75, s22
	s_cbranch_execz .LBB77_86
.LBB77_118:                             ;   in Loop: Header=BB77_63 Depth=1
	v_mov_b32_e32 v7, s65
	ds_load_b32 v7, v7
	s_waitcnt lgkmcnt(0)
	v_add_nc_u32_e32 v6, v7, v6
	s_or_b32 exec_lo, exec_lo, s75
	s_and_saveexec_b32 s75, s23
	s_cbranch_execz .LBB77_87
.LBB77_119:                             ;   in Loop: Header=BB77_63 Depth=1
	v_mov_b32_e32 v7, s66
	ds_load_b32 v7, v7
	s_waitcnt lgkmcnt(0)
	v_add_nc_u32_e32 v6, v7, v6
	s_or_b32 exec_lo, exec_lo, s75
	s_and_saveexec_b32 s75, s24
	s_cbranch_execz .LBB77_88
.LBB77_120:                             ;   in Loop: Header=BB77_63 Depth=1
	v_mov_b32_e32 v7, s67
	ds_load_b32 v7, v7
	s_waitcnt lgkmcnt(0)
	v_add_nc_u32_e32 v6, v7, v6
	s_or_b32 exec_lo, exec_lo, s75
	s_and_saveexec_b32 s75, s25
	s_cbranch_execz .LBB77_89
.LBB77_121:                             ;   in Loop: Header=BB77_63 Depth=1
	v_mov_b32_e32 v7, s68
	ds_load_b32 v7, v7
	s_waitcnt lgkmcnt(0)
	v_add_nc_u32_e32 v6, v7, v6
	s_or_b32 exec_lo, exec_lo, s75
	s_and_saveexec_b32 s75, s26
	s_cbranch_execz .LBB77_90
.LBB77_122:                             ;   in Loop: Header=BB77_63 Depth=1
	v_mov_b32_e32 v7, s69
	ds_load_b32 v7, v7
	s_waitcnt lgkmcnt(0)
	v_add_nc_u32_e32 v6, v7, v6
	s_or_b32 exec_lo, exec_lo, s75
	s_and_saveexec_b32 s75, s27
	s_cbranch_execz .LBB77_91
.LBB77_123:                             ;   in Loop: Header=BB77_63 Depth=1
	v_mov_b32_e32 v7, s71
	ds_load_b32 v7, v7
	s_waitcnt lgkmcnt(0)
	v_add_nc_u32_e32 v6, v7, v6
	s_or_b32 exec_lo, exec_lo, s75
	s_and_saveexec_b32 s75, s28
	s_cbranch_execz .LBB77_92
.LBB77_124:                             ;   in Loop: Header=BB77_63 Depth=1
	v_mov_b32_e32 v7, s72
	ds_load_b32 v7, v7
	s_waitcnt lgkmcnt(0)
	v_add_nc_u32_e32 v6, v7, v6
	s_or_b32 exec_lo, exec_lo, s75
	s_and_saveexec_b32 s75, s29
	s_cbranch_execz .LBB77_93
.LBB77_125:                             ;   in Loop: Header=BB77_63 Depth=1
	v_mov_b32_e32 v7, s73
	ds_load_b32 v7, v7
	s_waitcnt lgkmcnt(0)
	v_add_nc_u32_e32 v6, v7, v6
	s_or_b32 exec_lo, exec_lo, s75
	s_and_saveexec_b32 s75, s30
	s_cbranch_execz .LBB77_94
.LBB77_126:                             ;   in Loop: Header=BB77_63 Depth=1
	v_mov_b32_e32 v7, s74
	ds_load_b32 v7, v7
	s_waitcnt lgkmcnt(0)
	v_add_nc_u32_e32 v6, v7, v6
	s_or_b32 exec_lo, exec_lo, s75
	s_and_saveexec_b32 s75, s31
	s_cbranch_execz .LBB77_95
.LBB77_127:                             ;   in Loop: Header=BB77_63 Depth=1
	scratch_load_b128 v[7:10], off, off
	v_add3_u32 v11, v3, -1, v6
	s_delay_alu instid0(VALU_DEP_1) | instskip(SKIP_1) | instid1(VALU_DEP_2)
	v_lshlrev_b32_e32 v12, 4, v11
	v_lshl_add_u32 v11, v11, 2, 0
	v_add3_u32 v12, 0, v12, 0x4000
	ds_store_b32 v11, v5
	s_waitcnt vmcnt(0)
	ds_store_2addr_b64 v12, v[7:8], v[9:10] offset1:1
	s_or_b32 exec_lo, exec_lo, s75
	s_and_saveexec_b32 s31, vcc_lo
	s_cbranch_execz .LBB77_62
.LBB77_128:                             ;   in Loop: Header=BB77_63 Depth=1
	v_mov_b32_e32 v5, s70
	ds_store_b32 v5, v6
	s_branch .LBB77_62
.LBB77_129:
	s_or_b32 exec_lo, exec_lo, s35
	s_ashr_i32 s35, s34, 31
	s_mov_b32 s3, exec_lo
	s_lshl_b64 s[0:1], s[34:35], 2
	s_delay_alu instid0(SALU_CYCLE_1) | instskip(SKIP_4) | instid1(SALU_CYCLE_1)
	s_add_u32 s0, s42, s0
	s_addc_u32 s1, s43, s1
	s_load_b64 s[0:1], s[0:1], 0x0
	s_waitcnt lgkmcnt(0)
	s_sub_i32 s2, s1, s0
	v_cmpx_gt_i32_e64 s2, v0
	s_cbranch_execz .LBB77_139
; %bb.130:
	s_sub_i32 s3, s0, s46
	s_sub_i32 s0, s0, s1
	s_and_b32 s1, s2, 7
	s_cmp_lt_u32 s0, -7
	s_mov_b32 s7, 0
	s_cselect_b32 s4, -1, 0
	s_and_b32 s5, s2, -8
	s_cmp_lg_u32 s1, 0
	s_cselect_b32 s6, -1, 0
	s_branch .LBB77_132
.LBB77_131:                             ;   in Loop: Header=BB77_132 Depth=1
	v_mul_lo_u32 v4, v0, 12
	v_add_nc_u32_e32 v0, 0x400, v0
	s_waitcnt lgkmcnt(0)
	v_add_nc_u32_e32 v3, s46, v3
	s_delay_alu instid0(VALU_DEP_3) | instskip(SKIP_4) | instid1(VALU_DEP_2)
	v_add3_u32 v4, v2, v4, 0x4000
	v_ashrrev_i32_e32 v2, 31, v1
	ds_load_2addr_b64 v[4:7], v4 offset1:1
	v_lshlrev_b64 v[8:9], 2, v[1:2]
	v_lshlrev_b64 v[1:2], 4, v[1:2]
	v_add_co_u32 v8, vcc_lo, s48, v8
	s_delay_alu instid0(VALU_DEP_3) | instskip(SKIP_1) | instid1(VALU_DEP_4)
	v_add_co_ci_u32_e32 v9, vcc_lo, s49, v9, vcc_lo
	v_cmp_le_i32_e32 vcc_lo, s2, v0
	v_add_co_u32 v1, s0, s50, v1
	s_delay_alu instid0(VALU_DEP_1)
	v_add_co_ci_u32_e64 v2, s0, s51, v2, s0
	s_or_b32 s7, vcc_lo, s7
	global_store_b32 v[8:9], v3, off
	s_waitcnt lgkmcnt(0)
	global_store_b128 v[1:2], v[4:7], off
	s_and_not1_b32 exec_lo, exec_lo, s7
	s_cbranch_execz .LBB77_139
.LBB77_132:                             ; =>This Loop Header: Depth=1
                                        ;     Child Loop BB77_134 Depth 2
                                        ;     Child Loop BB77_138 Depth 2
	v_lshl_add_u32 v2, v0, 2, 0
	v_mov_b32_e32 v1, s3
	s_and_not1_b32 vcc_lo, exec_lo, s4
	s_mov_b32 s0, 0
	ds_load_b32 v3, v2
	s_cbranch_vccnz .LBB77_136
; %bb.133:                              ;   in Loop: Header=BB77_132 Depth=1
	v_mov_b32_e32 v1, s3
	s_mov_b32 s8, 0
	s_set_inst_prefetch_distance 0x1
	.p2align	6
.LBB77_134:                             ;   Parent Loop BB77_132 Depth=1
                                        ; =>  This Inner Loop Header: Depth=2
	v_mov_b32_e32 v10, s8
	s_add_i32 s0, s0, 8
	s_add_i32 s8, s8, 32
	s_cmp_eq_u32 s5, s0
	ds_load_2addr_b32 v[4:5], v10 offset1:1
	ds_load_2addr_b32 v[6:7], v10 offset0:2 offset1:3
	ds_load_2addr_b32 v[8:9], v10 offset0:4 offset1:5
	;; [unrolled: 1-line block ×3, first 2 shown]
	s_waitcnt lgkmcnt(3)
	v_cmp_gt_i32_e32 vcc_lo, v3, v4
	v_cndmask_b32_e64 v4, 0, 1, vcc_lo
	s_waitcnt lgkmcnt(2)
	v_cmp_gt_i32_e32 vcc_lo, v3, v6
	v_cndmask_b32_e64 v6, 0, 1, vcc_lo
	v_cmp_gt_i32_e32 vcc_lo, v3, v5
	v_add_co_ci_u32_e32 v1, vcc_lo, v1, v4, vcc_lo
	s_waitcnt lgkmcnt(1)
	v_cmp_gt_i32_e32 vcc_lo, v3, v8
	v_cndmask_b32_e64 v4, 0, 1, vcc_lo
	v_cmp_gt_i32_e32 vcc_lo, v3, v7
	v_add_co_ci_u32_e32 v1, vcc_lo, v1, v6, vcc_lo
	;; [unrolled: 5-line block ×3, first 2 shown]
	v_cmp_gt_i32_e32 vcc_lo, v3, v11
	s_delay_alu instid0(VALU_DEP_2)
	v_add_co_ci_u32_e32 v1, vcc_lo, v1, v5, vcc_lo
	s_cbranch_scc0 .LBB77_134
; %bb.135:                              ;   in Loop: Header=BB77_132 Depth=1
	s_set_inst_prefetch_distance 0x2
	s_mov_b32 s0, s5
.LBB77_136:                             ;   in Loop: Header=BB77_132 Depth=1
	s_and_not1_b32 vcc_lo, exec_lo, s6
	s_cbranch_vccnz .LBB77_131
; %bb.137:                              ;   in Loop: Header=BB77_132 Depth=1
	s_lshl_b32 s0, s0, 2
	s_mov_b32 s8, s1
	s_add_i32 s0, s0, 0
.LBB77_138:                             ;   Parent Loop BB77_132 Depth=1
                                        ; =>  This Inner Loop Header: Depth=2
	s_delay_alu instid0(SALU_CYCLE_1)
	v_mov_b32_e32 v4, s0
	s_add_i32 s8, s8, -1
	s_add_i32 s0, s0, 4
	s_cmp_lg_u32 s8, 0
	ds_load_b32 v4, v4
	s_waitcnt lgkmcnt(0)
	v_cmp_gt_i32_e32 vcc_lo, v3, v4
	v_add_co_ci_u32_e32 v1, vcc_lo, 0, v1, vcc_lo
	s_cbranch_scc1 .LBB77_138
	s_branch .LBB77_131
.LBB77_139:
	s_nop 0
	s_sendmsg sendmsg(MSG_DEALLOC_VGPRS)
	s_endpgm
	.section	.rodata,"a",@progbits
	.p2align	6, 0x0
	.amdhsa_kernel _ZN9rocsparseL26csrgemm_fill_block_per_rowILj1024ELj64ELj4096ELj137ELj32Eii21rocsparse_complex_numIdEEEvT5_PKS3_S5_NS_24const_host_device_scalarIT6_EEPKT4_S5_PKS7_SB_S5_SD_S8_SB_S5_SD_SB_PS3_PS7_21rocsparse_index_base_SG_SG_SG_bbb
		.amdhsa_group_segment_fixed_size 0
		.amdhsa_private_segment_fixed_size 40
		.amdhsa_kernarg_size 172
		.amdhsa_user_sgpr_count 15
		.amdhsa_user_sgpr_dispatch_ptr 0
		.amdhsa_user_sgpr_queue_ptr 0
		.amdhsa_user_sgpr_kernarg_segment_ptr 1
		.amdhsa_user_sgpr_dispatch_id 0
		.amdhsa_user_sgpr_private_segment_size 0
		.amdhsa_wavefront_size32 1
		.amdhsa_uses_dynamic_stack 0
		.amdhsa_enable_private_segment 1
		.amdhsa_system_sgpr_workgroup_id_x 1
		.amdhsa_system_sgpr_workgroup_id_y 0
		.amdhsa_system_sgpr_workgroup_id_z 0
		.amdhsa_system_sgpr_workgroup_info 0
		.amdhsa_system_vgpr_workitem_id 0
		.amdhsa_next_free_vgpr 31
		.amdhsa_next_free_sgpr 76
		.amdhsa_reserve_vcc 1
		.amdhsa_float_round_mode_32 0
		.amdhsa_float_round_mode_16_64 0
		.amdhsa_float_denorm_mode_32 3
		.amdhsa_float_denorm_mode_16_64 3
		.amdhsa_dx10_clamp 1
		.amdhsa_ieee_mode 1
		.amdhsa_fp16_overflow 0
		.amdhsa_workgroup_processor_mode 1
		.amdhsa_memory_ordered 1
		.amdhsa_forward_progress 0
		.amdhsa_shared_vgpr_count 0
		.amdhsa_exception_fp_ieee_invalid_op 0
		.amdhsa_exception_fp_denorm_src 0
		.amdhsa_exception_fp_ieee_div_zero 0
		.amdhsa_exception_fp_ieee_overflow 0
		.amdhsa_exception_fp_ieee_underflow 0
		.amdhsa_exception_fp_ieee_inexact 0
		.amdhsa_exception_int_div_zero 0
	.end_amdhsa_kernel
	.section	.text._ZN9rocsparseL26csrgemm_fill_block_per_rowILj1024ELj64ELj4096ELj137ELj32Eii21rocsparse_complex_numIdEEEvT5_PKS3_S5_NS_24const_host_device_scalarIT6_EEPKT4_S5_PKS7_SB_S5_SD_S8_SB_S5_SD_SB_PS3_PS7_21rocsparse_index_base_SG_SG_SG_bbb,"axG",@progbits,_ZN9rocsparseL26csrgemm_fill_block_per_rowILj1024ELj64ELj4096ELj137ELj32Eii21rocsparse_complex_numIdEEEvT5_PKS3_S5_NS_24const_host_device_scalarIT6_EEPKT4_S5_PKS7_SB_S5_SD_S8_SB_S5_SD_SB_PS3_PS7_21rocsparse_index_base_SG_SG_SG_bbb,comdat
.Lfunc_end77:
	.size	_ZN9rocsparseL26csrgemm_fill_block_per_rowILj1024ELj64ELj4096ELj137ELj32Eii21rocsparse_complex_numIdEEEvT5_PKS3_S5_NS_24const_host_device_scalarIT6_EEPKT4_S5_PKS7_SB_S5_SD_S8_SB_S5_SD_SB_PS3_PS7_21rocsparse_index_base_SG_SG_SG_bbb, .Lfunc_end77-_ZN9rocsparseL26csrgemm_fill_block_per_rowILj1024ELj64ELj4096ELj137ELj32Eii21rocsparse_complex_numIdEEEvT5_PKS3_S5_NS_24const_host_device_scalarIT6_EEPKT4_S5_PKS7_SB_S5_SD_S8_SB_S5_SD_SB_PS3_PS7_21rocsparse_index_base_SG_SG_SG_bbb
                                        ; -- End function
	.section	.AMDGPU.csdata,"",@progbits
; Kernel info:
; codeLenInByte = 5316
; NumSgprs: 78
; NumVgprs: 31
; ScratchSize: 40
; MemoryBound: 0
; FloatMode: 240
; IeeeMode: 1
; LDSByteSize: 0 bytes/workgroup (compile time only)
; SGPRBlocks: 9
; VGPRBlocks: 3
; NumSGPRsForWavesPerEU: 78
; NumVGPRsForWavesPerEU: 31
; Occupancy: 16
; WaveLimiterHint : 1
; COMPUTE_PGM_RSRC2:SCRATCH_EN: 1
; COMPUTE_PGM_RSRC2:USER_SGPR: 15
; COMPUTE_PGM_RSRC2:TRAP_HANDLER: 0
; COMPUTE_PGM_RSRC2:TGID_X_EN: 1
; COMPUTE_PGM_RSRC2:TGID_Y_EN: 0
; COMPUTE_PGM_RSRC2:TGID_Z_EN: 0
; COMPUTE_PGM_RSRC2:TIDIG_COMP_CNT: 0
	.section	.text._ZN9rocsparseL26csrgemm_fill_block_per_rowILj1024ELj64ELj4096ELj137ELj64Eii21rocsparse_complex_numIdEEEvT5_PKS3_S5_NS_24const_host_device_scalarIT6_EEPKT4_S5_PKS7_SB_S5_SD_S8_SB_S5_SD_SB_PS3_PS7_21rocsparse_index_base_SG_SG_SG_bbb,"axG",@progbits,_ZN9rocsparseL26csrgemm_fill_block_per_rowILj1024ELj64ELj4096ELj137ELj64Eii21rocsparse_complex_numIdEEEvT5_PKS3_S5_NS_24const_host_device_scalarIT6_EEPKT4_S5_PKS7_SB_S5_SD_S8_SB_S5_SD_SB_PS3_PS7_21rocsparse_index_base_SG_SG_SG_bbb,comdat
	.globl	_ZN9rocsparseL26csrgemm_fill_block_per_rowILj1024ELj64ELj4096ELj137ELj64Eii21rocsparse_complex_numIdEEEvT5_PKS3_S5_NS_24const_host_device_scalarIT6_EEPKT4_S5_PKS7_SB_S5_SD_S8_SB_S5_SD_SB_PS3_PS7_21rocsparse_index_base_SG_SG_SG_bbb ; -- Begin function _ZN9rocsparseL26csrgemm_fill_block_per_rowILj1024ELj64ELj4096ELj137ELj64Eii21rocsparse_complex_numIdEEEvT5_PKS3_S5_NS_24const_host_device_scalarIT6_EEPKT4_S5_PKS7_SB_S5_SD_S8_SB_S5_SD_SB_PS3_PS7_21rocsparse_index_base_SG_SG_SG_bbb
	.p2align	8
	.type	_ZN9rocsparseL26csrgemm_fill_block_per_rowILj1024ELj64ELj4096ELj137ELj64Eii21rocsparse_complex_numIdEEEvT5_PKS3_S5_NS_24const_host_device_scalarIT6_EEPKT4_S5_PKS7_SB_S5_SD_S8_SB_S5_SD_SB_PS3_PS7_21rocsparse_index_base_SG_SG_SG_bbb,@function
_ZN9rocsparseL26csrgemm_fill_block_per_rowILj1024ELj64ELj4096ELj137ELj64Eii21rocsparse_complex_numIdEEEvT5_PKS3_S5_NS_24const_host_device_scalarIT6_EEPKT4_S5_PKS7_SB_S5_SD_S8_SB_S5_SD_SB_PS3_PS7_21rocsparse_index_base_SG_SG_SG_bbb: ; @_ZN9rocsparseL26csrgemm_fill_block_per_rowILj1024ELj64ELj4096ELj137ELj64Eii21rocsparse_complex_numIdEEEvT5_PKS3_S5_NS_24const_host_device_scalarIT6_EEPKT4_S5_PKS7_SB_S5_SD_S8_SB_S5_SD_SB_PS3_PS7_21rocsparse_index_base_SG_SG_SG_bbb
; %bb.0:
	s_clause 0x3
	s_load_b32 s14, s[0:1], 0xa8
	s_load_b128 s[4:7], s[0:1], 0x18
	s_load_b128 s[40:43], s[0:1], 0x58
	;; [unrolled: 1-line block ×3, first 2 shown]
	v_mov_b32_e32 v1, 0
	v_mov_b32_e32 v2, 0
	s_waitcnt lgkmcnt(0)
	s_bitcmp1_b32 s14, 0
	v_mov_b32_e32 v3, s4
	s_cselect_b32 s12, -1, 0
	s_bitcmp1_b32 s14, 16
	v_dual_mov_b32 v6, v2 :: v_dual_mov_b32 v5, v1
	s_cselect_b32 s2, -1, 0
	v_mov_b32_e32 v4, s5
	s_xor_b32 s13, s2, -1
	v_dual_mov_b32 v9, s40 :: v_dual_mov_b32 v10, s41
	v_cndmask_b32_e64 v7, 0, 1, s13
	s_bitcmp0_b32 s14, 0
	s_clause 0x1
	scratch_store_b64 off, v[3:4], off offset:16
	scratch_store_b64 off, v[9:10], off offset:24
	v_cmp_ne_u32_e32 vcc_lo, 1, v7
	v_dual_mov_b32 v8, v2 :: v_dual_mov_b32 v7, v1
	s_cbranch_scc1 .LBB78_3
; %bb.1:
	s_mov_b64 s[8:9], src_private_base
	s_and_b32 s3, s2, exec_lo
	s_cselect_b32 s3, s9, s5
	s_delay_alu instid0(SALU_CYCLE_1) | instskip(SKIP_2) | instid1(VALU_DEP_2)
	v_dual_mov_b32 v3, 16 :: v_dual_mov_b32 v4, s3
	v_dual_mov_b32 v8, s7 :: v_dual_mov_b32 v7, s6
	s_and_b32 vcc_lo, exec_lo, vcc_lo
	v_cndmask_b32_e64 v3, s4, v3, s2
	flat_load_b64 v[5:6], v[3:4]
	s_cbranch_vccnz .LBB78_3
; %bb.2:
	v_dual_mov_b32 v3, s4 :: v_dual_mov_b32 v4, s5
	flat_load_b64 v[7:8], v[3:4] offset:8
.LBB78_3:
	s_clause 0x4
	s_load_b128 s[28:31], s[0:1], 0x88
	s_load_b256 s[16:23], s[0:1], 0x68
	s_load_b128 s[36:39], s[0:1], 0x48
	s_load_b128 s[44:47], s[0:1], 0x8
	s_load_b256 s[4:11], s[0:1], 0x28
	s_bitcmp1_b32 s14, 8
	v_dual_mov_b32 v4, v2 :: v_dual_mov_b32 v3, v1
	s_cselect_b32 s3, -1, 0
	s_bfe_u32 s14, s14, 0x10008
	s_delay_alu instid0(SALU_CYCLE_1)
	s_cmp_eq_u32 s14, 0
	s_cbranch_scc1 .LBB78_6
; %bb.4:
	s_mov_b64 s[34:35], src_private_base
	s_and_b32 s14, s2, exec_lo
	s_cselect_b32 s14, s35, s41
	s_delay_alu instid0(SALU_CYCLE_1) | instskip(SKIP_1) | instid1(VALU_DEP_1)
	v_dual_mov_b32 v1, 24 :: v_dual_mov_b32 v2, s14
	s_and_not1_b32 vcc_lo, exec_lo, s13
	v_cndmask_b32_e64 v1, s40, v1, s2
	flat_load_b64 v[3:4], v[1:2]
	v_dual_mov_b32 v1, s42 :: v_dual_mov_b32 v2, s43
	s_cbranch_vccnz .LBB78_6
; %bb.5:
	v_dual_mov_b32 v1, s40 :: v_dual_mov_b32 v2, s41
	flat_load_b64 v[1:2], v[1:2] offset:8
.LBB78_6:
	s_load_b32 s33, s[0:1], 0x0
	s_mov_b32 s0, 0
	v_or_b32_e32 v23, 0xfffffc00, v0
	s_mov_b32 s1, s0
	s_delay_alu instid0(SALU_CYCLE_1) | instskip(SKIP_3) | instid1(VALU_DEP_2)
	v_dual_mov_b32 v10, s1 :: v_dual_lshlrev_b32 v11, 4, v0
	v_lshl_add_u32 v24, v0, 2, 0
	s_mov_b32 s34, s0
	s_mov_b32 s35, s0
	v_add3_u32 v25, v11, 0, 0x4000
	v_dual_mov_b32 v11, s34 :: v_dual_mov_b32 v14, v23
	v_dual_mov_b32 v9, s0 :: v_dual_mov_b32 v12, s35
	s_delay_alu instid0(VALU_DEP_3)
	v_dual_mov_b32 v13, v24 :: v_dual_mov_b32 v16, v25
	s_waitcnt lgkmcnt(0)
	v_mov_b32_e32 v15, s33
.LBB78_7:                               ; =>This Inner Loop Header: Depth=1
	v_add_nc_u32_e32 v14, 0x400, v14
	ds_store_b32 v13, v15
	ds_store_2addr_b64 v16, v[9:10], v[11:12] offset1:1
	v_add_nc_u32_e32 v16, 0x4000, v16
	v_add_nc_u32_e32 v13, 0x1000, v13
	v_cmp_lt_u32_e32 vcc_lo, 0xbff, v14
	s_or_b32 s0, vcc_lo, s0
	s_delay_alu instid0(SALU_CYCLE_1)
	s_and_not1_b32 exec_lo, exec_lo, s0
	s_cbranch_execnz .LBB78_7
; %bb.8:
	s_or_b32 exec_lo, exec_lo, s0
	s_waitcnt vmcnt(0) lgkmcnt(0)
	s_waitcnt_vscnt null, 0x0
	s_barrier
	buffer_gl0_inv
	s_load_b32 s0, s[44:45], 0x0
	s_mov_b32 s1, 0
	v_lshrrev_b32_e32 v26, 6, v0
	s_waitcnt lgkmcnt(0)
	s_add_i32 s0, s0, s15
	s_delay_alu instid0(SALU_CYCLE_1) | instskip(NEXT) | instid1(SALU_CYCLE_1)
	s_lshl_b64 s[0:1], s[0:1], 2
	s_add_u32 s0, s46, s0
	s_addc_u32 s1, s47, s1
	s_and_b32 vcc_lo, exec_lo, s12
	s_load_b32 s34, s[0:1], 0x0
	s_cbranch_vccz .LBB78_36
; %bb.9:
	s_waitcnt lgkmcnt(0)
	s_ashr_i32 s35, s34, 31
	v_subrev_nc_u32_e32 v9, s24, v26
	s_lshl_b64 s[0:1], s[34:35], 2
	s_delay_alu instid0(SALU_CYCLE_1)
	s_add_u32 s0, s4, s0
	s_addc_u32 s1, s5, s1
	s_load_b64 s[0:1], s[0:1], 0x0
	s_waitcnt lgkmcnt(0)
	v_add_nc_u32_e32 v9, s0, v9
	s_sub_i32 s0, s1, s24
	s_mov_b32 s1, exec_lo
	s_delay_alu instid0(VALU_DEP_1)
	v_cmpx_gt_i32_e64 s0, v9
	s_cbranch_execz .LBB78_35
; %bb.10:
	v_and_b32_e32 v10, 63, v0
	s_mov_b32 s2, 0
	s_delay_alu instid0(VALU_DEP_1)
	v_subrev_nc_u32_e32 v27, s25, v10
	s_branch .LBB78_12
.LBB78_11:                              ;   in Loop: Header=BB78_12 Depth=1
	s_or_b32 exec_lo, exec_lo, s4
	v_add_nc_u32_e32 v9, 16, v9
	s_delay_alu instid0(VALU_DEP_1) | instskip(SKIP_1) | instid1(SALU_CYCLE_1)
	v_cmp_le_i32_e32 vcc_lo, s0, v9
	s_or_b32 s2, vcc_lo, s2
	s_and_not1_b32 exec_lo, exec_lo, s2
	s_cbranch_execz .LBB78_35
.LBB78_12:                              ; =>This Loop Header: Depth=1
                                        ;     Child Loop BB78_15 Depth 2
                                        ;       Child Loop BB78_17 Depth 3
                                        ;         Child Loop BB78_23 Depth 4
                                        ;         Child Loop BB78_25 Depth 4
	;; [unrolled: 1-line block ×4, first 2 shown]
	v_ashrrev_i32_e32 v10, 31, v9
	s_mov_b32 s4, exec_lo
	s_delay_alu instid0(VALU_DEP_1) | instskip(NEXT) | instid1(VALU_DEP_1)
	v_lshlrev_b64 v[11:12], 2, v[9:10]
	v_add_co_u32 v11, vcc_lo, s6, v11
	s_delay_alu instid0(VALU_DEP_2) | instskip(SKIP_3) | instid1(VALU_DEP_1)
	v_add_co_ci_u32_e32 v12, vcc_lo, s7, v12, vcc_lo
	global_load_b32 v11, v[11:12], off
	s_waitcnt vmcnt(0)
	v_subrev_nc_u32_e32 v11, s24, v11
	v_ashrrev_i32_e32 v12, 31, v11
	s_delay_alu instid0(VALU_DEP_1) | instskip(NEXT) | instid1(VALU_DEP_1)
	v_lshlrev_b64 v[11:12], 2, v[11:12]
	v_add_co_u32 v11, vcc_lo, s10, v11
	s_delay_alu instid0(VALU_DEP_2) | instskip(SKIP_4) | instid1(VALU_DEP_1)
	v_add_co_ci_u32_e32 v12, vcc_lo, s11, v12, vcc_lo
	global_load_b64 v[11:12], v[11:12], off
	s_waitcnt vmcnt(0)
	v_subrev_nc_u32_e32 v28, s25, v12
	v_add_nc_u32_e32 v11, v11, v27
	v_cmpx_lt_i32_e64 v11, v28
	s_cbranch_execz .LBB78_11
; %bb.13:                               ;   in Loop: Header=BB78_12 Depth=1
	v_lshlrev_b64 v[12:13], 4, v[9:10]
	s_mov_b32 s5, 0
	s_delay_alu instid0(VALU_DEP_1) | instskip(NEXT) | instid1(VALU_DEP_2)
	v_add_co_u32 v12, vcc_lo, s8, v12
	v_add_co_ci_u32_e32 v13, vcc_lo, s9, v13, vcc_lo
	global_load_b128 v[15:18], v[12:13], off
	s_waitcnt vmcnt(0)
	v_mul_f64 v[12:13], v[17:18], -v[7:8]
	v_mul_f64 v[17:18], v[5:6], v[17:18]
	s_delay_alu instid0(VALU_DEP_2) | instskip(NEXT) | instid1(VALU_DEP_2)
	v_fma_f64 v[13:14], v[5:6], v[15:16], v[12:13]
	v_fma_f64 v[15:16], v[7:8], v[15:16], v[17:18]
	s_branch .LBB78_15
.LBB78_14:                              ;   in Loop: Header=BB78_15 Depth=2
	s_or_b32 exec_lo, exec_lo, s12
	v_add_nc_u32_e32 v11, 64, v11
	s_delay_alu instid0(VALU_DEP_1) | instskip(SKIP_1) | instid1(SALU_CYCLE_1)
	v_cmp_ge_i32_e32 vcc_lo, v11, v28
	s_or_b32 s5, vcc_lo, s5
	s_and_not1_b32 exec_lo, exec_lo, s5
	s_cbranch_execz .LBB78_11
.LBB78_15:                              ;   Parent Loop BB78_12 Depth=1
                                        ; =>  This Loop Header: Depth=2
                                        ;       Child Loop BB78_17 Depth 3
                                        ;         Child Loop BB78_23 Depth 4
                                        ;         Child Loop BB78_25 Depth 4
	;; [unrolled: 1-line block ×4, first 2 shown]
	v_ashrrev_i32_e32 v12, 31, v11
	s_mov_b32 s12, 0
	s_delay_alu instid0(VALU_DEP_1) | instskip(NEXT) | instid1(VALU_DEP_1)
	v_lshlrev_b64 v[17:18], 4, v[11:12]
	v_add_co_u32 v17, vcc_lo, s38, v17
	s_delay_alu instid0(VALU_DEP_2) | instskip(SKIP_2) | instid1(VALU_DEP_1)
	v_add_co_ci_u32_e32 v18, vcc_lo, s39, v18, vcc_lo
	global_load_b128 v[19:22], v[17:18], off
	v_lshlrev_b64 v[17:18], 2, v[11:12]
	v_add_co_u32 v17, vcc_lo, s36, v17
	s_delay_alu instid0(VALU_DEP_2)
	v_add_co_ci_u32_e32 v18, vcc_lo, s37, v18, vcc_lo
	global_load_b32 v10, v[17:18], off
	s_waitcnt vmcnt(1)
	v_mul_f64 v[17:18], v[21:22], -v[15:16]
	v_mul_f64 v[21:22], v[13:14], v[21:22]
	s_waitcnt vmcnt(0)
	v_subrev_nc_u32_e32 v10, s25, v10
	s_delay_alu instid0(VALU_DEP_1) | instskip(NEXT) | instid1(VALU_DEP_1)
	v_mul_lo_u32 v12, 0x89, v10
	v_and_b32_e32 v12, 0xfff, v12
	v_fma_f64 v[17:18], v[13:14], v[19:20], v[17:18]
	v_fma_f64 v[19:20], v[15:16], v[19:20], v[21:22]
	s_branch .LBB78_17
.LBB78_16:                              ;   in Loop: Header=BB78_17 Depth=3
	s_or_b32 exec_lo, exec_lo, s13
	s_xor_b32 s13, s14, -1
	s_delay_alu instid0(SALU_CYCLE_1) | instskip(NEXT) | instid1(SALU_CYCLE_1)
	s_and_b32 s13, exec_lo, s13
	s_or_b32 s12, s13, s12
	s_delay_alu instid0(SALU_CYCLE_1)
	s_and_not1_b32 exec_lo, exec_lo, s12
	s_cbranch_execz .LBB78_14
.LBB78_17:                              ;   Parent Loop BB78_12 Depth=1
                                        ;     Parent Loop BB78_15 Depth=2
                                        ; =>    This Loop Header: Depth=3
                                        ;         Child Loop BB78_23 Depth 4
                                        ;         Child Loop BB78_25 Depth 4
	;; [unrolled: 1-line block ×4, first 2 shown]
	s_delay_alu instid0(VALU_DEP_3)
	v_lshl_add_u32 v21, v12, 2, 0
	s_mov_b32 s13, exec_lo
                                        ; implicit-def: $sgpr14
	ds_load_b32 v22, v21
	s_waitcnt lgkmcnt(0)
	v_cmpx_ne_u32_e64 v22, v10
	s_xor_b32 s13, exec_lo, s13
	s_cbranch_execz .LBB78_29
; %bb.18:                               ;   in Loop: Header=BB78_17 Depth=3
	s_mov_b32 s15, exec_lo
                                        ; implicit-def: $sgpr14
	v_cmpx_ne_u32_e64 s33, v22
	s_xor_b32 s15, exec_lo, s15
; %bb.19:                               ;   in Loop: Header=BB78_17 Depth=3
	v_add_nc_u32_e32 v12, 1, v12
	s_mov_b32 s14, -1
                                        ; implicit-def: $vgpr21
	s_delay_alu instid0(VALU_DEP_1)
	v_and_b32_e32 v12, 0xfff, v12
; %bb.20:                               ;   in Loop: Header=BB78_17 Depth=3
	s_and_not1_saveexec_b32 s15, s15
	s_cbranch_execz .LBB78_28
; %bb.21:                               ;   in Loop: Header=BB78_17 Depth=3
	v_mov_b32_e32 v22, s33
	s_mov_b32 s40, -1
	s_mov_b32 s35, exec_lo
	ds_cmpstore_rtn_b32 v22, v21, v10, v22
	s_waitcnt lgkmcnt(0)
	v_cmpx_eq_u32_e64 s33, v22
	s_cbranch_execz .LBB78_27
; %bb.22:                               ;   in Loop: Header=BB78_17 Depth=3
	v_mul_lo_u32 v22, v12, 12
	s_mov_b32 s40, 0
	s_delay_alu instid0(VALU_DEP_1)
	v_add_nc_u32_e32 v29, v21, v22
	ds_load_b64 v[21:22], v29 offset:16384
.LBB78_23:                              ;   Parent Loop BB78_12 Depth=1
                                        ;     Parent Loop BB78_15 Depth=2
                                        ;       Parent Loop BB78_17 Depth=3
                                        ; =>      This Inner Loop Header: Depth=4
	s_waitcnt lgkmcnt(0)
	v_add_f64 v[30:31], v[21:22], v[17:18]
	ds_cmpstore_rtn_b64 v[30:31], v29, v[30:31], v[21:22] offset:16384
	s_waitcnt lgkmcnt(0)
	v_cmp_eq_u64_e32 vcc_lo, v[30:31], v[21:22]
	v_dual_mov_b32 v21, v30 :: v_dual_mov_b32 v22, v31
	s_or_b32 s40, vcc_lo, s40
	s_delay_alu instid0(SALU_CYCLE_1)
	s_and_not1_b32 exec_lo, exec_lo, s40
	s_cbranch_execnz .LBB78_23
; %bb.24:                               ;   in Loop: Header=BB78_17 Depth=3
	s_or_b32 exec_lo, exec_lo, s40
	ds_load_b64 v[21:22], v29 offset:16392
	s_mov_b32 s40, 0
.LBB78_25:                              ;   Parent Loop BB78_12 Depth=1
                                        ;     Parent Loop BB78_15 Depth=2
                                        ;       Parent Loop BB78_17 Depth=3
                                        ; =>      This Inner Loop Header: Depth=4
	s_waitcnt lgkmcnt(0)
	v_add_f64 v[30:31], v[21:22], v[19:20]
	ds_cmpstore_rtn_b64 v[30:31], v29, v[30:31], v[21:22] offset:16392
	s_waitcnt lgkmcnt(0)
	v_cmp_eq_u64_e32 vcc_lo, v[30:31], v[21:22]
	v_dual_mov_b32 v21, v30 :: v_dual_mov_b32 v22, v31
	s_or_b32 s40, vcc_lo, s40
	s_delay_alu instid0(SALU_CYCLE_1)
	s_and_not1_b32 exec_lo, exec_lo, s40
	s_cbranch_execnz .LBB78_25
; %bb.26:                               ;   in Loop: Header=BB78_17 Depth=3
	s_or_b32 exec_lo, exec_lo, s40
	s_delay_alu instid0(SALU_CYCLE_1)
	s_xor_b32 s40, exec_lo, -1
.LBB78_27:                              ;   in Loop: Header=BB78_17 Depth=3
	s_or_b32 exec_lo, exec_lo, s35
	s_delay_alu instid0(SALU_CYCLE_1) | instskip(SKIP_1) | instid1(SALU_CYCLE_1)
	s_and_not1_b32 s14, s14, exec_lo
	s_and_b32 s35, s40, exec_lo
	s_or_b32 s14, s14, s35
.LBB78_28:                              ;   in Loop: Header=BB78_17 Depth=3
	s_or_b32 exec_lo, exec_lo, s15
	s_delay_alu instid0(SALU_CYCLE_1)
	s_and_b32 s14, s14, exec_lo
                                        ; implicit-def: $vgpr21
.LBB78_29:                              ;   in Loop: Header=BB78_17 Depth=3
	s_and_not1_saveexec_b32 s13, s13
	s_cbranch_execz .LBB78_16
; %bb.30:                               ;   in Loop: Header=BB78_17 Depth=3
	v_mul_lo_u32 v22, v12, 12
	s_mov_b32 s15, 0
	s_delay_alu instid0(VALU_DEP_1)
	v_add_nc_u32_e32 v29, v21, v22
	ds_load_b64 v[21:22], v29 offset:16384
.LBB78_31:                              ;   Parent Loop BB78_12 Depth=1
                                        ;     Parent Loop BB78_15 Depth=2
                                        ;       Parent Loop BB78_17 Depth=3
                                        ; =>      This Inner Loop Header: Depth=4
	s_waitcnt lgkmcnt(0)
	v_add_f64 v[30:31], v[21:22], v[17:18]
	ds_cmpstore_rtn_b64 v[30:31], v29, v[30:31], v[21:22] offset:16384
	s_waitcnt lgkmcnt(0)
	v_cmp_eq_u64_e32 vcc_lo, v[30:31], v[21:22]
	v_dual_mov_b32 v21, v30 :: v_dual_mov_b32 v22, v31
	s_or_b32 s15, vcc_lo, s15
	s_delay_alu instid0(SALU_CYCLE_1)
	s_and_not1_b32 exec_lo, exec_lo, s15
	s_cbranch_execnz .LBB78_31
; %bb.32:                               ;   in Loop: Header=BB78_17 Depth=3
	s_or_b32 exec_lo, exec_lo, s15
	ds_load_b64 v[21:22], v29 offset:16392
	s_mov_b32 s15, 0
.LBB78_33:                              ;   Parent Loop BB78_12 Depth=1
                                        ;     Parent Loop BB78_15 Depth=2
                                        ;       Parent Loop BB78_17 Depth=3
                                        ; =>      This Inner Loop Header: Depth=4
	s_waitcnt lgkmcnt(0)
	v_add_f64 v[30:31], v[21:22], v[19:20]
	ds_cmpstore_rtn_b64 v[30:31], v29, v[30:31], v[21:22] offset:16392
	s_waitcnt lgkmcnt(0)
	v_cmp_eq_u64_e32 vcc_lo, v[30:31], v[21:22]
	v_dual_mov_b32 v21, v30 :: v_dual_mov_b32 v22, v31
	s_or_b32 s15, vcc_lo, s15
	s_delay_alu instid0(SALU_CYCLE_1)
	s_and_not1_b32 exec_lo, exec_lo, s15
	s_cbranch_execnz .LBB78_33
; %bb.34:                               ;   in Loop: Header=BB78_17 Depth=3
	s_or_b32 exec_lo, exec_lo, s15
	s_delay_alu instid0(SALU_CYCLE_1)
	s_and_not1_b32 s14, s14, exec_lo
	s_branch .LBB78_16
.LBB78_35:
	s_or_b32 exec_lo, exec_lo, s1
.LBB78_36:
	s_delay_alu instid0(SALU_CYCLE_1)
	s_and_not1_b32 vcc_lo, exec_lo, s3
	s_cbranch_vccnz .LBB78_61
; %bb.37:
	s_waitcnt lgkmcnt(0)
	s_ashr_i32 s35, s34, 31
	v_subrev_nc_u32_e32 v5, s27, v0
	s_lshl_b64 s[0:1], s[34:35], 2
	s_delay_alu instid0(SALU_CYCLE_1)
	s_add_u32 s0, s16, s0
	s_addc_u32 s1, s17, s1
	s_load_b64 s[0:1], s[0:1], 0x0
	s_waitcnt lgkmcnt(0)
	v_add_nc_u32_e32 v5, s0, v5
	s_sub_i32 s0, s1, s27
	s_mov_b32 s1, exec_lo
	s_delay_alu instid0(VALU_DEP_1)
	v_cmpx_gt_i32_e64 s0, v5
	s_cbranch_execz .LBB78_60
; %bb.38:
	s_mov_b32 s2, 0
	s_branch .LBB78_40
.LBB78_39:                              ;   in Loop: Header=BB78_40 Depth=1
	s_or_b32 exec_lo, exec_lo, s3
	v_add_nc_u32_e32 v5, 0x400, v5
	s_delay_alu instid0(VALU_DEP_1) | instskip(SKIP_1) | instid1(SALU_CYCLE_1)
	v_cmp_le_i32_e32 vcc_lo, s0, v5
	s_or_b32 s2, vcc_lo, s2
	s_and_not1_b32 exec_lo, exec_lo, s2
	s_cbranch_execz .LBB78_60
.LBB78_40:                              ; =>This Loop Header: Depth=1
                                        ;     Child Loop BB78_42 Depth 2
                                        ;       Child Loop BB78_48 Depth 3
                                        ;       Child Loop BB78_50 Depth 3
	;; [unrolled: 1-line block ×4, first 2 shown]
	v_ashrrev_i32_e32 v6, 31, v5
	s_mov_b32 s3, 0
	s_delay_alu instid0(VALU_DEP_1) | instskip(NEXT) | instid1(VALU_DEP_1)
	v_lshlrev_b64 v[7:8], 4, v[5:6]
	v_add_co_u32 v7, vcc_lo, s20, v7
	s_delay_alu instid0(VALU_DEP_2) | instskip(SKIP_2) | instid1(VALU_DEP_1)
	v_add_co_ci_u32_e32 v8, vcc_lo, s21, v8, vcc_lo
	global_load_b128 v[8:11], v[7:8], off
	v_lshlrev_b64 v[6:7], 2, v[5:6]
	v_add_co_u32 v6, vcc_lo, s18, v6
	s_delay_alu instid0(VALU_DEP_2)
	v_add_co_ci_u32_e32 v7, vcc_lo, s19, v7, vcc_lo
	global_load_b32 v12, v[6:7], off
	s_waitcnt vmcnt(1)
	v_mul_f64 v[6:7], v[10:11], -v[1:2]
	v_mul_f64 v[10:11], v[3:4], v[10:11]
	s_waitcnt vmcnt(0)
	v_subrev_nc_u32_e32 v12, s27, v12
	s_delay_alu instid0(VALU_DEP_3) | instskip(NEXT) | instid1(VALU_DEP_3)
	v_fma_f64 v[6:7], v[3:4], v[8:9], v[6:7]
	v_fma_f64 v[8:9], v[1:2], v[8:9], v[10:11]
	s_delay_alu instid0(VALU_DEP_3) | instskip(NEXT) | instid1(VALU_DEP_1)
	v_mul_lo_u32 v10, 0x89, v12
	v_and_b32_e32 v13, 0xfff, v10
	s_branch .LBB78_42
.LBB78_41:                              ;   in Loop: Header=BB78_42 Depth=2
	s_or_b32 exec_lo, exec_lo, s4
	s_xor_b32 s4, s5, -1
	s_delay_alu instid0(SALU_CYCLE_1) | instskip(NEXT) | instid1(SALU_CYCLE_1)
	s_and_b32 s4, exec_lo, s4
	s_or_b32 s3, s4, s3
	s_delay_alu instid0(SALU_CYCLE_1)
	s_and_not1_b32 exec_lo, exec_lo, s3
	s_cbranch_execz .LBB78_39
.LBB78_42:                              ;   Parent Loop BB78_40 Depth=1
                                        ; =>  This Loop Header: Depth=2
                                        ;       Child Loop BB78_48 Depth 3
                                        ;       Child Loop BB78_50 Depth 3
	;; [unrolled: 1-line block ×4, first 2 shown]
	s_delay_alu instid0(VALU_DEP_1)
	v_lshl_add_u32 v10, v13, 2, 0
	s_mov_b32 s4, exec_lo
                                        ; implicit-def: $sgpr5
	ds_load_b32 v11, v10
	s_waitcnt lgkmcnt(0)
	v_cmpx_ne_u32_e64 v11, v12
	s_xor_b32 s4, exec_lo, s4
	s_cbranch_execz .LBB78_54
; %bb.43:                               ;   in Loop: Header=BB78_42 Depth=2
	s_mov_b32 s6, exec_lo
                                        ; implicit-def: $sgpr5
	v_cmpx_ne_u32_e64 s33, v11
	s_xor_b32 s6, exec_lo, s6
; %bb.44:                               ;   in Loop: Header=BB78_42 Depth=2
	v_add_nc_u32_e32 v10, 1, v13
	s_mov_b32 s5, -1
	s_delay_alu instid0(VALU_DEP_1)
	v_and_b32_e32 v13, 0xfff, v10
                                        ; implicit-def: $vgpr10
; %bb.45:                               ;   in Loop: Header=BB78_42 Depth=2
	s_and_not1_saveexec_b32 s6, s6
	s_cbranch_execz .LBB78_53
; %bb.46:                               ;   in Loop: Header=BB78_42 Depth=2
	v_mov_b32_e32 v11, s33
	s_mov_b32 s8, -1
	s_mov_b32 s7, exec_lo
	ds_cmpstore_rtn_b32 v11, v10, v12, v11
	s_waitcnt lgkmcnt(0)
	v_cmpx_eq_u32_e64 s33, v11
	s_cbranch_execz .LBB78_52
; %bb.47:                               ;   in Loop: Header=BB78_42 Depth=2
	v_mul_lo_u32 v11, v13, 12
	s_mov_b32 s8, 0
	s_delay_alu instid0(VALU_DEP_1)
	v_add_nc_u32_e32 v14, v10, v11
	ds_load_b64 v[10:11], v14 offset:16384
.LBB78_48:                              ;   Parent Loop BB78_40 Depth=1
                                        ;     Parent Loop BB78_42 Depth=2
                                        ; =>    This Inner Loop Header: Depth=3
	s_waitcnt lgkmcnt(0)
	v_add_f64 v[15:16], v[10:11], v[6:7]
	ds_cmpstore_rtn_b64 v[15:16], v14, v[15:16], v[10:11] offset:16384
	s_waitcnt lgkmcnt(0)
	v_cmp_eq_u64_e32 vcc_lo, v[15:16], v[10:11]
	v_dual_mov_b32 v10, v15 :: v_dual_mov_b32 v11, v16
	s_or_b32 s8, vcc_lo, s8
	s_delay_alu instid0(SALU_CYCLE_1)
	s_and_not1_b32 exec_lo, exec_lo, s8
	s_cbranch_execnz .LBB78_48
; %bb.49:                               ;   in Loop: Header=BB78_42 Depth=2
	s_or_b32 exec_lo, exec_lo, s8
	ds_load_b64 v[10:11], v14 offset:16392
	s_mov_b32 s8, 0
.LBB78_50:                              ;   Parent Loop BB78_40 Depth=1
                                        ;     Parent Loop BB78_42 Depth=2
                                        ; =>    This Inner Loop Header: Depth=3
	s_waitcnt lgkmcnt(0)
	v_add_f64 v[15:16], v[10:11], v[8:9]
	ds_cmpstore_rtn_b64 v[15:16], v14, v[15:16], v[10:11] offset:16392
	s_waitcnt lgkmcnt(0)
	v_cmp_eq_u64_e32 vcc_lo, v[15:16], v[10:11]
	v_dual_mov_b32 v10, v15 :: v_dual_mov_b32 v11, v16
	s_or_b32 s8, vcc_lo, s8
	s_delay_alu instid0(SALU_CYCLE_1)
	s_and_not1_b32 exec_lo, exec_lo, s8
	s_cbranch_execnz .LBB78_50
; %bb.51:                               ;   in Loop: Header=BB78_42 Depth=2
	s_or_b32 exec_lo, exec_lo, s8
	s_delay_alu instid0(SALU_CYCLE_1)
	s_xor_b32 s8, exec_lo, -1
.LBB78_52:                              ;   in Loop: Header=BB78_42 Depth=2
	s_or_b32 exec_lo, exec_lo, s7
	s_delay_alu instid0(SALU_CYCLE_1) | instskip(SKIP_1) | instid1(SALU_CYCLE_1)
	s_and_not1_b32 s5, s5, exec_lo
	s_and_b32 s7, s8, exec_lo
	s_or_b32 s5, s5, s7
.LBB78_53:                              ;   in Loop: Header=BB78_42 Depth=2
	s_or_b32 exec_lo, exec_lo, s6
	s_delay_alu instid0(SALU_CYCLE_1)
	s_and_b32 s5, s5, exec_lo
                                        ; implicit-def: $vgpr10
.LBB78_54:                              ;   in Loop: Header=BB78_42 Depth=2
	s_and_not1_saveexec_b32 s4, s4
	s_cbranch_execz .LBB78_41
; %bb.55:                               ;   in Loop: Header=BB78_42 Depth=2
	v_mul_lo_u32 v11, v13, 12
	s_mov_b32 s6, 0
	s_delay_alu instid0(VALU_DEP_1)
	v_add_nc_u32_e32 v14, v10, v11
	ds_load_b64 v[10:11], v14 offset:16384
.LBB78_56:                              ;   Parent Loop BB78_40 Depth=1
                                        ;     Parent Loop BB78_42 Depth=2
                                        ; =>    This Inner Loop Header: Depth=3
	s_waitcnt lgkmcnt(0)
	v_add_f64 v[15:16], v[10:11], v[6:7]
	ds_cmpstore_rtn_b64 v[15:16], v14, v[15:16], v[10:11] offset:16384
	s_waitcnt lgkmcnt(0)
	v_cmp_eq_u64_e32 vcc_lo, v[15:16], v[10:11]
	v_dual_mov_b32 v10, v15 :: v_dual_mov_b32 v11, v16
	s_or_b32 s6, vcc_lo, s6
	s_delay_alu instid0(SALU_CYCLE_1)
	s_and_not1_b32 exec_lo, exec_lo, s6
	s_cbranch_execnz .LBB78_56
; %bb.57:                               ;   in Loop: Header=BB78_42 Depth=2
	s_or_b32 exec_lo, exec_lo, s6
	ds_load_b64 v[10:11], v14 offset:16392
	s_mov_b32 s6, 0
.LBB78_58:                              ;   Parent Loop BB78_40 Depth=1
                                        ;     Parent Loop BB78_42 Depth=2
                                        ; =>    This Inner Loop Header: Depth=3
	s_waitcnt lgkmcnt(0)
	v_add_f64 v[15:16], v[10:11], v[8:9]
	ds_cmpstore_rtn_b64 v[15:16], v14, v[15:16], v[10:11] offset:16392
	s_waitcnt lgkmcnt(0)
	v_cmp_eq_u64_e32 vcc_lo, v[15:16], v[10:11]
	v_dual_mov_b32 v10, v15 :: v_dual_mov_b32 v11, v16
	s_or_b32 s6, vcc_lo, s6
	s_delay_alu instid0(SALU_CYCLE_1)
	s_and_not1_b32 exec_lo, exec_lo, s6
	s_cbranch_execnz .LBB78_58
; %bb.59:                               ;   in Loop: Header=BB78_42 Depth=2
	s_or_b32 exec_lo, exec_lo, s6
	s_delay_alu instid0(SALU_CYCLE_1)
	s_and_not1_b32 s5, s5, exec_lo
	s_branch .LBB78_41
.LBB78_60:
	s_or_b32 exec_lo, exec_lo, s1
.LBB78_61:
	v_mbcnt_lo_u32_b32 v1, -1, 0
	v_lshlrev_b32_e32 v2, 2, v26
	s_add_i32 s38, 0, 0x1403c
	v_cmp_eq_u32_e32 vcc_lo, 0x3ff, v0
	v_cmp_lt_u32_e64 s0, 63, v0
	v_xor_b32_e32 v1, 63, v1
	v_add3_u32 v3, 0, 0x14000, v2
	v_cmp_lt_u32_e64 s1, 0x7f, v0
	v_cmp_lt_u32_e64 s2, 0xbf, v0
	;; [unrolled: 1-line block ×3, first 2 shown]
	v_lshrrev_b64 v[1:2], v1, -1
	v_cmp_lt_u32_e64 s4, 0x13f, v0
	v_cmp_lt_u32_e64 s5, 0x17f, v0
	;; [unrolled: 1-line block ×11, first 2 shown]
	v_mov_b32_e32 v2, 0
	v_mov_b32_e32 v4, s38
	s_mov_b32 s16, 0
	s_add_i32 s17, 0, 0x14000
	s_add_i32 s18, 0, 0x14004
	;; [unrolled: 1-line block ×15, first 2 shown]
	s_waitcnt lgkmcnt(0)
	s_barrier
	buffer_gl0_inv
	s_branch .LBB78_63
.LBB78_62:                              ;   in Loop: Header=BB78_63 Depth=1
	s_or_b32 exec_lo, exec_lo, s15
	s_waitcnt lgkmcnt(0)
	s_barrier
	buffer_gl0_inv
	ds_load_b32 v5, v4
	v_add_nc_u32_e32 v23, 0x400, v23
	v_add_nc_u32_e32 v25, 0x4000, v25
	;; [unrolled: 1-line block ×3, first 2 shown]
	s_delay_alu instid0(VALU_DEP_3) | instskip(NEXT) | instid1(VALU_DEP_1)
	v_cmp_lt_u32_e64 s15, 0xbff, v23
	s_or_b32 s16, s15, s16
	s_waitcnt lgkmcnt(0)
	v_add_nc_u32_e32 v2, v5, v2
	s_and_not1_b32 exec_lo, exec_lo, s16
	s_cbranch_execz .LBB78_97
.LBB78_63:                              ; =>This Inner Loop Header: Depth=1
	ds_load_b32 v5, v24
	ds_load_2addr_b64 v[6:9], v25 offset1:1
	s_waitcnt lgkmcnt(1)
	v_cmp_gt_i32_e64 s15, s33, v5
	s_waitcnt lgkmcnt(0)
	scratch_store_b128 off, v[6:9], off
	s_waitcnt_vscnt null, 0x0
	s_barrier
	buffer_gl0_inv
	s_bcnt1_i32_b32 s43, s15
	s_delay_alu instid0(SALU_CYCLE_1) | instskip(NEXT) | instid1(VALU_DEP_1)
	v_dual_mov_b32 v7, s43 :: v_dual_and_b32 v6, s15, v1
	v_bcnt_u32_b32 v6, v6, 0
	ds_store_b32 v3, v7
	s_waitcnt lgkmcnt(0)
	s_barrier
	buffer_gl0_inv
	s_and_saveexec_b32 s43, s0
	s_cbranch_execnz .LBB78_80
; %bb.64:                               ;   in Loop: Header=BB78_63 Depth=1
	s_or_b32 exec_lo, exec_lo, s43
	s_and_saveexec_b32 s43, s1
	s_cbranch_execnz .LBB78_81
.LBB78_65:                              ;   in Loop: Header=BB78_63 Depth=1
	s_or_b32 exec_lo, exec_lo, s43
	s_and_saveexec_b32 s43, s2
	s_cbranch_execnz .LBB78_82
.LBB78_66:                              ;   in Loop: Header=BB78_63 Depth=1
	s_or_b32 exec_lo, exec_lo, s43
	s_and_saveexec_b32 s43, s3
	s_cbranch_execnz .LBB78_83
.LBB78_67:                              ;   in Loop: Header=BB78_63 Depth=1
	s_or_b32 exec_lo, exec_lo, s43
	s_and_saveexec_b32 s43, s4
	s_cbranch_execnz .LBB78_84
.LBB78_68:                              ;   in Loop: Header=BB78_63 Depth=1
	s_or_b32 exec_lo, exec_lo, s43
	s_and_saveexec_b32 s43, s5
	s_cbranch_execnz .LBB78_85
.LBB78_69:                              ;   in Loop: Header=BB78_63 Depth=1
	s_or_b32 exec_lo, exec_lo, s43
	s_and_saveexec_b32 s43, s6
	s_cbranch_execnz .LBB78_86
.LBB78_70:                              ;   in Loop: Header=BB78_63 Depth=1
	s_or_b32 exec_lo, exec_lo, s43
	s_and_saveexec_b32 s43, s7
	s_cbranch_execnz .LBB78_87
.LBB78_71:                              ;   in Loop: Header=BB78_63 Depth=1
	s_or_b32 exec_lo, exec_lo, s43
	s_and_saveexec_b32 s43, s8
	s_cbranch_execnz .LBB78_88
.LBB78_72:                              ;   in Loop: Header=BB78_63 Depth=1
	s_or_b32 exec_lo, exec_lo, s43
	s_and_saveexec_b32 s43, s9
	s_cbranch_execnz .LBB78_89
.LBB78_73:                              ;   in Loop: Header=BB78_63 Depth=1
	s_or_b32 exec_lo, exec_lo, s43
	s_and_saveexec_b32 s43, s10
	s_cbranch_execnz .LBB78_90
.LBB78_74:                              ;   in Loop: Header=BB78_63 Depth=1
	s_or_b32 exec_lo, exec_lo, s43
	s_and_saveexec_b32 s43, s11
	s_cbranch_execnz .LBB78_91
.LBB78_75:                              ;   in Loop: Header=BB78_63 Depth=1
	s_or_b32 exec_lo, exec_lo, s43
	s_and_saveexec_b32 s43, s12
	s_cbranch_execnz .LBB78_92
.LBB78_76:                              ;   in Loop: Header=BB78_63 Depth=1
	s_or_b32 exec_lo, exec_lo, s43
	s_and_saveexec_b32 s43, s13
	s_cbranch_execnz .LBB78_93
.LBB78_77:                              ;   in Loop: Header=BB78_63 Depth=1
	s_or_b32 exec_lo, exec_lo, s43
	s_and_saveexec_b32 s43, s14
	s_cbranch_execnz .LBB78_94
.LBB78_78:                              ;   in Loop: Header=BB78_63 Depth=1
	s_or_b32 exec_lo, exec_lo, s43
	s_and_saveexec_b32 s43, s15
	s_cbranch_execnz .LBB78_95
.LBB78_79:                              ;   in Loop: Header=BB78_63 Depth=1
	s_or_b32 exec_lo, exec_lo, s43
	s_and_saveexec_b32 s15, vcc_lo
	s_cbranch_execz .LBB78_62
	s_branch .LBB78_96
.LBB78_80:                              ;   in Loop: Header=BB78_63 Depth=1
	v_mov_b32_e32 v7, s17
	ds_load_b32 v7, v7
	s_waitcnt lgkmcnt(0)
	v_add_nc_u32_e32 v6, v7, v6
	s_or_b32 exec_lo, exec_lo, s43
	s_and_saveexec_b32 s43, s1
	s_cbranch_execz .LBB78_65
.LBB78_81:                              ;   in Loop: Header=BB78_63 Depth=1
	v_mov_b32_e32 v7, s18
	ds_load_b32 v7, v7
	s_waitcnt lgkmcnt(0)
	v_add_nc_u32_e32 v6, v7, v6
	s_or_b32 exec_lo, exec_lo, s43
	s_and_saveexec_b32 s43, s2
	s_cbranch_execz .LBB78_66
.LBB78_82:                              ;   in Loop: Header=BB78_63 Depth=1
	v_mov_b32_e32 v7, s19
	ds_load_b32 v7, v7
	s_waitcnt lgkmcnt(0)
	v_add_nc_u32_e32 v6, v7, v6
	s_or_b32 exec_lo, exec_lo, s43
	s_and_saveexec_b32 s43, s3
	s_cbranch_execz .LBB78_67
.LBB78_83:                              ;   in Loop: Header=BB78_63 Depth=1
	v_mov_b32_e32 v7, s20
	ds_load_b32 v7, v7
	s_waitcnt lgkmcnt(0)
	v_add_nc_u32_e32 v6, v7, v6
	s_or_b32 exec_lo, exec_lo, s43
	s_and_saveexec_b32 s43, s4
	s_cbranch_execz .LBB78_68
.LBB78_84:                              ;   in Loop: Header=BB78_63 Depth=1
	v_mov_b32_e32 v7, s21
	ds_load_b32 v7, v7
	s_waitcnt lgkmcnt(0)
	v_add_nc_u32_e32 v6, v7, v6
	s_or_b32 exec_lo, exec_lo, s43
	s_and_saveexec_b32 s43, s5
	s_cbranch_execz .LBB78_69
.LBB78_85:                              ;   in Loop: Header=BB78_63 Depth=1
	v_mov_b32_e32 v7, s24
	ds_load_b32 v7, v7
	s_waitcnt lgkmcnt(0)
	v_add_nc_u32_e32 v6, v7, v6
	s_or_b32 exec_lo, exec_lo, s43
	s_and_saveexec_b32 s43, s6
	s_cbranch_execz .LBB78_70
.LBB78_86:                              ;   in Loop: Header=BB78_63 Depth=1
	v_mov_b32_e32 v7, s25
	ds_load_b32 v7, v7
	s_waitcnt lgkmcnt(0)
	v_add_nc_u32_e32 v6, v7, v6
	s_or_b32 exec_lo, exec_lo, s43
	s_and_saveexec_b32 s43, s7
	s_cbranch_execz .LBB78_71
.LBB78_87:                              ;   in Loop: Header=BB78_63 Depth=1
	v_mov_b32_e32 v7, s27
	ds_load_b32 v7, v7
	s_waitcnt lgkmcnt(0)
	v_add_nc_u32_e32 v6, v7, v6
	s_or_b32 exec_lo, exec_lo, s43
	s_and_saveexec_b32 s43, s8
	s_cbranch_execz .LBB78_72
.LBB78_88:                              ;   in Loop: Header=BB78_63 Depth=1
	v_mov_b32_e32 v7, s35
	ds_load_b32 v7, v7
	s_waitcnt lgkmcnt(0)
	v_add_nc_u32_e32 v6, v7, v6
	s_or_b32 exec_lo, exec_lo, s43
	s_and_saveexec_b32 s43, s9
	s_cbranch_execz .LBB78_73
.LBB78_89:                              ;   in Loop: Header=BB78_63 Depth=1
	v_mov_b32_e32 v7, s36
	ds_load_b32 v7, v7
	s_waitcnt lgkmcnt(0)
	v_add_nc_u32_e32 v6, v7, v6
	s_or_b32 exec_lo, exec_lo, s43
	s_and_saveexec_b32 s43, s10
	s_cbranch_execz .LBB78_74
.LBB78_90:                              ;   in Loop: Header=BB78_63 Depth=1
	v_mov_b32_e32 v7, s37
	ds_load_b32 v7, v7
	s_waitcnt lgkmcnt(0)
	v_add_nc_u32_e32 v6, v7, v6
	s_or_b32 exec_lo, exec_lo, s43
	s_and_saveexec_b32 s43, s11
	s_cbranch_execz .LBB78_75
.LBB78_91:                              ;   in Loop: Header=BB78_63 Depth=1
	v_mov_b32_e32 v7, s39
	ds_load_b32 v7, v7
	s_waitcnt lgkmcnt(0)
	v_add_nc_u32_e32 v6, v7, v6
	s_or_b32 exec_lo, exec_lo, s43
	s_and_saveexec_b32 s43, s12
	s_cbranch_execz .LBB78_76
.LBB78_92:                              ;   in Loop: Header=BB78_63 Depth=1
	v_mov_b32_e32 v7, s40
	ds_load_b32 v7, v7
	s_waitcnt lgkmcnt(0)
	v_add_nc_u32_e32 v6, v7, v6
	s_or_b32 exec_lo, exec_lo, s43
	s_and_saveexec_b32 s43, s13
	s_cbranch_execz .LBB78_77
.LBB78_93:                              ;   in Loop: Header=BB78_63 Depth=1
	v_mov_b32_e32 v7, s41
	ds_load_b32 v7, v7
	s_waitcnt lgkmcnt(0)
	v_add_nc_u32_e32 v6, v7, v6
	s_or_b32 exec_lo, exec_lo, s43
	s_and_saveexec_b32 s43, s14
	s_cbranch_execz .LBB78_78
.LBB78_94:                              ;   in Loop: Header=BB78_63 Depth=1
	v_mov_b32_e32 v7, s42
	ds_load_b32 v7, v7
	s_waitcnt lgkmcnt(0)
	v_add_nc_u32_e32 v6, v7, v6
	s_or_b32 exec_lo, exec_lo, s43
	s_and_saveexec_b32 s43, s15
	s_cbranch_execz .LBB78_79
.LBB78_95:                              ;   in Loop: Header=BB78_63 Depth=1
	scratch_load_b128 v[7:10], off, off
	v_add3_u32 v11, v2, -1, v6
	s_delay_alu instid0(VALU_DEP_1) | instskip(SKIP_1) | instid1(VALU_DEP_2)
	v_lshlrev_b32_e32 v12, 4, v11
	v_lshl_add_u32 v11, v11, 2, 0
	v_add3_u32 v12, 0, v12, 0x4000
	ds_store_b32 v11, v5
	s_waitcnt vmcnt(0)
	ds_store_2addr_b64 v12, v[7:8], v[9:10] offset1:1
	s_or_b32 exec_lo, exec_lo, s43
	s_and_saveexec_b32 s15, vcc_lo
	s_cbranch_execz .LBB78_62
.LBB78_96:                              ;   in Loop: Header=BB78_63 Depth=1
	v_mov_b32_e32 v5, s38
	ds_store_b32 v5, v6
	s_branch .LBB78_62
.LBB78_97:
	s_or_b32 exec_lo, exec_lo, s16
	s_ashr_i32 s35, s34, 31
	s_mov_b32 s3, exec_lo
	s_lshl_b64 s[0:1], s[34:35], 2
	s_delay_alu instid0(SALU_CYCLE_1) | instskip(SKIP_4) | instid1(SALU_CYCLE_1)
	s_add_u32 s0, s22, s0
	s_addc_u32 s1, s23, s1
	s_load_b64 s[0:1], s[0:1], 0x0
	s_waitcnt lgkmcnt(0)
	s_sub_i32 s2, s1, s0
	v_cmpx_gt_i32_e64 s2, v0
	s_cbranch_execz .LBB78_107
; %bb.98:
	s_sub_i32 s3, s0, s26
	s_sub_i32 s0, s0, s1
	s_and_b32 s1, s2, 7
	s_cmp_lt_u32 s0, -7
	s_mov_b32 s7, 0
	s_cselect_b32 s4, -1, 0
	s_and_b32 s5, s2, -8
	s_cmp_lg_u32 s1, 0
	s_cselect_b32 s6, -1, 0
	s_branch .LBB78_100
.LBB78_99:                              ;   in Loop: Header=BB78_100 Depth=1
	v_mul_lo_u32 v4, v0, 12
	v_add_nc_u32_e32 v0, 0x400, v0
	s_waitcnt lgkmcnt(0)
	v_add_nc_u32_e32 v3, s26, v3
	s_delay_alu instid0(VALU_DEP_3) | instskip(SKIP_4) | instid1(VALU_DEP_2)
	v_add3_u32 v4, v2, v4, 0x4000
	v_ashrrev_i32_e32 v2, 31, v1
	ds_load_2addr_b64 v[4:7], v4 offset1:1
	v_lshlrev_b64 v[8:9], 2, v[1:2]
	v_lshlrev_b64 v[1:2], 4, v[1:2]
	v_add_co_u32 v8, vcc_lo, s28, v8
	s_delay_alu instid0(VALU_DEP_3) | instskip(SKIP_1) | instid1(VALU_DEP_4)
	v_add_co_ci_u32_e32 v9, vcc_lo, s29, v9, vcc_lo
	v_cmp_le_i32_e32 vcc_lo, s2, v0
	v_add_co_u32 v1, s0, s30, v1
	s_delay_alu instid0(VALU_DEP_1)
	v_add_co_ci_u32_e64 v2, s0, s31, v2, s0
	s_or_b32 s7, vcc_lo, s7
	global_store_b32 v[8:9], v3, off
	s_waitcnt lgkmcnt(0)
	global_store_b128 v[1:2], v[4:7], off
	s_and_not1_b32 exec_lo, exec_lo, s7
	s_cbranch_execz .LBB78_107
.LBB78_100:                             ; =>This Loop Header: Depth=1
                                        ;     Child Loop BB78_102 Depth 2
                                        ;     Child Loop BB78_106 Depth 2
	v_lshl_add_u32 v2, v0, 2, 0
	v_mov_b32_e32 v1, s3
	s_and_not1_b32 vcc_lo, exec_lo, s4
	s_mov_b32 s0, 0
	ds_load_b32 v3, v2
	s_cbranch_vccnz .LBB78_104
; %bb.101:                              ;   in Loop: Header=BB78_100 Depth=1
	v_mov_b32_e32 v1, s3
	s_mov_b32 s8, 0
	s_set_inst_prefetch_distance 0x1
	.p2align	6
.LBB78_102:                             ;   Parent Loop BB78_100 Depth=1
                                        ; =>  This Inner Loop Header: Depth=2
	v_mov_b32_e32 v10, s8
	s_add_i32 s0, s0, 8
	s_add_i32 s8, s8, 32
	s_cmp_eq_u32 s5, s0
	ds_load_2addr_b32 v[4:5], v10 offset1:1
	ds_load_2addr_b32 v[6:7], v10 offset0:2 offset1:3
	ds_load_2addr_b32 v[8:9], v10 offset0:4 offset1:5
	ds_load_2addr_b32 v[10:11], v10 offset0:6 offset1:7
	s_waitcnt lgkmcnt(3)
	v_cmp_gt_i32_e32 vcc_lo, v3, v4
	v_cndmask_b32_e64 v4, 0, 1, vcc_lo
	s_waitcnt lgkmcnt(2)
	v_cmp_gt_i32_e32 vcc_lo, v3, v6
	v_cndmask_b32_e64 v6, 0, 1, vcc_lo
	v_cmp_gt_i32_e32 vcc_lo, v3, v5
	v_add_co_ci_u32_e32 v1, vcc_lo, v1, v4, vcc_lo
	s_waitcnt lgkmcnt(1)
	v_cmp_gt_i32_e32 vcc_lo, v3, v8
	v_cndmask_b32_e64 v4, 0, 1, vcc_lo
	v_cmp_gt_i32_e32 vcc_lo, v3, v7
	v_add_co_ci_u32_e32 v1, vcc_lo, v1, v6, vcc_lo
	;; [unrolled: 5-line block ×3, first 2 shown]
	v_cmp_gt_i32_e32 vcc_lo, v3, v11
	s_delay_alu instid0(VALU_DEP_2)
	v_add_co_ci_u32_e32 v1, vcc_lo, v1, v5, vcc_lo
	s_cbranch_scc0 .LBB78_102
; %bb.103:                              ;   in Loop: Header=BB78_100 Depth=1
	s_set_inst_prefetch_distance 0x2
	s_mov_b32 s0, s5
.LBB78_104:                             ;   in Loop: Header=BB78_100 Depth=1
	s_and_not1_b32 vcc_lo, exec_lo, s6
	s_cbranch_vccnz .LBB78_99
; %bb.105:                              ;   in Loop: Header=BB78_100 Depth=1
	s_lshl_b32 s0, s0, 2
	s_mov_b32 s8, s1
	s_add_i32 s0, s0, 0
.LBB78_106:                             ;   Parent Loop BB78_100 Depth=1
                                        ; =>  This Inner Loop Header: Depth=2
	s_delay_alu instid0(SALU_CYCLE_1)
	v_mov_b32_e32 v4, s0
	s_add_i32 s8, s8, -1
	s_add_i32 s0, s0, 4
	s_cmp_lg_u32 s8, 0
	ds_load_b32 v4, v4
	s_waitcnt lgkmcnt(0)
	v_cmp_gt_i32_e32 vcc_lo, v3, v4
	v_add_co_ci_u32_e32 v1, vcc_lo, 0, v1, vcc_lo
	s_cbranch_scc1 .LBB78_106
	s_branch .LBB78_99
.LBB78_107:
	s_nop 0
	s_sendmsg sendmsg(MSG_DEALLOC_VGPRS)
	s_endpgm
	.section	.rodata,"a",@progbits
	.p2align	6, 0x0
	.amdhsa_kernel _ZN9rocsparseL26csrgemm_fill_block_per_rowILj1024ELj64ELj4096ELj137ELj64Eii21rocsparse_complex_numIdEEEvT5_PKS3_S5_NS_24const_host_device_scalarIT6_EEPKT4_S5_PKS7_SB_S5_SD_S8_SB_S5_SD_SB_PS3_PS7_21rocsparse_index_base_SG_SG_SG_bbb
		.amdhsa_group_segment_fixed_size 0
		.amdhsa_private_segment_fixed_size 40
		.amdhsa_kernarg_size 172
		.amdhsa_user_sgpr_count 15
		.amdhsa_user_sgpr_dispatch_ptr 0
		.amdhsa_user_sgpr_queue_ptr 0
		.amdhsa_user_sgpr_kernarg_segment_ptr 1
		.amdhsa_user_sgpr_dispatch_id 0
		.amdhsa_user_sgpr_private_segment_size 0
		.amdhsa_wavefront_size32 1
		.amdhsa_uses_dynamic_stack 0
		.amdhsa_enable_private_segment 1
		.amdhsa_system_sgpr_workgroup_id_x 1
		.amdhsa_system_sgpr_workgroup_id_y 0
		.amdhsa_system_sgpr_workgroup_id_z 0
		.amdhsa_system_sgpr_workgroup_info 0
		.amdhsa_system_vgpr_workitem_id 0
		.amdhsa_next_free_vgpr 32
		.amdhsa_next_free_sgpr 48
		.amdhsa_reserve_vcc 1
		.amdhsa_float_round_mode_32 0
		.amdhsa_float_round_mode_16_64 0
		.amdhsa_float_denorm_mode_32 3
		.amdhsa_float_denorm_mode_16_64 3
		.amdhsa_dx10_clamp 1
		.amdhsa_ieee_mode 1
		.amdhsa_fp16_overflow 0
		.amdhsa_workgroup_processor_mode 1
		.amdhsa_memory_ordered 1
		.amdhsa_forward_progress 0
		.amdhsa_shared_vgpr_count 0
		.amdhsa_exception_fp_ieee_invalid_op 0
		.amdhsa_exception_fp_denorm_src 0
		.amdhsa_exception_fp_ieee_div_zero 0
		.amdhsa_exception_fp_ieee_overflow 0
		.amdhsa_exception_fp_ieee_underflow 0
		.amdhsa_exception_fp_ieee_inexact 0
		.amdhsa_exception_int_div_zero 0
	.end_amdhsa_kernel
	.section	.text._ZN9rocsparseL26csrgemm_fill_block_per_rowILj1024ELj64ELj4096ELj137ELj64Eii21rocsparse_complex_numIdEEEvT5_PKS3_S5_NS_24const_host_device_scalarIT6_EEPKT4_S5_PKS7_SB_S5_SD_S8_SB_S5_SD_SB_PS3_PS7_21rocsparse_index_base_SG_SG_SG_bbb,"axG",@progbits,_ZN9rocsparseL26csrgemm_fill_block_per_rowILj1024ELj64ELj4096ELj137ELj64Eii21rocsparse_complex_numIdEEEvT5_PKS3_S5_NS_24const_host_device_scalarIT6_EEPKT4_S5_PKS7_SB_S5_SD_S8_SB_S5_SD_SB_PS3_PS7_21rocsparse_index_base_SG_SG_SG_bbb,comdat
.Lfunc_end78:
	.size	_ZN9rocsparseL26csrgemm_fill_block_per_rowILj1024ELj64ELj4096ELj137ELj64Eii21rocsparse_complex_numIdEEEvT5_PKS3_S5_NS_24const_host_device_scalarIT6_EEPKT4_S5_PKS7_SB_S5_SD_S8_SB_S5_SD_SB_PS3_PS7_21rocsparse_index_base_SG_SG_SG_bbb, .Lfunc_end78-_ZN9rocsparseL26csrgemm_fill_block_per_rowILj1024ELj64ELj4096ELj137ELj64Eii21rocsparse_complex_numIdEEEvT5_PKS3_S5_NS_24const_host_device_scalarIT6_EEPKT4_S5_PKS7_SB_S5_SD_S8_SB_S5_SD_SB_PS3_PS7_21rocsparse_index_base_SG_SG_SG_bbb
                                        ; -- End function
	.section	.AMDGPU.csdata,"",@progbits
; Kernel info:
; codeLenInByte = 4284
; NumSgprs: 50
; NumVgprs: 32
; ScratchSize: 40
; MemoryBound: 0
; FloatMode: 240
; IeeeMode: 1
; LDSByteSize: 0 bytes/workgroup (compile time only)
; SGPRBlocks: 6
; VGPRBlocks: 3
; NumSGPRsForWavesPerEU: 50
; NumVGPRsForWavesPerEU: 32
; Occupancy: 16
; WaveLimiterHint : 1
; COMPUTE_PGM_RSRC2:SCRATCH_EN: 1
; COMPUTE_PGM_RSRC2:USER_SGPR: 15
; COMPUTE_PGM_RSRC2:TRAP_HANDLER: 0
; COMPUTE_PGM_RSRC2:TGID_X_EN: 1
; COMPUTE_PGM_RSRC2:TGID_Y_EN: 0
; COMPUTE_PGM_RSRC2:TGID_Z_EN: 0
; COMPUTE_PGM_RSRC2:TIDIG_COMP_CNT: 0
	.section	.text._ZN9rocsparseL26csrgemm_fill_block_per_rowILj1024ELj64ELj8192ELj137ELj32Eii21rocsparse_complex_numIdEEEvT5_PKS3_S5_NS_24const_host_device_scalarIT6_EEPKT4_S5_PKS7_SB_S5_SD_S8_SB_S5_SD_SB_PS3_PS7_21rocsparse_index_base_SG_SG_SG_bbb,"axG",@progbits,_ZN9rocsparseL26csrgemm_fill_block_per_rowILj1024ELj64ELj8192ELj137ELj32Eii21rocsparse_complex_numIdEEEvT5_PKS3_S5_NS_24const_host_device_scalarIT6_EEPKT4_S5_PKS7_SB_S5_SD_S8_SB_S5_SD_SB_PS3_PS7_21rocsparse_index_base_SG_SG_SG_bbb,comdat
	.globl	_ZN9rocsparseL26csrgemm_fill_block_per_rowILj1024ELj64ELj8192ELj137ELj32Eii21rocsparse_complex_numIdEEEvT5_PKS3_S5_NS_24const_host_device_scalarIT6_EEPKT4_S5_PKS7_SB_S5_SD_S8_SB_S5_SD_SB_PS3_PS7_21rocsparse_index_base_SG_SG_SG_bbb ; -- Begin function _ZN9rocsparseL26csrgemm_fill_block_per_rowILj1024ELj64ELj8192ELj137ELj32Eii21rocsparse_complex_numIdEEEvT5_PKS3_S5_NS_24const_host_device_scalarIT6_EEPKT4_S5_PKS7_SB_S5_SD_S8_SB_S5_SD_SB_PS3_PS7_21rocsparse_index_base_SG_SG_SG_bbb
	.p2align	8
	.type	_ZN9rocsparseL26csrgemm_fill_block_per_rowILj1024ELj64ELj8192ELj137ELj32Eii21rocsparse_complex_numIdEEEvT5_PKS3_S5_NS_24const_host_device_scalarIT6_EEPKT4_S5_PKS7_SB_S5_SD_S8_SB_S5_SD_SB_PS3_PS7_21rocsparse_index_base_SG_SG_SG_bbb,@function
_ZN9rocsparseL26csrgemm_fill_block_per_rowILj1024ELj64ELj8192ELj137ELj32Eii21rocsparse_complex_numIdEEEvT5_PKS3_S5_NS_24const_host_device_scalarIT6_EEPKT4_S5_PKS7_SB_S5_SD_S8_SB_S5_SD_SB_PS3_PS7_21rocsparse_index_base_SG_SG_SG_bbb: ; @_ZN9rocsparseL26csrgemm_fill_block_per_rowILj1024ELj64ELj8192ELj137ELj32Eii21rocsparse_complex_numIdEEEvT5_PKS3_S5_NS_24const_host_device_scalarIT6_EEPKT4_S5_PKS7_SB_S5_SD_S8_SB_S5_SD_SB_PS3_PS7_21rocsparse_index_base_SG_SG_SG_bbb
; %bb.0:
	s_clause 0x3
	s_load_b32 s14, s[0:1], 0xa8
	s_load_b256 s[4:11], s[0:1], 0x8
	s_load_b128 s[16:19], s[0:1], 0x58
	s_load_b128 s[36:39], s[0:1], 0x98
	v_mov_b32_e32 v1, 0
	v_mov_b32_e32 v2, 0
	s_waitcnt lgkmcnt(0)
	s_bitcmp1_b32 s14, 0
	v_mov_b32_e32 v3, s8
	s_cselect_b32 s3, -1, 0
	s_bitcmp1_b32 s14, 16
	v_dual_mov_b32 v6, v2 :: v_dual_mov_b32 v5, v1
	s_cselect_b32 s2, -1, 0
	v_mov_b32_e32 v4, s9
	s_xor_b32 s13, s2, -1
	v_dual_mov_b32 v9, s16 :: v_dual_mov_b32 v10, s17
	v_cndmask_b32_e64 v7, 0, 1, s13
	s_bitcmp0_b32 s14, 0
	s_clause 0x1
	scratch_store_b64 off, v[3:4], off offset:16
	scratch_store_b64 off, v[9:10], off offset:24
	v_cmp_ne_u32_e32 vcc_lo, 1, v7
	v_dual_mov_b32 v8, v2 :: v_dual_mov_b32 v7, v1
	s_cbranch_scc1 .LBB79_3
; %bb.1:
	s_mov_b64 s[20:21], src_private_base
	s_and_b32 s12, s2, exec_lo
	s_cselect_b32 s12, s21, s9
	s_delay_alu instid0(SALU_CYCLE_1) | instskip(SKIP_2) | instid1(VALU_DEP_2)
	v_dual_mov_b32 v3, 16 :: v_dual_mov_b32 v4, s12
	v_dual_mov_b32 v7, s10 :: v_dual_mov_b32 v8, s11
	s_and_b32 vcc_lo, exec_lo, vcc_lo
	v_cndmask_b32_e64 v3, s8, v3, s2
	flat_load_b64 v[5:6], v[3:4]
	s_cbranch_vccnz .LBB79_3
; %bb.2:
	v_dual_mov_b32 v3, s8 :: v_dual_mov_b32 v4, s9
	flat_load_b64 v[7:8], v[3:4] offset:8
.LBB79_3:
	s_bitcmp1_b32 s14, 8
	v_dual_mov_b32 v4, v2 :: v_dual_mov_b32 v3, v1
	s_cselect_b32 s12, -1, 0
	s_bfe_u32 s8, s14, 0x10008
	s_delay_alu instid0(SALU_CYCLE_1)
	s_cmp_eq_u32 s8, 0
	s_cbranch_scc1 .LBB79_6
; %bb.4:
	s_mov_b64 s[8:9], src_private_base
	s_and_b32 s8, s2, exec_lo
	s_cselect_b32 s8, s9, s17
	s_delay_alu instid0(SALU_CYCLE_1) | instskip(SKIP_1) | instid1(VALU_DEP_1)
	v_dual_mov_b32 v1, 24 :: v_dual_mov_b32 v2, s8
	s_and_not1_b32 vcc_lo, exec_lo, s13
	v_cndmask_b32_e64 v1, s16, v1, s2
	flat_load_b64 v[3:4], v[1:2]
	v_dual_mov_b32 v1, s18 :: v_dual_mov_b32 v2, s19
	s_cbranch_vccnz .LBB79_6
; %bb.5:
	v_dual_mov_b32 v1, s16 :: v_dual_mov_b32 v2, s17
	flat_load_b64 v[1:2], v[1:2] offset:8
.LBB79_6:
	s_load_b32 s33, s[0:1], 0x0
	s_mov_b32 s8, 0
	v_lshl_add_u32 v23, v0, 2, 0
	s_mov_b32 s9, s8
	v_lshlrev_b32_e32 v24, 4, v0
	s_mov_b32 s10, s8
	s_mov_b32 s11, s8
	v_dual_mov_b32 v10, s9 :: v_dual_mov_b32 v9, s8
	s_delay_alu instid0(VALU_DEP_2) | instskip(SKIP_2) | instid1(VALU_DEP_3)
	v_add3_u32 v14, 0, 0x8000, v24
	v_mad_u32_u24 v13, v0, 12, v23
	v_dual_mov_b32 v12, s11 :: v_dual_mov_b32 v11, s10
	v_add_nc_u32_e32 v17, 0x8000, v14
	s_delay_alu instid0(VALU_DEP_3)
	v_add_nc_u32_e32 v15, 0x8000, v13
	v_mad_i32_i24 v13, v0, -12, v13
	s_waitcnt lgkmcnt(0)
	v_dual_mov_b32 v19, s33 :: v_dual_add_nc_u32 v16, 0x4000, v14
	v_mov_b32_e32 v18, s33
	v_dual_mov_b32 v20, s33 :: v_dual_mov_b32 v21, s33
	v_dual_mov_b32 v22, s33 :: v_dual_mov_b32 v25, s33
	ds_store_b32 v23, v18
	ds_store_2addr_b64 v15, v[9:10], v[11:12] offset1:1
	ds_store_2addr_stride64_b32 v13, v19, v20 offset0:16 offset1:32
	ds_store_2addr_b64 v16, v[9:10], v[11:12] offset1:1
	ds_store_2addr_b64 v17, v[9:10], v[11:12] offset1:1
	v_add_nc_u32_e32 v15, 0xc000, v14
	v_dual_mov_b32 v17, s33 :: v_dual_add_nc_u32 v16, 0x10000, v14
	v_add_nc_u32_e32 v18, 0x14000, v14
	v_add_nc_u32_e32 v20, 0x18000, v14
	;; [unrolled: 1-line block ×3, first 2 shown]
	ds_store_2addr_stride64_b32 v13, v21, v22 offset0:48 offset1:64
	ds_store_2addr_b64 v15, v[9:10], v[11:12] offset1:1
	ds_store_2addr_b64 v16, v[9:10], v[11:12] offset1:1
	ds_store_2addr_stride64_b32 v13, v17, v19 offset0:80 offset1:96
	ds_store_2addr_b64 v18, v[9:10], v[11:12] offset1:1
	ds_store_2addr_b64 v20, v[9:10], v[11:12] offset1:1
	ds_store_b32 v13, v25 offset:28672
	ds_store_2addr_b64 v14, v[9:10], v[11:12] offset1:1
	s_waitcnt vmcnt(0) lgkmcnt(0)
	s_waitcnt_vscnt null, 0x0
	s_barrier
	buffer_gl0_inv
	s_load_b32 s2, s[4:5], 0x0
	s_mov_b32 s5, s8
	s_waitcnt lgkmcnt(0)
	s_add_i32 s4, s2, s15
	s_delay_alu instid0(SALU_CYCLE_1) | instskip(NEXT) | instid1(SALU_CYCLE_1)
	s_lshl_b64 s[4:5], s[4:5], 2
	s_add_u32 s4, s6, s4
	s_addc_u32 s5, s7, s5
	s_and_not1_b32 vcc_lo, exec_lo, s3
	s_load_b32 s34, s[4:5], 0x0
	s_cbranch_vccnz .LBB79_34
; %bb.7:
	s_load_b64 s[2:3], s[0:1], 0x28
	s_waitcnt lgkmcnt(0)
	s_ashr_i32 s35, s34, 31
	v_lshrrev_b32_e32 v9, 6, v0
	s_lshl_b64 s[4:5], s[34:35], 2
	s_mov_b32 s14, exec_lo
	s_delay_alu instid0(VALU_DEP_1)
	v_subrev_nc_u32_e32 v9, s36, v9
	s_add_u32 s2, s2, s4
	s_addc_u32 s3, s3, s5
	s_load_b64 s[2:3], s[2:3], 0x0
	s_waitcnt lgkmcnt(0)
	v_add_nc_u32_e32 v9, s2, v9
	s_sub_i32 s13, s3, s36
	s_delay_alu instid0(VALU_DEP_1) | instid1(SALU_CYCLE_1)
	v_cmpx_gt_i32_e64 s13, v9
	s_cbranch_execz .LBB79_33
; %bb.8:
	s_clause 0x1
	s_load_b64 s[2:3], s[0:1], 0x50
	s_load_b256 s[4:11], s[0:1], 0x30
	v_and_b32_e32 v10, 63, v0
	s_mov_b32 s15, 0
	s_delay_alu instid0(VALU_DEP_1)
	v_subrev_nc_u32_e32 v25, s37, v10
	s_branch .LBB79_10
.LBB79_9:                               ;   in Loop: Header=BB79_10 Depth=1
	s_or_b32 exec_lo, exec_lo, s16
	v_add_nc_u32_e32 v9, 16, v9
	s_delay_alu instid0(VALU_DEP_1) | instskip(SKIP_1) | instid1(SALU_CYCLE_1)
	v_cmp_le_i32_e32 vcc_lo, s13, v9
	s_or_b32 s15, vcc_lo, s15
	s_and_not1_b32 exec_lo, exec_lo, s15
	s_cbranch_execz .LBB79_33
.LBB79_10:                              ; =>This Loop Header: Depth=1
                                        ;     Child Loop BB79_13 Depth 2
                                        ;       Child Loop BB79_15 Depth 3
                                        ;         Child Loop BB79_21 Depth 4
                                        ;         Child Loop BB79_23 Depth 4
	;; [unrolled: 1-line block ×4, first 2 shown]
	v_ashrrev_i32_e32 v10, 31, v9
	s_mov_b32 s16, exec_lo
	s_delay_alu instid0(VALU_DEP_1) | instskip(SKIP_1) | instid1(VALU_DEP_1)
	v_lshlrev_b64 v[11:12], 2, v[9:10]
	s_waitcnt lgkmcnt(0)
	v_add_co_u32 v11, vcc_lo, s4, v11
	s_delay_alu instid0(VALU_DEP_2) | instskip(SKIP_3) | instid1(VALU_DEP_1)
	v_add_co_ci_u32_e32 v12, vcc_lo, s5, v12, vcc_lo
	global_load_b32 v11, v[11:12], off
	s_waitcnt vmcnt(0)
	v_subrev_nc_u32_e32 v11, s36, v11
	v_ashrrev_i32_e32 v12, 31, v11
	s_delay_alu instid0(VALU_DEP_1) | instskip(NEXT) | instid1(VALU_DEP_1)
	v_lshlrev_b64 v[11:12], 2, v[11:12]
	v_add_co_u32 v11, vcc_lo, s8, v11
	s_delay_alu instid0(VALU_DEP_2) | instskip(SKIP_4) | instid1(VALU_DEP_1)
	v_add_co_ci_u32_e32 v12, vcc_lo, s9, v12, vcc_lo
	global_load_b64 v[11:12], v[11:12], off
	s_waitcnt vmcnt(0)
	v_subrev_nc_u32_e32 v26, s37, v12
	v_add_nc_u32_e32 v11, v11, v25
	v_cmpx_lt_i32_e64 v11, v26
	s_cbranch_execz .LBB79_9
; %bb.11:                               ;   in Loop: Header=BB79_10 Depth=1
	v_lshlrev_b64 v[12:13], 4, v[9:10]
	s_mov_b32 s17, 0
	s_delay_alu instid0(VALU_DEP_1) | instskip(NEXT) | instid1(VALU_DEP_2)
	v_add_co_u32 v12, vcc_lo, s6, v12
	v_add_co_ci_u32_e32 v13, vcc_lo, s7, v13, vcc_lo
	global_load_b128 v[15:18], v[12:13], off
	s_waitcnt vmcnt(0)
	v_mul_f64 v[12:13], v[17:18], -v[7:8]
	v_mul_f64 v[17:18], v[5:6], v[17:18]
	s_delay_alu instid0(VALU_DEP_2) | instskip(NEXT) | instid1(VALU_DEP_2)
	v_fma_f64 v[13:14], v[5:6], v[15:16], v[12:13]
	v_fma_f64 v[15:16], v[7:8], v[15:16], v[17:18]
	s_branch .LBB79_13
.LBB79_12:                              ;   in Loop: Header=BB79_13 Depth=2
	s_or_b32 exec_lo, exec_lo, s18
	v_add_nc_u32_e32 v11, 64, v11
	s_delay_alu instid0(VALU_DEP_1) | instskip(SKIP_1) | instid1(SALU_CYCLE_1)
	v_cmp_ge_i32_e32 vcc_lo, v11, v26
	s_or_b32 s17, vcc_lo, s17
	s_and_not1_b32 exec_lo, exec_lo, s17
	s_cbranch_execz .LBB79_9
.LBB79_13:                              ;   Parent Loop BB79_10 Depth=1
                                        ; =>  This Loop Header: Depth=2
                                        ;       Child Loop BB79_15 Depth 3
                                        ;         Child Loop BB79_21 Depth 4
                                        ;         Child Loop BB79_23 Depth 4
	;; [unrolled: 1-line block ×4, first 2 shown]
	v_ashrrev_i32_e32 v12, 31, v11
	s_mov_b32 s18, 0
	s_delay_alu instid0(VALU_DEP_1) | instskip(NEXT) | instid1(VALU_DEP_1)
	v_lshlrev_b64 v[17:18], 4, v[11:12]
	v_add_co_u32 v17, vcc_lo, s2, v17
	s_delay_alu instid0(VALU_DEP_2) | instskip(SKIP_2) | instid1(VALU_DEP_1)
	v_add_co_ci_u32_e32 v18, vcc_lo, s3, v18, vcc_lo
	global_load_b128 v[19:22], v[17:18], off
	v_lshlrev_b64 v[17:18], 2, v[11:12]
	v_add_co_u32 v17, vcc_lo, s10, v17
	s_delay_alu instid0(VALU_DEP_2)
	v_add_co_ci_u32_e32 v18, vcc_lo, s11, v18, vcc_lo
	global_load_b32 v10, v[17:18], off
	s_waitcnt vmcnt(1)
	v_mul_f64 v[17:18], v[21:22], -v[15:16]
	v_mul_f64 v[21:22], v[13:14], v[21:22]
	s_waitcnt vmcnt(0)
	v_subrev_nc_u32_e32 v10, s37, v10
	s_delay_alu instid0(VALU_DEP_1) | instskip(NEXT) | instid1(VALU_DEP_1)
	v_mul_lo_u32 v12, 0x89, v10
	v_and_b32_e32 v12, 0x1fff, v12
	v_fma_f64 v[17:18], v[13:14], v[19:20], v[17:18]
	v_fma_f64 v[19:20], v[15:16], v[19:20], v[21:22]
	s_branch .LBB79_15
.LBB79_14:                              ;   in Loop: Header=BB79_15 Depth=3
	s_or_b32 exec_lo, exec_lo, s19
	s_xor_b32 s19, s20, -1
	s_delay_alu instid0(SALU_CYCLE_1) | instskip(NEXT) | instid1(SALU_CYCLE_1)
	s_and_b32 s19, exec_lo, s19
	s_or_b32 s18, s19, s18
	s_delay_alu instid0(SALU_CYCLE_1)
	s_and_not1_b32 exec_lo, exec_lo, s18
	s_cbranch_execz .LBB79_12
.LBB79_15:                              ;   Parent Loop BB79_10 Depth=1
                                        ;     Parent Loop BB79_13 Depth=2
                                        ; =>    This Loop Header: Depth=3
                                        ;         Child Loop BB79_21 Depth 4
                                        ;         Child Loop BB79_23 Depth 4
	;; [unrolled: 1-line block ×4, first 2 shown]
	s_delay_alu instid0(VALU_DEP_3)
	v_lshl_add_u32 v21, v12, 2, 0
	s_mov_b32 s19, exec_lo
                                        ; implicit-def: $sgpr20
	ds_load_b32 v22, v21
	s_waitcnt lgkmcnt(0)
	v_cmpx_ne_u32_e64 v22, v10
	s_xor_b32 s19, exec_lo, s19
	s_cbranch_execz .LBB79_27
; %bb.16:                               ;   in Loop: Header=BB79_15 Depth=3
	s_mov_b32 s21, exec_lo
                                        ; implicit-def: $sgpr20
	v_cmpx_ne_u32_e64 s33, v22
	s_xor_b32 s21, exec_lo, s21
; %bb.17:                               ;   in Loop: Header=BB79_15 Depth=3
	v_add_nc_u32_e32 v12, 1, v12
	s_mov_b32 s20, -1
                                        ; implicit-def: $vgpr21
	s_delay_alu instid0(VALU_DEP_1)
	v_and_b32_e32 v12, 0x1fff, v12
; %bb.18:                               ;   in Loop: Header=BB79_15 Depth=3
	s_and_not1_saveexec_b32 s21, s21
	s_cbranch_execz .LBB79_26
; %bb.19:                               ;   in Loop: Header=BB79_15 Depth=3
	v_mov_b32_e32 v22, s33
	s_mov_b32 s23, -1
	s_mov_b32 s22, exec_lo
	ds_cmpstore_rtn_b32 v22, v21, v10, v22
	s_waitcnt lgkmcnt(0)
	v_cmpx_eq_u32_e64 s33, v22
	s_cbranch_execz .LBB79_25
; %bb.20:                               ;   in Loop: Header=BB79_15 Depth=3
	v_mul_lo_u32 v22, v12, 12
	s_mov_b32 s23, 0
	s_delay_alu instid0(VALU_DEP_1)
	v_add_nc_u32_e32 v27, v21, v22
	ds_load_b64 v[21:22], v27 offset:32768
.LBB79_21:                              ;   Parent Loop BB79_10 Depth=1
                                        ;     Parent Loop BB79_13 Depth=2
                                        ;       Parent Loop BB79_15 Depth=3
                                        ; =>      This Inner Loop Header: Depth=4
	s_waitcnt lgkmcnt(0)
	v_add_f64 v[28:29], v[21:22], v[17:18]
	ds_cmpstore_rtn_b64 v[28:29], v27, v[28:29], v[21:22] offset:32768
	s_waitcnt lgkmcnt(0)
	v_cmp_eq_u64_e32 vcc_lo, v[28:29], v[21:22]
	v_dual_mov_b32 v21, v28 :: v_dual_mov_b32 v22, v29
	s_or_b32 s23, vcc_lo, s23
	s_delay_alu instid0(SALU_CYCLE_1)
	s_and_not1_b32 exec_lo, exec_lo, s23
	s_cbranch_execnz .LBB79_21
; %bb.22:                               ;   in Loop: Header=BB79_15 Depth=3
	s_or_b32 exec_lo, exec_lo, s23
	ds_load_b64 v[21:22], v27 offset:32776
	s_mov_b32 s23, 0
.LBB79_23:                              ;   Parent Loop BB79_10 Depth=1
                                        ;     Parent Loop BB79_13 Depth=2
                                        ;       Parent Loop BB79_15 Depth=3
                                        ; =>      This Inner Loop Header: Depth=4
	s_waitcnt lgkmcnt(0)
	v_add_f64 v[28:29], v[21:22], v[19:20]
	ds_cmpstore_rtn_b64 v[28:29], v27, v[28:29], v[21:22] offset:32776
	s_waitcnt lgkmcnt(0)
	v_cmp_eq_u64_e32 vcc_lo, v[28:29], v[21:22]
	v_dual_mov_b32 v21, v28 :: v_dual_mov_b32 v22, v29
	s_or_b32 s23, vcc_lo, s23
	s_delay_alu instid0(SALU_CYCLE_1)
	s_and_not1_b32 exec_lo, exec_lo, s23
	s_cbranch_execnz .LBB79_23
; %bb.24:                               ;   in Loop: Header=BB79_15 Depth=3
	s_or_b32 exec_lo, exec_lo, s23
	s_delay_alu instid0(SALU_CYCLE_1)
	s_xor_b32 s23, exec_lo, -1
.LBB79_25:                              ;   in Loop: Header=BB79_15 Depth=3
	s_or_b32 exec_lo, exec_lo, s22
	s_delay_alu instid0(SALU_CYCLE_1) | instskip(SKIP_1) | instid1(SALU_CYCLE_1)
	s_and_not1_b32 s20, s20, exec_lo
	s_and_b32 s22, s23, exec_lo
	s_or_b32 s20, s20, s22
.LBB79_26:                              ;   in Loop: Header=BB79_15 Depth=3
	s_or_b32 exec_lo, exec_lo, s21
	s_delay_alu instid0(SALU_CYCLE_1)
	s_and_b32 s20, s20, exec_lo
                                        ; implicit-def: $vgpr21
.LBB79_27:                              ;   in Loop: Header=BB79_15 Depth=3
	s_and_not1_saveexec_b32 s19, s19
	s_cbranch_execz .LBB79_14
; %bb.28:                               ;   in Loop: Header=BB79_15 Depth=3
	v_mul_lo_u32 v22, v12, 12
	s_mov_b32 s21, 0
	s_delay_alu instid0(VALU_DEP_1)
	v_add_nc_u32_e32 v27, v21, v22
	ds_load_b64 v[21:22], v27 offset:32768
.LBB79_29:                              ;   Parent Loop BB79_10 Depth=1
                                        ;     Parent Loop BB79_13 Depth=2
                                        ;       Parent Loop BB79_15 Depth=3
                                        ; =>      This Inner Loop Header: Depth=4
	s_waitcnt lgkmcnt(0)
	v_add_f64 v[28:29], v[21:22], v[17:18]
	ds_cmpstore_rtn_b64 v[28:29], v27, v[28:29], v[21:22] offset:32768
	s_waitcnt lgkmcnt(0)
	v_cmp_eq_u64_e32 vcc_lo, v[28:29], v[21:22]
	v_dual_mov_b32 v21, v28 :: v_dual_mov_b32 v22, v29
	s_or_b32 s21, vcc_lo, s21
	s_delay_alu instid0(SALU_CYCLE_1)
	s_and_not1_b32 exec_lo, exec_lo, s21
	s_cbranch_execnz .LBB79_29
; %bb.30:                               ;   in Loop: Header=BB79_15 Depth=3
	s_or_b32 exec_lo, exec_lo, s21
	ds_load_b64 v[21:22], v27 offset:32776
	s_mov_b32 s21, 0
.LBB79_31:                              ;   Parent Loop BB79_10 Depth=1
                                        ;     Parent Loop BB79_13 Depth=2
                                        ;       Parent Loop BB79_15 Depth=3
                                        ; =>      This Inner Loop Header: Depth=4
	s_waitcnt lgkmcnt(0)
	v_add_f64 v[28:29], v[21:22], v[19:20]
	ds_cmpstore_rtn_b64 v[28:29], v27, v[28:29], v[21:22] offset:32776
	s_waitcnt lgkmcnt(0)
	v_cmp_eq_u64_e32 vcc_lo, v[28:29], v[21:22]
	v_dual_mov_b32 v21, v28 :: v_dual_mov_b32 v22, v29
	s_or_b32 s21, vcc_lo, s21
	s_delay_alu instid0(SALU_CYCLE_1)
	s_and_not1_b32 exec_lo, exec_lo, s21
	s_cbranch_execnz .LBB79_31
; %bb.32:                               ;   in Loop: Header=BB79_15 Depth=3
	s_or_b32 exec_lo, exec_lo, s21
	s_delay_alu instid0(SALU_CYCLE_1)
	s_and_not1_b32 s20, s20, exec_lo
	s_branch .LBB79_14
.LBB79_33:
	s_or_b32 exec_lo, exec_lo, s14
.LBB79_34:
	s_clause 0x1
	s_load_b64 s[36:37], s[0:1], 0x90
	s_load_b128 s[40:43], s[0:1], 0x80
	s_and_not1_b32 vcc_lo, exec_lo, s12
	s_cbranch_vccnz .LBB79_59
; %bb.35:
	s_load_b64 s[2:3], s[0:1], 0x68
	s_waitcnt lgkmcnt(0)
	s_ashr_i32 s35, s34, 31
	v_subrev_nc_u32_e32 v5, s39, v0
	s_lshl_b64 s[4:5], s[34:35], 2
	s_delay_alu instid0(SALU_CYCLE_1)
	s_add_u32 s2, s2, s4
	s_addc_u32 s3, s3, s5
	s_mov_b32 s5, exec_lo
	s_load_b64 s[2:3], s[2:3], 0x0
	s_waitcnt lgkmcnt(0)
	v_add_nc_u32_e32 v5, s2, v5
	s_sub_i32 s4, s3, s39
	s_delay_alu instid0(VALU_DEP_1) | instid1(SALU_CYCLE_1)
	v_cmpx_gt_i32_e64 s4, v5
	s_cbranch_execz .LBB79_58
; %bb.36:
	s_load_b128 s[0:3], s[0:1], 0x70
	s_mov_b32 s6, 0
	s_branch .LBB79_38
.LBB79_37:                              ;   in Loop: Header=BB79_38 Depth=1
	s_or_b32 exec_lo, exec_lo, s7
	v_add_nc_u32_e32 v5, 0x400, v5
	s_delay_alu instid0(VALU_DEP_1) | instskip(SKIP_1) | instid1(SALU_CYCLE_1)
	v_cmp_le_i32_e32 vcc_lo, s4, v5
	s_or_b32 s6, vcc_lo, s6
	s_and_not1_b32 exec_lo, exec_lo, s6
	s_cbranch_execz .LBB79_58
.LBB79_38:                              ; =>This Loop Header: Depth=1
                                        ;     Child Loop BB79_40 Depth 2
                                        ;       Child Loop BB79_46 Depth 3
                                        ;       Child Loop BB79_48 Depth 3
	;; [unrolled: 1-line block ×4, first 2 shown]
	v_ashrrev_i32_e32 v6, 31, v5
	s_mov_b32 s7, 0
	s_delay_alu instid0(VALU_DEP_1) | instskip(SKIP_1) | instid1(VALU_DEP_1)
	v_lshlrev_b64 v[7:8], 4, v[5:6]
	s_waitcnt lgkmcnt(0)
	v_add_co_u32 v7, vcc_lo, s2, v7
	s_delay_alu instid0(VALU_DEP_2) | instskip(SKIP_2) | instid1(VALU_DEP_1)
	v_add_co_ci_u32_e32 v8, vcc_lo, s3, v8, vcc_lo
	global_load_b128 v[8:11], v[7:8], off
	v_lshlrev_b64 v[6:7], 2, v[5:6]
	v_add_co_u32 v6, vcc_lo, s0, v6
	s_delay_alu instid0(VALU_DEP_2)
	v_add_co_ci_u32_e32 v7, vcc_lo, s1, v7, vcc_lo
	global_load_b32 v12, v[6:7], off
	s_waitcnt vmcnt(1)
	v_mul_f64 v[6:7], v[10:11], -v[1:2]
	v_mul_f64 v[10:11], v[3:4], v[10:11]
	s_waitcnt vmcnt(0)
	v_subrev_nc_u32_e32 v12, s39, v12
	s_delay_alu instid0(VALU_DEP_3) | instskip(NEXT) | instid1(VALU_DEP_3)
	v_fma_f64 v[6:7], v[3:4], v[8:9], v[6:7]
	v_fma_f64 v[8:9], v[1:2], v[8:9], v[10:11]
	s_delay_alu instid0(VALU_DEP_3) | instskip(NEXT) | instid1(VALU_DEP_1)
	v_mul_lo_u32 v10, 0x89, v12
	v_and_b32_e32 v13, 0x1fff, v10
	s_branch .LBB79_40
.LBB79_39:                              ;   in Loop: Header=BB79_40 Depth=2
	s_or_b32 exec_lo, exec_lo, s8
	s_xor_b32 s8, s9, -1
	s_delay_alu instid0(SALU_CYCLE_1) | instskip(NEXT) | instid1(SALU_CYCLE_1)
	s_and_b32 s8, exec_lo, s8
	s_or_b32 s7, s8, s7
	s_delay_alu instid0(SALU_CYCLE_1)
	s_and_not1_b32 exec_lo, exec_lo, s7
	s_cbranch_execz .LBB79_37
.LBB79_40:                              ;   Parent Loop BB79_38 Depth=1
                                        ; =>  This Loop Header: Depth=2
                                        ;       Child Loop BB79_46 Depth 3
                                        ;       Child Loop BB79_48 Depth 3
	;; [unrolled: 1-line block ×4, first 2 shown]
	s_delay_alu instid0(VALU_DEP_1)
	v_lshl_add_u32 v10, v13, 2, 0
	s_mov_b32 s8, exec_lo
                                        ; implicit-def: $sgpr9
	ds_load_b32 v11, v10
	s_waitcnt lgkmcnt(0)
	v_cmpx_ne_u32_e64 v11, v12
	s_xor_b32 s8, exec_lo, s8
	s_cbranch_execz .LBB79_52
; %bb.41:                               ;   in Loop: Header=BB79_40 Depth=2
	s_mov_b32 s10, exec_lo
                                        ; implicit-def: $sgpr9
	v_cmpx_ne_u32_e64 s33, v11
	s_xor_b32 s10, exec_lo, s10
; %bb.42:                               ;   in Loop: Header=BB79_40 Depth=2
	v_add_nc_u32_e32 v10, 1, v13
	s_mov_b32 s9, -1
	s_delay_alu instid0(VALU_DEP_1)
	v_and_b32_e32 v13, 0x1fff, v10
                                        ; implicit-def: $vgpr10
; %bb.43:                               ;   in Loop: Header=BB79_40 Depth=2
	s_and_not1_saveexec_b32 s10, s10
	s_cbranch_execz .LBB79_51
; %bb.44:                               ;   in Loop: Header=BB79_40 Depth=2
	v_mov_b32_e32 v11, s33
	s_mov_b32 s12, -1
	s_mov_b32 s11, exec_lo
	ds_cmpstore_rtn_b32 v11, v10, v12, v11
	s_waitcnt lgkmcnt(0)
	v_cmpx_eq_u32_e64 s33, v11
	s_cbranch_execz .LBB79_50
; %bb.45:                               ;   in Loop: Header=BB79_40 Depth=2
	v_mul_lo_u32 v11, v13, 12
	s_mov_b32 s12, 0
	s_delay_alu instid0(VALU_DEP_1)
	v_add_nc_u32_e32 v14, v10, v11
	ds_load_b64 v[10:11], v14 offset:32768
.LBB79_46:                              ;   Parent Loop BB79_38 Depth=1
                                        ;     Parent Loop BB79_40 Depth=2
                                        ; =>    This Inner Loop Header: Depth=3
	s_waitcnt lgkmcnt(0)
	v_add_f64 v[15:16], v[10:11], v[6:7]
	ds_cmpstore_rtn_b64 v[15:16], v14, v[15:16], v[10:11] offset:32768
	s_waitcnt lgkmcnt(0)
	v_cmp_eq_u64_e32 vcc_lo, v[15:16], v[10:11]
	v_dual_mov_b32 v10, v15 :: v_dual_mov_b32 v11, v16
	s_or_b32 s12, vcc_lo, s12
	s_delay_alu instid0(SALU_CYCLE_1)
	s_and_not1_b32 exec_lo, exec_lo, s12
	s_cbranch_execnz .LBB79_46
; %bb.47:                               ;   in Loop: Header=BB79_40 Depth=2
	s_or_b32 exec_lo, exec_lo, s12
	ds_load_b64 v[10:11], v14 offset:32776
	s_mov_b32 s12, 0
.LBB79_48:                              ;   Parent Loop BB79_38 Depth=1
                                        ;     Parent Loop BB79_40 Depth=2
                                        ; =>    This Inner Loop Header: Depth=3
	s_waitcnt lgkmcnt(0)
	v_add_f64 v[15:16], v[10:11], v[8:9]
	ds_cmpstore_rtn_b64 v[15:16], v14, v[15:16], v[10:11] offset:32776
	s_waitcnt lgkmcnt(0)
	v_cmp_eq_u64_e32 vcc_lo, v[15:16], v[10:11]
	v_dual_mov_b32 v10, v15 :: v_dual_mov_b32 v11, v16
	s_or_b32 s12, vcc_lo, s12
	s_delay_alu instid0(SALU_CYCLE_1)
	s_and_not1_b32 exec_lo, exec_lo, s12
	s_cbranch_execnz .LBB79_48
; %bb.49:                               ;   in Loop: Header=BB79_40 Depth=2
	s_or_b32 exec_lo, exec_lo, s12
	s_delay_alu instid0(SALU_CYCLE_1)
	s_xor_b32 s12, exec_lo, -1
.LBB79_50:                              ;   in Loop: Header=BB79_40 Depth=2
	s_or_b32 exec_lo, exec_lo, s11
	s_delay_alu instid0(SALU_CYCLE_1) | instskip(SKIP_1) | instid1(SALU_CYCLE_1)
	s_and_not1_b32 s9, s9, exec_lo
	s_and_b32 s11, s12, exec_lo
	s_or_b32 s9, s9, s11
.LBB79_51:                              ;   in Loop: Header=BB79_40 Depth=2
	s_or_b32 exec_lo, exec_lo, s10
	s_delay_alu instid0(SALU_CYCLE_1)
	s_and_b32 s9, s9, exec_lo
                                        ; implicit-def: $vgpr10
.LBB79_52:                              ;   in Loop: Header=BB79_40 Depth=2
	s_and_not1_saveexec_b32 s8, s8
	s_cbranch_execz .LBB79_39
; %bb.53:                               ;   in Loop: Header=BB79_40 Depth=2
	v_mul_lo_u32 v11, v13, 12
	s_mov_b32 s10, 0
	s_delay_alu instid0(VALU_DEP_1)
	v_add_nc_u32_e32 v14, v10, v11
	ds_load_b64 v[10:11], v14 offset:32768
.LBB79_54:                              ;   Parent Loop BB79_38 Depth=1
                                        ;     Parent Loop BB79_40 Depth=2
                                        ; =>    This Inner Loop Header: Depth=3
	s_waitcnt lgkmcnt(0)
	v_add_f64 v[15:16], v[10:11], v[6:7]
	ds_cmpstore_rtn_b64 v[15:16], v14, v[15:16], v[10:11] offset:32768
	s_waitcnt lgkmcnt(0)
	v_cmp_eq_u64_e32 vcc_lo, v[15:16], v[10:11]
	v_dual_mov_b32 v10, v15 :: v_dual_mov_b32 v11, v16
	s_or_b32 s10, vcc_lo, s10
	s_delay_alu instid0(SALU_CYCLE_1)
	s_and_not1_b32 exec_lo, exec_lo, s10
	s_cbranch_execnz .LBB79_54
; %bb.55:                               ;   in Loop: Header=BB79_40 Depth=2
	s_or_b32 exec_lo, exec_lo, s10
	ds_load_b64 v[10:11], v14 offset:32776
	s_mov_b32 s10, 0
.LBB79_56:                              ;   Parent Loop BB79_38 Depth=1
                                        ;     Parent Loop BB79_40 Depth=2
                                        ; =>    This Inner Loop Header: Depth=3
	s_waitcnt lgkmcnt(0)
	v_add_f64 v[15:16], v[10:11], v[8:9]
	ds_cmpstore_rtn_b64 v[15:16], v14, v[15:16], v[10:11] offset:32776
	s_waitcnt lgkmcnt(0)
	v_cmp_eq_u64_e32 vcc_lo, v[15:16], v[10:11]
	v_dual_mov_b32 v10, v15 :: v_dual_mov_b32 v11, v16
	s_or_b32 s10, vcc_lo, s10
	s_delay_alu instid0(SALU_CYCLE_1)
	s_and_not1_b32 exec_lo, exec_lo, s10
	s_cbranch_execnz .LBB79_56
; %bb.57:                               ;   in Loop: Header=BB79_40 Depth=2
	s_or_b32 exec_lo, exec_lo, s10
	s_delay_alu instid0(SALU_CYCLE_1)
	s_and_not1_b32 s9, s9, exec_lo
	s_branch .LBB79_39
.LBB79_58:
	s_or_b32 exec_lo, exec_lo, s5
.LBB79_59:
	v_mbcnt_lo_u32_b32 v1, -1, 0
	v_lshrrev_b32_e32 v2, 3, v0
	s_add_i32 s70, 0, 0x2807c
	v_cmp_eq_u32_e32 vcc_lo, 0x3ff, v0
	v_cmp_lt_u32_e64 s0, 31, v0
	v_xor_b32_e32 v1, 63, v1
	v_dual_mov_b32 v6, s70 :: v_dual_and_b32 v3, 0x7c, v2
	v_cmp_lt_u32_e64 s1, 63, v0
	v_cmp_lt_u32_e64 s2, 0x5f, v0
	s_delay_alu instid0(VALU_DEP_4) | instskip(NEXT) | instid1(VALU_DEP_4)
	v_lshrrev_b64 v[1:2], v1, -1
	v_add3_u32 v2, 0, 0x28000, v3
	v_cmp_lt_u32_e64 s3, 0x7f, v0
	v_cmp_lt_u32_e64 s4, 0x9f, v0
	;; [unrolled: 1-line block ×28, first 2 shown]
	v_add3_u32 v3, v24, 0, 0x8000
	v_or_b32_e32 v4, 0xfffffc00, v0
	v_mov_b32_e32 v5, 0
	s_mov_b32 s35, 0
	s_add_i32 s39, 0, 0x28000
	s_add_i32 s44, 0, 0x28004
	;; [unrolled: 1-line block ×31, first 2 shown]
	s_waitcnt lgkmcnt(0)
	s_barrier
	buffer_gl0_inv
	s_branch .LBB79_61
.LBB79_60:                              ;   in Loop: Header=BB79_61 Depth=1
	s_or_b32 exec_lo, exec_lo, s31
	s_waitcnt lgkmcnt(0)
	s_barrier
	buffer_gl0_inv
	ds_load_b32 v7, v6
	v_add_nc_u32_e32 v4, 0x400, v4
	v_add_nc_u32_e32 v3, 0x4000, v3
	;; [unrolled: 1-line block ×3, first 2 shown]
	s_delay_alu instid0(VALU_DEP_3) | instskip(NEXT) | instid1(VALU_DEP_1)
	v_cmp_lt_u32_e64 s31, 0x1bff, v4
	s_or_b32 s35, s31, s35
	s_waitcnt lgkmcnt(0)
	v_add_nc_u32_e32 v5, v7, v5
	s_and_not1_b32 exec_lo, exec_lo, s35
	s_cbranch_execz .LBB79_127
.LBB79_61:                              ; =>This Inner Loop Header: Depth=1
	ds_load_b32 v7, v23
	ds_load_2addr_b64 v[8:11], v3 offset1:1
	s_waitcnt lgkmcnt(1)
	v_cmp_gt_i32_e64 s31, s33, v7
	s_waitcnt lgkmcnt(0)
	scratch_store_b128 off, v[8:11], off
	s_waitcnt_vscnt null, 0x0
	s_barrier
	buffer_gl0_inv
	s_bcnt1_i32_b32 s75, s31
	s_delay_alu instid0(SALU_CYCLE_1) | instskip(NEXT) | instid1(VALU_DEP_1)
	v_dual_mov_b32 v9, s75 :: v_dual_and_b32 v8, s31, v1
	v_bcnt_u32_b32 v8, v8, 0
	ds_store_b32 v2, v9
	s_waitcnt lgkmcnt(0)
	s_barrier
	buffer_gl0_inv
	s_and_saveexec_b32 s75, s0
	s_cbranch_execnz .LBB79_94
; %bb.62:                               ;   in Loop: Header=BB79_61 Depth=1
	s_or_b32 exec_lo, exec_lo, s75
	s_and_saveexec_b32 s75, s1
	s_cbranch_execnz .LBB79_95
.LBB79_63:                              ;   in Loop: Header=BB79_61 Depth=1
	s_or_b32 exec_lo, exec_lo, s75
	s_and_saveexec_b32 s75, s2
	s_cbranch_execnz .LBB79_96
.LBB79_64:                              ;   in Loop: Header=BB79_61 Depth=1
	s_or_b32 exec_lo, exec_lo, s75
	s_and_saveexec_b32 s75, s3
	s_cbranch_execnz .LBB79_97
.LBB79_65:                              ;   in Loop: Header=BB79_61 Depth=1
	s_or_b32 exec_lo, exec_lo, s75
	s_and_saveexec_b32 s75, s4
	s_cbranch_execnz .LBB79_98
.LBB79_66:                              ;   in Loop: Header=BB79_61 Depth=1
	s_or_b32 exec_lo, exec_lo, s75
	s_and_saveexec_b32 s75, s5
	s_cbranch_execnz .LBB79_99
.LBB79_67:                              ;   in Loop: Header=BB79_61 Depth=1
	s_or_b32 exec_lo, exec_lo, s75
	s_and_saveexec_b32 s75, s6
	s_cbranch_execnz .LBB79_100
.LBB79_68:                              ;   in Loop: Header=BB79_61 Depth=1
	s_or_b32 exec_lo, exec_lo, s75
	s_and_saveexec_b32 s75, s7
	s_cbranch_execnz .LBB79_101
.LBB79_69:                              ;   in Loop: Header=BB79_61 Depth=1
	s_or_b32 exec_lo, exec_lo, s75
	s_and_saveexec_b32 s75, s8
	s_cbranch_execnz .LBB79_102
.LBB79_70:                              ;   in Loop: Header=BB79_61 Depth=1
	s_or_b32 exec_lo, exec_lo, s75
	s_and_saveexec_b32 s75, s9
	s_cbranch_execnz .LBB79_103
.LBB79_71:                              ;   in Loop: Header=BB79_61 Depth=1
	s_or_b32 exec_lo, exec_lo, s75
	s_and_saveexec_b32 s75, s10
	s_cbranch_execnz .LBB79_104
.LBB79_72:                              ;   in Loop: Header=BB79_61 Depth=1
	s_or_b32 exec_lo, exec_lo, s75
	s_and_saveexec_b32 s75, s11
	s_cbranch_execnz .LBB79_105
.LBB79_73:                              ;   in Loop: Header=BB79_61 Depth=1
	s_or_b32 exec_lo, exec_lo, s75
	s_and_saveexec_b32 s75, s12
	s_cbranch_execnz .LBB79_106
.LBB79_74:                              ;   in Loop: Header=BB79_61 Depth=1
	s_or_b32 exec_lo, exec_lo, s75
	s_and_saveexec_b32 s75, s13
	s_cbranch_execnz .LBB79_107
.LBB79_75:                              ;   in Loop: Header=BB79_61 Depth=1
	s_or_b32 exec_lo, exec_lo, s75
	s_and_saveexec_b32 s75, s14
	s_cbranch_execnz .LBB79_108
.LBB79_76:                              ;   in Loop: Header=BB79_61 Depth=1
	s_or_b32 exec_lo, exec_lo, s75
	s_and_saveexec_b32 s75, s15
	s_cbranch_execnz .LBB79_109
.LBB79_77:                              ;   in Loop: Header=BB79_61 Depth=1
	s_or_b32 exec_lo, exec_lo, s75
	s_and_saveexec_b32 s75, s16
	s_cbranch_execnz .LBB79_110
.LBB79_78:                              ;   in Loop: Header=BB79_61 Depth=1
	s_or_b32 exec_lo, exec_lo, s75
	s_and_saveexec_b32 s75, s17
	s_cbranch_execnz .LBB79_111
.LBB79_79:                              ;   in Loop: Header=BB79_61 Depth=1
	s_or_b32 exec_lo, exec_lo, s75
	s_and_saveexec_b32 s75, s18
	s_cbranch_execnz .LBB79_112
.LBB79_80:                              ;   in Loop: Header=BB79_61 Depth=1
	s_or_b32 exec_lo, exec_lo, s75
	s_and_saveexec_b32 s75, s19
	s_cbranch_execnz .LBB79_113
.LBB79_81:                              ;   in Loop: Header=BB79_61 Depth=1
	s_or_b32 exec_lo, exec_lo, s75
	s_and_saveexec_b32 s75, s20
	s_cbranch_execnz .LBB79_114
.LBB79_82:                              ;   in Loop: Header=BB79_61 Depth=1
	s_or_b32 exec_lo, exec_lo, s75
	s_and_saveexec_b32 s75, s21
	s_cbranch_execnz .LBB79_115
.LBB79_83:                              ;   in Loop: Header=BB79_61 Depth=1
	s_or_b32 exec_lo, exec_lo, s75
	s_and_saveexec_b32 s75, s22
	s_cbranch_execnz .LBB79_116
.LBB79_84:                              ;   in Loop: Header=BB79_61 Depth=1
	s_or_b32 exec_lo, exec_lo, s75
	s_and_saveexec_b32 s75, s23
	s_cbranch_execnz .LBB79_117
.LBB79_85:                              ;   in Loop: Header=BB79_61 Depth=1
	s_or_b32 exec_lo, exec_lo, s75
	s_and_saveexec_b32 s75, s24
	s_cbranch_execnz .LBB79_118
.LBB79_86:                              ;   in Loop: Header=BB79_61 Depth=1
	s_or_b32 exec_lo, exec_lo, s75
	s_and_saveexec_b32 s75, s25
	s_cbranch_execnz .LBB79_119
.LBB79_87:                              ;   in Loop: Header=BB79_61 Depth=1
	s_or_b32 exec_lo, exec_lo, s75
	s_and_saveexec_b32 s75, s26
	s_cbranch_execnz .LBB79_120
.LBB79_88:                              ;   in Loop: Header=BB79_61 Depth=1
	s_or_b32 exec_lo, exec_lo, s75
	s_and_saveexec_b32 s75, s27
	s_cbranch_execnz .LBB79_121
.LBB79_89:                              ;   in Loop: Header=BB79_61 Depth=1
	s_or_b32 exec_lo, exec_lo, s75
	s_and_saveexec_b32 s75, s28
	s_cbranch_execnz .LBB79_122
.LBB79_90:                              ;   in Loop: Header=BB79_61 Depth=1
	s_or_b32 exec_lo, exec_lo, s75
	s_and_saveexec_b32 s75, s29
	s_cbranch_execnz .LBB79_123
.LBB79_91:                              ;   in Loop: Header=BB79_61 Depth=1
	s_or_b32 exec_lo, exec_lo, s75
	s_and_saveexec_b32 s75, s30
	s_cbranch_execnz .LBB79_124
.LBB79_92:                              ;   in Loop: Header=BB79_61 Depth=1
	s_or_b32 exec_lo, exec_lo, s75
	s_and_saveexec_b32 s75, s31
	s_cbranch_execnz .LBB79_125
.LBB79_93:                              ;   in Loop: Header=BB79_61 Depth=1
	s_or_b32 exec_lo, exec_lo, s75
	s_and_saveexec_b32 s31, vcc_lo
	s_cbranch_execz .LBB79_60
	s_branch .LBB79_126
.LBB79_94:                              ;   in Loop: Header=BB79_61 Depth=1
	v_mov_b32_e32 v9, s39
	ds_load_b32 v9, v9
	s_waitcnt lgkmcnt(0)
	v_add_nc_u32_e32 v8, v9, v8
	s_or_b32 exec_lo, exec_lo, s75
	s_and_saveexec_b32 s75, s1
	s_cbranch_execz .LBB79_63
.LBB79_95:                              ;   in Loop: Header=BB79_61 Depth=1
	v_mov_b32_e32 v9, s44
	ds_load_b32 v9, v9
	s_waitcnt lgkmcnt(0)
	v_add_nc_u32_e32 v8, v9, v8
	s_or_b32 exec_lo, exec_lo, s75
	s_and_saveexec_b32 s75, s2
	s_cbranch_execz .LBB79_64
.LBB79_96:                              ;   in Loop: Header=BB79_61 Depth=1
	v_mov_b32_e32 v9, s45
	ds_load_b32 v9, v9
	s_waitcnt lgkmcnt(0)
	v_add_nc_u32_e32 v8, v9, v8
	s_or_b32 exec_lo, exec_lo, s75
	s_and_saveexec_b32 s75, s3
	s_cbranch_execz .LBB79_65
.LBB79_97:                              ;   in Loop: Header=BB79_61 Depth=1
	v_mov_b32_e32 v9, s46
	ds_load_b32 v9, v9
	s_waitcnt lgkmcnt(0)
	v_add_nc_u32_e32 v8, v9, v8
	s_or_b32 exec_lo, exec_lo, s75
	s_and_saveexec_b32 s75, s4
	s_cbranch_execz .LBB79_66
.LBB79_98:                              ;   in Loop: Header=BB79_61 Depth=1
	v_mov_b32_e32 v9, s47
	ds_load_b32 v9, v9
	s_waitcnt lgkmcnt(0)
	v_add_nc_u32_e32 v8, v9, v8
	s_or_b32 exec_lo, exec_lo, s75
	s_and_saveexec_b32 s75, s5
	s_cbranch_execz .LBB79_67
.LBB79_99:                              ;   in Loop: Header=BB79_61 Depth=1
	v_mov_b32_e32 v9, s48
	ds_load_b32 v9, v9
	s_waitcnt lgkmcnt(0)
	v_add_nc_u32_e32 v8, v9, v8
	s_or_b32 exec_lo, exec_lo, s75
	s_and_saveexec_b32 s75, s6
	s_cbranch_execz .LBB79_68
.LBB79_100:                             ;   in Loop: Header=BB79_61 Depth=1
	v_mov_b32_e32 v9, s49
	ds_load_b32 v9, v9
	s_waitcnt lgkmcnt(0)
	v_add_nc_u32_e32 v8, v9, v8
	s_or_b32 exec_lo, exec_lo, s75
	s_and_saveexec_b32 s75, s7
	s_cbranch_execz .LBB79_69
.LBB79_101:                             ;   in Loop: Header=BB79_61 Depth=1
	v_mov_b32_e32 v9, s50
	ds_load_b32 v9, v9
	s_waitcnt lgkmcnt(0)
	v_add_nc_u32_e32 v8, v9, v8
	s_or_b32 exec_lo, exec_lo, s75
	s_and_saveexec_b32 s75, s8
	s_cbranch_execz .LBB79_70
.LBB79_102:                             ;   in Loop: Header=BB79_61 Depth=1
	v_mov_b32_e32 v9, s51
	ds_load_b32 v9, v9
	s_waitcnt lgkmcnt(0)
	v_add_nc_u32_e32 v8, v9, v8
	s_or_b32 exec_lo, exec_lo, s75
	s_and_saveexec_b32 s75, s9
	s_cbranch_execz .LBB79_71
.LBB79_103:                             ;   in Loop: Header=BB79_61 Depth=1
	v_mov_b32_e32 v9, s52
	ds_load_b32 v9, v9
	s_waitcnt lgkmcnt(0)
	v_add_nc_u32_e32 v8, v9, v8
	s_or_b32 exec_lo, exec_lo, s75
	s_and_saveexec_b32 s75, s10
	s_cbranch_execz .LBB79_72
.LBB79_104:                             ;   in Loop: Header=BB79_61 Depth=1
	v_mov_b32_e32 v9, s53
	ds_load_b32 v9, v9
	s_waitcnt lgkmcnt(0)
	v_add_nc_u32_e32 v8, v9, v8
	s_or_b32 exec_lo, exec_lo, s75
	s_and_saveexec_b32 s75, s11
	s_cbranch_execz .LBB79_73
.LBB79_105:                             ;   in Loop: Header=BB79_61 Depth=1
	v_mov_b32_e32 v9, s54
	ds_load_b32 v9, v9
	s_waitcnt lgkmcnt(0)
	v_add_nc_u32_e32 v8, v9, v8
	s_or_b32 exec_lo, exec_lo, s75
	s_and_saveexec_b32 s75, s12
	s_cbranch_execz .LBB79_74
.LBB79_106:                             ;   in Loop: Header=BB79_61 Depth=1
	v_mov_b32_e32 v9, s55
	ds_load_b32 v9, v9
	s_waitcnt lgkmcnt(0)
	v_add_nc_u32_e32 v8, v9, v8
	s_or_b32 exec_lo, exec_lo, s75
	s_and_saveexec_b32 s75, s13
	s_cbranch_execz .LBB79_75
.LBB79_107:                             ;   in Loop: Header=BB79_61 Depth=1
	v_mov_b32_e32 v9, s56
	ds_load_b32 v9, v9
	s_waitcnt lgkmcnt(0)
	v_add_nc_u32_e32 v8, v9, v8
	s_or_b32 exec_lo, exec_lo, s75
	s_and_saveexec_b32 s75, s14
	s_cbranch_execz .LBB79_76
.LBB79_108:                             ;   in Loop: Header=BB79_61 Depth=1
	v_mov_b32_e32 v9, s57
	ds_load_b32 v9, v9
	s_waitcnt lgkmcnt(0)
	v_add_nc_u32_e32 v8, v9, v8
	s_or_b32 exec_lo, exec_lo, s75
	s_and_saveexec_b32 s75, s15
	s_cbranch_execz .LBB79_77
.LBB79_109:                             ;   in Loop: Header=BB79_61 Depth=1
	v_mov_b32_e32 v9, s58
	ds_load_b32 v9, v9
	s_waitcnt lgkmcnt(0)
	v_add_nc_u32_e32 v8, v9, v8
	s_or_b32 exec_lo, exec_lo, s75
	s_and_saveexec_b32 s75, s16
	s_cbranch_execz .LBB79_78
.LBB79_110:                             ;   in Loop: Header=BB79_61 Depth=1
	v_mov_b32_e32 v9, s59
	ds_load_b32 v9, v9
	s_waitcnt lgkmcnt(0)
	v_add_nc_u32_e32 v8, v9, v8
	s_or_b32 exec_lo, exec_lo, s75
	s_and_saveexec_b32 s75, s17
	s_cbranch_execz .LBB79_79
.LBB79_111:                             ;   in Loop: Header=BB79_61 Depth=1
	v_mov_b32_e32 v9, s60
	ds_load_b32 v9, v9
	s_waitcnt lgkmcnt(0)
	v_add_nc_u32_e32 v8, v9, v8
	s_or_b32 exec_lo, exec_lo, s75
	s_and_saveexec_b32 s75, s18
	s_cbranch_execz .LBB79_80
.LBB79_112:                             ;   in Loop: Header=BB79_61 Depth=1
	v_mov_b32_e32 v9, s61
	ds_load_b32 v9, v9
	s_waitcnt lgkmcnt(0)
	v_add_nc_u32_e32 v8, v9, v8
	s_or_b32 exec_lo, exec_lo, s75
	s_and_saveexec_b32 s75, s19
	s_cbranch_execz .LBB79_81
.LBB79_113:                             ;   in Loop: Header=BB79_61 Depth=1
	v_mov_b32_e32 v9, s62
	ds_load_b32 v9, v9
	s_waitcnt lgkmcnt(0)
	v_add_nc_u32_e32 v8, v9, v8
	s_or_b32 exec_lo, exec_lo, s75
	s_and_saveexec_b32 s75, s20
	s_cbranch_execz .LBB79_82
.LBB79_114:                             ;   in Loop: Header=BB79_61 Depth=1
	v_mov_b32_e32 v9, s63
	ds_load_b32 v9, v9
	s_waitcnt lgkmcnt(0)
	v_add_nc_u32_e32 v8, v9, v8
	s_or_b32 exec_lo, exec_lo, s75
	s_and_saveexec_b32 s75, s21
	s_cbranch_execz .LBB79_83
.LBB79_115:                             ;   in Loop: Header=BB79_61 Depth=1
	v_mov_b32_e32 v9, s64
	ds_load_b32 v9, v9
	s_waitcnt lgkmcnt(0)
	v_add_nc_u32_e32 v8, v9, v8
	s_or_b32 exec_lo, exec_lo, s75
	s_and_saveexec_b32 s75, s22
	s_cbranch_execz .LBB79_84
.LBB79_116:                             ;   in Loop: Header=BB79_61 Depth=1
	v_mov_b32_e32 v9, s65
	ds_load_b32 v9, v9
	s_waitcnt lgkmcnt(0)
	v_add_nc_u32_e32 v8, v9, v8
	s_or_b32 exec_lo, exec_lo, s75
	s_and_saveexec_b32 s75, s23
	s_cbranch_execz .LBB79_85
.LBB79_117:                             ;   in Loop: Header=BB79_61 Depth=1
	v_mov_b32_e32 v9, s66
	ds_load_b32 v9, v9
	s_waitcnt lgkmcnt(0)
	v_add_nc_u32_e32 v8, v9, v8
	s_or_b32 exec_lo, exec_lo, s75
	s_and_saveexec_b32 s75, s24
	s_cbranch_execz .LBB79_86
.LBB79_118:                             ;   in Loop: Header=BB79_61 Depth=1
	v_mov_b32_e32 v9, s67
	ds_load_b32 v9, v9
	s_waitcnt lgkmcnt(0)
	v_add_nc_u32_e32 v8, v9, v8
	s_or_b32 exec_lo, exec_lo, s75
	s_and_saveexec_b32 s75, s25
	s_cbranch_execz .LBB79_87
.LBB79_119:                             ;   in Loop: Header=BB79_61 Depth=1
	v_mov_b32_e32 v9, s68
	ds_load_b32 v9, v9
	s_waitcnt lgkmcnt(0)
	v_add_nc_u32_e32 v8, v9, v8
	s_or_b32 exec_lo, exec_lo, s75
	s_and_saveexec_b32 s75, s26
	s_cbranch_execz .LBB79_88
.LBB79_120:                             ;   in Loop: Header=BB79_61 Depth=1
	v_mov_b32_e32 v9, s69
	ds_load_b32 v9, v9
	s_waitcnt lgkmcnt(0)
	v_add_nc_u32_e32 v8, v9, v8
	s_or_b32 exec_lo, exec_lo, s75
	s_and_saveexec_b32 s75, s27
	s_cbranch_execz .LBB79_89
.LBB79_121:                             ;   in Loop: Header=BB79_61 Depth=1
	v_mov_b32_e32 v9, s71
	ds_load_b32 v9, v9
	s_waitcnt lgkmcnt(0)
	v_add_nc_u32_e32 v8, v9, v8
	s_or_b32 exec_lo, exec_lo, s75
	s_and_saveexec_b32 s75, s28
	s_cbranch_execz .LBB79_90
.LBB79_122:                             ;   in Loop: Header=BB79_61 Depth=1
	v_mov_b32_e32 v9, s72
	ds_load_b32 v9, v9
	s_waitcnt lgkmcnt(0)
	v_add_nc_u32_e32 v8, v9, v8
	s_or_b32 exec_lo, exec_lo, s75
	s_and_saveexec_b32 s75, s29
	s_cbranch_execz .LBB79_91
.LBB79_123:                             ;   in Loop: Header=BB79_61 Depth=1
	v_mov_b32_e32 v9, s73
	ds_load_b32 v9, v9
	s_waitcnt lgkmcnt(0)
	v_add_nc_u32_e32 v8, v9, v8
	s_or_b32 exec_lo, exec_lo, s75
	s_and_saveexec_b32 s75, s30
	s_cbranch_execz .LBB79_92
.LBB79_124:                             ;   in Loop: Header=BB79_61 Depth=1
	v_mov_b32_e32 v9, s74
	ds_load_b32 v9, v9
	s_waitcnt lgkmcnt(0)
	v_add_nc_u32_e32 v8, v9, v8
	s_or_b32 exec_lo, exec_lo, s75
	s_and_saveexec_b32 s75, s31
	s_cbranch_execz .LBB79_93
.LBB79_125:                             ;   in Loop: Header=BB79_61 Depth=1
	scratch_load_b128 v[9:12], off, off
	v_add3_u32 v13, v5, -1, v8
	s_delay_alu instid0(VALU_DEP_1) | instskip(SKIP_1) | instid1(VALU_DEP_2)
	v_lshlrev_b32_e32 v14, 4, v13
	v_lshl_add_u32 v13, v13, 2, 0
	v_add3_u32 v14, 0, v14, 0x8000
	ds_store_b32 v13, v7
	s_waitcnt vmcnt(0)
	ds_store_2addr_b64 v14, v[9:10], v[11:12] offset1:1
	s_or_b32 exec_lo, exec_lo, s75
	s_and_saveexec_b32 s31, vcc_lo
	s_cbranch_execz .LBB79_60
.LBB79_126:                             ;   in Loop: Header=BB79_61 Depth=1
	v_mov_b32_e32 v7, s70
	ds_store_b32 v7, v8
	s_branch .LBB79_60
.LBB79_127:
	s_or_b32 exec_lo, exec_lo, s35
	s_ashr_i32 s35, s34, 31
	s_mov_b32 s3, exec_lo
	s_lshl_b64 s[0:1], s[34:35], 2
	s_delay_alu instid0(SALU_CYCLE_1) | instskip(SKIP_4) | instid1(SALU_CYCLE_1)
	s_add_u32 s0, s40, s0
	s_addc_u32 s1, s41, s1
	s_load_b64 s[0:1], s[0:1], 0x0
	s_waitcnt lgkmcnt(0)
	s_sub_i32 s2, s1, s0
	v_cmpx_gt_i32_e64 s2, v0
	s_cbranch_execz .LBB79_137
; %bb.128:
	s_sub_i32 s3, s0, s38
	s_sub_i32 s0, s0, s1
	s_and_b32 s1, s2, 7
	s_cmp_lt_u32 s0, -7
	s_mov_b32 s7, 0
	s_cselect_b32 s4, -1, 0
	s_and_b32 s5, s2, -8
	s_cmp_lg_u32 s1, 0
	s_cselect_b32 s6, -1, 0
	s_branch .LBB79_130
.LBB79_129:                             ;   in Loop: Header=BB79_130 Depth=1
	v_mul_lo_u32 v4, v0, 12
	v_add_nc_u32_e32 v0, 0x400, v0
	s_waitcnt lgkmcnt(0)
	v_add_nc_u32_e32 v3, s38, v3
	s_delay_alu instid0(VALU_DEP_3) | instskip(SKIP_4) | instid1(VALU_DEP_2)
	v_add3_u32 v4, v2, v4, 0x8000
	v_ashrrev_i32_e32 v2, 31, v1
	ds_load_2addr_b64 v[4:7], v4 offset1:1
	v_lshlrev_b64 v[8:9], 2, v[1:2]
	v_lshlrev_b64 v[1:2], 4, v[1:2]
	v_add_co_u32 v8, vcc_lo, s42, v8
	s_delay_alu instid0(VALU_DEP_3) | instskip(SKIP_1) | instid1(VALU_DEP_4)
	v_add_co_ci_u32_e32 v9, vcc_lo, s43, v9, vcc_lo
	v_cmp_le_i32_e32 vcc_lo, s2, v0
	v_add_co_u32 v1, s0, s36, v1
	s_delay_alu instid0(VALU_DEP_1)
	v_add_co_ci_u32_e64 v2, s0, s37, v2, s0
	s_or_b32 s7, vcc_lo, s7
	global_store_b32 v[8:9], v3, off
	s_waitcnt lgkmcnt(0)
	global_store_b128 v[1:2], v[4:7], off
	s_and_not1_b32 exec_lo, exec_lo, s7
	s_cbranch_execz .LBB79_137
.LBB79_130:                             ; =>This Loop Header: Depth=1
                                        ;     Child Loop BB79_132 Depth 2
                                        ;     Child Loop BB79_136 Depth 2
	v_lshl_add_u32 v2, v0, 2, 0
	v_mov_b32_e32 v1, s3
	s_and_not1_b32 vcc_lo, exec_lo, s4
	s_mov_b32 s0, 0
	ds_load_b32 v3, v2
	s_cbranch_vccnz .LBB79_134
; %bb.131:                              ;   in Loop: Header=BB79_130 Depth=1
	v_mov_b32_e32 v1, s3
	s_mov_b32 s8, 0
	s_set_inst_prefetch_distance 0x1
	.p2align	6
.LBB79_132:                             ;   Parent Loop BB79_130 Depth=1
                                        ; =>  This Inner Loop Header: Depth=2
	v_mov_b32_e32 v10, s8
	s_add_i32 s0, s0, 8
	s_add_i32 s8, s8, 32
	s_cmp_eq_u32 s5, s0
	ds_load_2addr_b32 v[4:5], v10 offset1:1
	ds_load_2addr_b32 v[6:7], v10 offset0:2 offset1:3
	ds_load_2addr_b32 v[8:9], v10 offset0:4 offset1:5
	;; [unrolled: 1-line block ×3, first 2 shown]
	s_waitcnt lgkmcnt(3)
	v_cmp_gt_i32_e32 vcc_lo, v3, v4
	v_cndmask_b32_e64 v4, 0, 1, vcc_lo
	s_waitcnt lgkmcnt(2)
	v_cmp_gt_i32_e32 vcc_lo, v3, v6
	v_cndmask_b32_e64 v6, 0, 1, vcc_lo
	v_cmp_gt_i32_e32 vcc_lo, v3, v5
	v_add_co_ci_u32_e32 v1, vcc_lo, v1, v4, vcc_lo
	s_waitcnt lgkmcnt(1)
	v_cmp_gt_i32_e32 vcc_lo, v3, v8
	v_cndmask_b32_e64 v4, 0, 1, vcc_lo
	v_cmp_gt_i32_e32 vcc_lo, v3, v7
	v_add_co_ci_u32_e32 v1, vcc_lo, v1, v6, vcc_lo
	;; [unrolled: 5-line block ×3, first 2 shown]
	v_cmp_gt_i32_e32 vcc_lo, v3, v11
	s_delay_alu instid0(VALU_DEP_2)
	v_add_co_ci_u32_e32 v1, vcc_lo, v1, v5, vcc_lo
	s_cbranch_scc0 .LBB79_132
; %bb.133:                              ;   in Loop: Header=BB79_130 Depth=1
	s_set_inst_prefetch_distance 0x2
	s_mov_b32 s0, s5
.LBB79_134:                             ;   in Loop: Header=BB79_130 Depth=1
	s_and_not1_b32 vcc_lo, exec_lo, s6
	s_cbranch_vccnz .LBB79_129
; %bb.135:                              ;   in Loop: Header=BB79_130 Depth=1
	s_lshl_b32 s0, s0, 2
	s_mov_b32 s8, s1
	s_add_i32 s0, s0, 0
.LBB79_136:                             ;   Parent Loop BB79_130 Depth=1
                                        ; =>  This Inner Loop Header: Depth=2
	s_delay_alu instid0(SALU_CYCLE_1)
	v_mov_b32_e32 v4, s0
	s_add_i32 s8, s8, -1
	s_add_i32 s0, s0, 4
	s_cmp_lg_u32 s8, 0
	ds_load_b32 v4, v4
	s_waitcnt lgkmcnt(0)
	v_cmp_gt_i32_e32 vcc_lo, v3, v4
	v_add_co_ci_u32_e32 v1, vcc_lo, 0, v1, vcc_lo
	s_cbranch_scc1 .LBB79_136
	s_branch .LBB79_129
.LBB79_137:
	s_nop 0
	s_sendmsg sendmsg(MSG_DEALLOC_VGPRS)
	s_endpgm
	.section	.rodata,"a",@progbits
	.p2align	6, 0x0
	.amdhsa_kernel _ZN9rocsparseL26csrgemm_fill_block_per_rowILj1024ELj64ELj8192ELj137ELj32Eii21rocsparse_complex_numIdEEEvT5_PKS3_S5_NS_24const_host_device_scalarIT6_EEPKT4_S5_PKS7_SB_S5_SD_S8_SB_S5_SD_SB_PS3_PS7_21rocsparse_index_base_SG_SG_SG_bbb
		.amdhsa_group_segment_fixed_size 0
		.amdhsa_private_segment_fixed_size 40
		.amdhsa_kernarg_size 172
		.amdhsa_user_sgpr_count 15
		.amdhsa_user_sgpr_dispatch_ptr 0
		.amdhsa_user_sgpr_queue_ptr 0
		.amdhsa_user_sgpr_kernarg_segment_ptr 1
		.amdhsa_user_sgpr_dispatch_id 0
		.amdhsa_user_sgpr_private_segment_size 0
		.amdhsa_wavefront_size32 1
		.amdhsa_uses_dynamic_stack 0
		.amdhsa_enable_private_segment 1
		.amdhsa_system_sgpr_workgroup_id_x 1
		.amdhsa_system_sgpr_workgroup_id_y 0
		.amdhsa_system_sgpr_workgroup_id_z 0
		.amdhsa_system_sgpr_workgroup_info 0
		.amdhsa_system_vgpr_workitem_id 0
		.amdhsa_next_free_vgpr 30
		.amdhsa_next_free_sgpr 76
		.amdhsa_reserve_vcc 1
		.amdhsa_float_round_mode_32 0
		.amdhsa_float_round_mode_16_64 0
		.amdhsa_float_denorm_mode_32 3
		.amdhsa_float_denorm_mode_16_64 3
		.amdhsa_dx10_clamp 1
		.amdhsa_ieee_mode 1
		.amdhsa_fp16_overflow 0
		.amdhsa_workgroup_processor_mode 1
		.amdhsa_memory_ordered 1
		.amdhsa_forward_progress 0
		.amdhsa_shared_vgpr_count 0
		.amdhsa_exception_fp_ieee_invalid_op 0
		.amdhsa_exception_fp_denorm_src 0
		.amdhsa_exception_fp_ieee_div_zero 0
		.amdhsa_exception_fp_ieee_overflow 0
		.amdhsa_exception_fp_ieee_underflow 0
		.amdhsa_exception_fp_ieee_inexact 0
		.amdhsa_exception_int_div_zero 0
	.end_amdhsa_kernel
	.section	.text._ZN9rocsparseL26csrgemm_fill_block_per_rowILj1024ELj64ELj8192ELj137ELj32Eii21rocsparse_complex_numIdEEEvT5_PKS3_S5_NS_24const_host_device_scalarIT6_EEPKT4_S5_PKS7_SB_S5_SD_S8_SB_S5_SD_SB_PS3_PS7_21rocsparse_index_base_SG_SG_SG_bbb,"axG",@progbits,_ZN9rocsparseL26csrgemm_fill_block_per_rowILj1024ELj64ELj8192ELj137ELj32Eii21rocsparse_complex_numIdEEEvT5_PKS3_S5_NS_24const_host_device_scalarIT6_EEPKT4_S5_PKS7_SB_S5_SD_S8_SB_S5_SD_SB_PS3_PS7_21rocsparse_index_base_SG_SG_SG_bbb,comdat
.Lfunc_end79:
	.size	_ZN9rocsparseL26csrgemm_fill_block_per_rowILj1024ELj64ELj8192ELj137ELj32Eii21rocsparse_complex_numIdEEEvT5_PKS3_S5_NS_24const_host_device_scalarIT6_EEPKT4_S5_PKS7_SB_S5_SD_S8_SB_S5_SD_SB_PS3_PS7_21rocsparse_index_base_SG_SG_SG_bbb, .Lfunc_end79-_ZN9rocsparseL26csrgemm_fill_block_per_rowILj1024ELj64ELj8192ELj137ELj32Eii21rocsparse_complex_numIdEEEvT5_PKS3_S5_NS_24const_host_device_scalarIT6_EEPKT4_S5_PKS7_SB_S5_SD_S8_SB_S5_SD_SB_PS3_PS7_21rocsparse_index_base_SG_SG_SG_bbb
                                        ; -- End function
	.section	.AMDGPU.csdata,"",@progbits
; Kernel info:
; codeLenInByte = 5480
; NumSgprs: 78
; NumVgprs: 30
; ScratchSize: 40
; MemoryBound: 0
; FloatMode: 240
; IeeeMode: 1
; LDSByteSize: 0 bytes/workgroup (compile time only)
; SGPRBlocks: 9
; VGPRBlocks: 3
; NumSGPRsForWavesPerEU: 78
; NumVGPRsForWavesPerEU: 30
; Occupancy: 16
; WaveLimiterHint : 1
; COMPUTE_PGM_RSRC2:SCRATCH_EN: 1
; COMPUTE_PGM_RSRC2:USER_SGPR: 15
; COMPUTE_PGM_RSRC2:TRAP_HANDLER: 0
; COMPUTE_PGM_RSRC2:TGID_X_EN: 1
; COMPUTE_PGM_RSRC2:TGID_Y_EN: 0
; COMPUTE_PGM_RSRC2:TGID_Z_EN: 0
; COMPUTE_PGM_RSRC2:TIDIG_COMP_CNT: 0
	.section	.text._ZN9rocsparseL26csrgemm_fill_block_per_rowILj1024ELj64ELj8192ELj137ELj64Eii21rocsparse_complex_numIdEEEvT5_PKS3_S5_NS_24const_host_device_scalarIT6_EEPKT4_S5_PKS7_SB_S5_SD_S8_SB_S5_SD_SB_PS3_PS7_21rocsparse_index_base_SG_SG_SG_bbb,"axG",@progbits,_ZN9rocsparseL26csrgemm_fill_block_per_rowILj1024ELj64ELj8192ELj137ELj64Eii21rocsparse_complex_numIdEEEvT5_PKS3_S5_NS_24const_host_device_scalarIT6_EEPKT4_S5_PKS7_SB_S5_SD_S8_SB_S5_SD_SB_PS3_PS7_21rocsparse_index_base_SG_SG_SG_bbb,comdat
	.globl	_ZN9rocsparseL26csrgemm_fill_block_per_rowILj1024ELj64ELj8192ELj137ELj64Eii21rocsparse_complex_numIdEEEvT5_PKS3_S5_NS_24const_host_device_scalarIT6_EEPKT4_S5_PKS7_SB_S5_SD_S8_SB_S5_SD_SB_PS3_PS7_21rocsparse_index_base_SG_SG_SG_bbb ; -- Begin function _ZN9rocsparseL26csrgemm_fill_block_per_rowILj1024ELj64ELj8192ELj137ELj64Eii21rocsparse_complex_numIdEEEvT5_PKS3_S5_NS_24const_host_device_scalarIT6_EEPKT4_S5_PKS7_SB_S5_SD_S8_SB_S5_SD_SB_PS3_PS7_21rocsparse_index_base_SG_SG_SG_bbb
	.p2align	8
	.type	_ZN9rocsparseL26csrgemm_fill_block_per_rowILj1024ELj64ELj8192ELj137ELj64Eii21rocsparse_complex_numIdEEEvT5_PKS3_S5_NS_24const_host_device_scalarIT6_EEPKT4_S5_PKS7_SB_S5_SD_S8_SB_S5_SD_SB_PS3_PS7_21rocsparse_index_base_SG_SG_SG_bbb,@function
_ZN9rocsparseL26csrgemm_fill_block_per_rowILj1024ELj64ELj8192ELj137ELj64Eii21rocsparse_complex_numIdEEEvT5_PKS3_S5_NS_24const_host_device_scalarIT6_EEPKT4_S5_PKS7_SB_S5_SD_S8_SB_S5_SD_SB_PS3_PS7_21rocsparse_index_base_SG_SG_SG_bbb: ; @_ZN9rocsparseL26csrgemm_fill_block_per_rowILj1024ELj64ELj8192ELj137ELj64Eii21rocsparse_complex_numIdEEEvT5_PKS3_S5_NS_24const_host_device_scalarIT6_EEPKT4_S5_PKS7_SB_S5_SD_S8_SB_S5_SD_SB_PS3_PS7_21rocsparse_index_base_SG_SG_SG_bbb
; %bb.0:
	s_clause 0x3
	s_load_b32 s14, s[0:1], 0xa8
	s_load_b256 s[4:11], s[0:1], 0x8
	s_load_b128 s[20:23], s[0:1], 0x58
	s_load_b128 s[16:19], s[0:1], 0x98
	v_mov_b32_e32 v1, 0
	v_mov_b32_e32 v2, 0
	s_waitcnt lgkmcnt(0)
	s_bitcmp1_b32 s14, 0
	v_mov_b32_e32 v3, s8
	s_cselect_b32 s3, -1, 0
	s_bitcmp1_b32 s14, 16
	v_dual_mov_b32 v6, v2 :: v_dual_mov_b32 v5, v1
	s_cselect_b32 s2, -1, 0
	v_mov_b32_e32 v4, s9
	s_xor_b32 s13, s2, -1
	v_dual_mov_b32 v9, s20 :: v_dual_mov_b32 v10, s21
	v_cndmask_b32_e64 v7, 0, 1, s13
	s_bitcmp0_b32 s14, 0
	s_clause 0x1
	scratch_store_b64 off, v[3:4], off offset:16
	scratch_store_b64 off, v[9:10], off offset:24
	v_cmp_ne_u32_e32 vcc_lo, 1, v7
	v_dual_mov_b32 v8, v2 :: v_dual_mov_b32 v7, v1
	s_cbranch_scc1 .LBB80_3
; %bb.1:
	s_mov_b64 s[24:25], src_private_base
	s_and_b32 s12, s2, exec_lo
	s_cselect_b32 s12, s25, s9
	s_delay_alu instid0(SALU_CYCLE_1) | instskip(SKIP_2) | instid1(VALU_DEP_2)
	v_dual_mov_b32 v3, 16 :: v_dual_mov_b32 v4, s12
	v_dual_mov_b32 v7, s10 :: v_dual_mov_b32 v8, s11
	s_and_b32 vcc_lo, exec_lo, vcc_lo
	v_cndmask_b32_e64 v3, s8, v3, s2
	flat_load_b64 v[5:6], v[3:4]
	s_cbranch_vccnz .LBB80_3
; %bb.2:
	v_dual_mov_b32 v3, s8 :: v_dual_mov_b32 v4, s9
	flat_load_b64 v[7:8], v[3:4] offset:8
.LBB80_3:
	s_bitcmp1_b32 s14, 8
	v_dual_mov_b32 v4, v2 :: v_dual_mov_b32 v3, v1
	s_cselect_b32 s12, -1, 0
	s_bfe_u32 s8, s14, 0x10008
	s_delay_alu instid0(SALU_CYCLE_1)
	s_cmp_eq_u32 s8, 0
	s_cbranch_scc1 .LBB80_6
; %bb.4:
	s_mov_b64 s[8:9], src_private_base
	s_and_b32 s8, s2, exec_lo
	s_cselect_b32 s8, s9, s21
	s_delay_alu instid0(SALU_CYCLE_1) | instskip(SKIP_1) | instid1(VALU_DEP_1)
	v_dual_mov_b32 v1, 24 :: v_dual_mov_b32 v2, s8
	s_and_not1_b32 vcc_lo, exec_lo, s13
	v_cndmask_b32_e64 v1, s20, v1, s2
	flat_load_b64 v[3:4], v[1:2]
	v_dual_mov_b32 v1, s22 :: v_dual_mov_b32 v2, s23
	s_cbranch_vccnz .LBB80_6
; %bb.5:
	v_dual_mov_b32 v1, s20 :: v_dual_mov_b32 v2, s21
	flat_load_b64 v[1:2], v[1:2] offset:8
.LBB80_6:
	s_load_b32 s26, s[0:1], 0x0
	s_mov_b32 s8, 0
	v_lshl_add_u32 v23, v0, 2, 0
	s_mov_b32 s9, s8
	v_lshlrev_b32_e32 v24, 4, v0
	s_mov_b32 s10, s8
	s_mov_b32 s11, s8
	v_dual_mov_b32 v10, s9 :: v_dual_mov_b32 v9, s8
	s_delay_alu instid0(VALU_DEP_2) | instskip(SKIP_2) | instid1(VALU_DEP_3)
	v_add3_u32 v14, 0, 0x8000, v24
	v_mad_u32_u24 v13, v0, 12, v23
	v_dual_mov_b32 v12, s11 :: v_dual_mov_b32 v11, s10
	v_add_nc_u32_e32 v17, 0x8000, v14
	s_delay_alu instid0(VALU_DEP_3)
	v_add_nc_u32_e32 v15, 0x8000, v13
	v_mad_i32_i24 v13, v0, -12, v13
	s_waitcnt lgkmcnt(0)
	v_dual_mov_b32 v19, s26 :: v_dual_add_nc_u32 v16, 0x4000, v14
	v_mov_b32_e32 v18, s26
	v_dual_mov_b32 v20, s26 :: v_dual_mov_b32 v21, s26
	v_dual_mov_b32 v22, s26 :: v_dual_mov_b32 v25, s26
	ds_store_b32 v23, v18
	ds_store_2addr_b64 v15, v[9:10], v[11:12] offset1:1
	ds_store_2addr_stride64_b32 v13, v19, v20 offset0:16 offset1:32
	ds_store_2addr_b64 v16, v[9:10], v[11:12] offset1:1
	ds_store_2addr_b64 v17, v[9:10], v[11:12] offset1:1
	v_add_nc_u32_e32 v15, 0xc000, v14
	v_dual_mov_b32 v17, s26 :: v_dual_add_nc_u32 v16, 0x10000, v14
	v_add_nc_u32_e32 v18, 0x14000, v14
	v_add_nc_u32_e32 v20, 0x18000, v14
	;; [unrolled: 1-line block ×3, first 2 shown]
	ds_store_2addr_stride64_b32 v13, v21, v22 offset0:48 offset1:64
	ds_store_2addr_b64 v15, v[9:10], v[11:12] offset1:1
	ds_store_2addr_b64 v16, v[9:10], v[11:12] offset1:1
	ds_store_2addr_stride64_b32 v13, v17, v19 offset0:80 offset1:96
	ds_store_2addr_b64 v18, v[9:10], v[11:12] offset1:1
	ds_store_2addr_b64 v20, v[9:10], v[11:12] offset1:1
	ds_store_b32 v13, v25 offset:28672
	ds_store_2addr_b64 v14, v[9:10], v[11:12] offset1:1
	s_waitcnt vmcnt(0) lgkmcnt(0)
	s_waitcnt_vscnt null, 0x0
	s_barrier
	buffer_gl0_inv
	s_load_b32 s2, s[4:5], 0x0
	s_mov_b32 s5, s8
	v_lshrrev_b32_e32 v25, 6, v0
	s_waitcnt lgkmcnt(0)
	s_add_i32 s4, s2, s15
	s_delay_alu instid0(SALU_CYCLE_1) | instskip(NEXT) | instid1(SALU_CYCLE_1)
	s_lshl_b64 s[4:5], s[4:5], 2
	s_add_u32 s4, s6, s4
	s_addc_u32 s5, s7, s5
	s_and_not1_b32 vcc_lo, exec_lo, s3
	s_load_b32 s24, s[4:5], 0x0
	s_cbranch_vccnz .LBB80_34
; %bb.7:
	s_load_b64 s[2:3], s[0:1], 0x28
	s_waitcnt lgkmcnt(0)
	s_ashr_i32 s25, s24, 31
	v_subrev_nc_u32_e32 v9, s16, v25
	s_lshl_b64 s[4:5], s[24:25], 2
	s_mov_b32 s14, exec_lo
	s_add_u32 s2, s2, s4
	s_addc_u32 s3, s3, s5
	s_load_b64 s[2:3], s[2:3], 0x0
	s_waitcnt lgkmcnt(0)
	v_add_nc_u32_e32 v9, s2, v9
	s_sub_i32 s13, s3, s16
	s_delay_alu instid0(VALU_DEP_1) | instid1(SALU_CYCLE_1)
	v_cmpx_gt_i32_e64 s13, v9
	s_cbranch_execz .LBB80_33
; %bb.8:
	s_clause 0x1
	s_load_b64 s[2:3], s[0:1], 0x50
	s_load_b256 s[4:11], s[0:1], 0x30
	v_and_b32_e32 v10, 63, v0
	s_mov_b32 s15, 0
	s_delay_alu instid0(VALU_DEP_1)
	v_subrev_nc_u32_e32 v26, s17, v10
	s_branch .LBB80_10
.LBB80_9:                               ;   in Loop: Header=BB80_10 Depth=1
	s_or_b32 exec_lo, exec_lo, s20
	v_add_nc_u32_e32 v9, 16, v9
	s_delay_alu instid0(VALU_DEP_1) | instskip(SKIP_1) | instid1(SALU_CYCLE_1)
	v_cmp_le_i32_e32 vcc_lo, s13, v9
	s_or_b32 s15, vcc_lo, s15
	s_and_not1_b32 exec_lo, exec_lo, s15
	s_cbranch_execz .LBB80_33
.LBB80_10:                              ; =>This Loop Header: Depth=1
                                        ;     Child Loop BB80_13 Depth 2
                                        ;       Child Loop BB80_15 Depth 3
                                        ;         Child Loop BB80_21 Depth 4
                                        ;         Child Loop BB80_23 Depth 4
	;; [unrolled: 1-line block ×4, first 2 shown]
	v_ashrrev_i32_e32 v10, 31, v9
	s_mov_b32 s20, exec_lo
	s_delay_alu instid0(VALU_DEP_1) | instskip(SKIP_1) | instid1(VALU_DEP_1)
	v_lshlrev_b64 v[11:12], 2, v[9:10]
	s_waitcnt lgkmcnt(0)
	v_add_co_u32 v11, vcc_lo, s4, v11
	s_delay_alu instid0(VALU_DEP_2) | instskip(SKIP_3) | instid1(VALU_DEP_1)
	v_add_co_ci_u32_e32 v12, vcc_lo, s5, v12, vcc_lo
	global_load_b32 v11, v[11:12], off
	s_waitcnt vmcnt(0)
	v_subrev_nc_u32_e32 v11, s16, v11
	v_ashrrev_i32_e32 v12, 31, v11
	s_delay_alu instid0(VALU_DEP_1) | instskip(NEXT) | instid1(VALU_DEP_1)
	v_lshlrev_b64 v[11:12], 2, v[11:12]
	v_add_co_u32 v11, vcc_lo, s8, v11
	s_delay_alu instid0(VALU_DEP_2) | instskip(SKIP_4) | instid1(VALU_DEP_1)
	v_add_co_ci_u32_e32 v12, vcc_lo, s9, v12, vcc_lo
	global_load_b64 v[11:12], v[11:12], off
	s_waitcnt vmcnt(0)
	v_subrev_nc_u32_e32 v27, s17, v12
	v_add_nc_u32_e32 v11, v11, v26
	v_cmpx_lt_i32_e64 v11, v27
	s_cbranch_execz .LBB80_9
; %bb.11:                               ;   in Loop: Header=BB80_10 Depth=1
	v_lshlrev_b64 v[12:13], 4, v[9:10]
	s_mov_b32 s21, 0
	s_delay_alu instid0(VALU_DEP_1) | instskip(NEXT) | instid1(VALU_DEP_2)
	v_add_co_u32 v12, vcc_lo, s6, v12
	v_add_co_ci_u32_e32 v13, vcc_lo, s7, v13, vcc_lo
	global_load_b128 v[15:18], v[12:13], off
	s_waitcnt vmcnt(0)
	v_mul_f64 v[12:13], v[17:18], -v[7:8]
	v_mul_f64 v[17:18], v[5:6], v[17:18]
	s_delay_alu instid0(VALU_DEP_2) | instskip(NEXT) | instid1(VALU_DEP_2)
	v_fma_f64 v[13:14], v[5:6], v[15:16], v[12:13]
	v_fma_f64 v[15:16], v[7:8], v[15:16], v[17:18]
	s_branch .LBB80_13
.LBB80_12:                              ;   in Loop: Header=BB80_13 Depth=2
	s_or_b32 exec_lo, exec_lo, s22
	v_add_nc_u32_e32 v11, 64, v11
	s_delay_alu instid0(VALU_DEP_1) | instskip(SKIP_1) | instid1(SALU_CYCLE_1)
	v_cmp_ge_i32_e32 vcc_lo, v11, v27
	s_or_b32 s21, vcc_lo, s21
	s_and_not1_b32 exec_lo, exec_lo, s21
	s_cbranch_execz .LBB80_9
.LBB80_13:                              ;   Parent Loop BB80_10 Depth=1
                                        ; =>  This Loop Header: Depth=2
                                        ;       Child Loop BB80_15 Depth 3
                                        ;         Child Loop BB80_21 Depth 4
                                        ;         Child Loop BB80_23 Depth 4
	;; [unrolled: 1-line block ×4, first 2 shown]
	v_ashrrev_i32_e32 v12, 31, v11
	s_mov_b32 s22, 0
	s_delay_alu instid0(VALU_DEP_1) | instskip(NEXT) | instid1(VALU_DEP_1)
	v_lshlrev_b64 v[17:18], 4, v[11:12]
	v_add_co_u32 v17, vcc_lo, s2, v17
	s_delay_alu instid0(VALU_DEP_2) | instskip(SKIP_2) | instid1(VALU_DEP_1)
	v_add_co_ci_u32_e32 v18, vcc_lo, s3, v18, vcc_lo
	global_load_b128 v[19:22], v[17:18], off
	v_lshlrev_b64 v[17:18], 2, v[11:12]
	v_add_co_u32 v17, vcc_lo, s10, v17
	s_delay_alu instid0(VALU_DEP_2)
	v_add_co_ci_u32_e32 v18, vcc_lo, s11, v18, vcc_lo
	global_load_b32 v10, v[17:18], off
	s_waitcnt vmcnt(1)
	v_mul_f64 v[17:18], v[21:22], -v[15:16]
	v_mul_f64 v[21:22], v[13:14], v[21:22]
	s_waitcnt vmcnt(0)
	v_subrev_nc_u32_e32 v10, s17, v10
	s_delay_alu instid0(VALU_DEP_1) | instskip(NEXT) | instid1(VALU_DEP_1)
	v_mul_lo_u32 v12, 0x89, v10
	v_and_b32_e32 v12, 0x1fff, v12
	v_fma_f64 v[17:18], v[13:14], v[19:20], v[17:18]
	v_fma_f64 v[19:20], v[15:16], v[19:20], v[21:22]
	s_branch .LBB80_15
.LBB80_14:                              ;   in Loop: Header=BB80_15 Depth=3
	s_or_b32 exec_lo, exec_lo, s23
	s_xor_b32 s23, s25, -1
	s_delay_alu instid0(SALU_CYCLE_1) | instskip(NEXT) | instid1(SALU_CYCLE_1)
	s_and_b32 s23, exec_lo, s23
	s_or_b32 s22, s23, s22
	s_delay_alu instid0(SALU_CYCLE_1)
	s_and_not1_b32 exec_lo, exec_lo, s22
	s_cbranch_execz .LBB80_12
.LBB80_15:                              ;   Parent Loop BB80_10 Depth=1
                                        ;     Parent Loop BB80_13 Depth=2
                                        ; =>    This Loop Header: Depth=3
                                        ;         Child Loop BB80_21 Depth 4
                                        ;         Child Loop BB80_23 Depth 4
	;; [unrolled: 1-line block ×4, first 2 shown]
	s_delay_alu instid0(VALU_DEP_3)
	v_lshl_add_u32 v21, v12, 2, 0
	s_mov_b32 s23, exec_lo
                                        ; implicit-def: $sgpr25
	ds_load_b32 v22, v21
	s_waitcnt lgkmcnt(0)
	v_cmpx_ne_u32_e64 v22, v10
	s_xor_b32 s23, exec_lo, s23
	s_cbranch_execz .LBB80_27
; %bb.16:                               ;   in Loop: Header=BB80_15 Depth=3
	s_mov_b32 s27, exec_lo
                                        ; implicit-def: $sgpr25
	v_cmpx_ne_u32_e64 s26, v22
	s_xor_b32 s27, exec_lo, s27
; %bb.17:                               ;   in Loop: Header=BB80_15 Depth=3
	v_add_nc_u32_e32 v12, 1, v12
	s_mov_b32 s25, -1
                                        ; implicit-def: $vgpr21
	s_delay_alu instid0(VALU_DEP_1)
	v_and_b32_e32 v12, 0x1fff, v12
; %bb.18:                               ;   in Loop: Header=BB80_15 Depth=3
	s_and_not1_saveexec_b32 s27, s27
	s_cbranch_execz .LBB80_26
; %bb.19:                               ;   in Loop: Header=BB80_15 Depth=3
	v_mov_b32_e32 v22, s26
	s_mov_b32 s29, -1
	s_mov_b32 s28, exec_lo
	ds_cmpstore_rtn_b32 v22, v21, v10, v22
	s_waitcnt lgkmcnt(0)
	v_cmpx_eq_u32_e64 s26, v22
	s_cbranch_execz .LBB80_25
; %bb.20:                               ;   in Loop: Header=BB80_15 Depth=3
	v_mul_lo_u32 v22, v12, 12
	s_mov_b32 s29, 0
	s_delay_alu instid0(VALU_DEP_1)
	v_add_nc_u32_e32 v28, v21, v22
	ds_load_b64 v[21:22], v28 offset:32768
.LBB80_21:                              ;   Parent Loop BB80_10 Depth=1
                                        ;     Parent Loop BB80_13 Depth=2
                                        ;       Parent Loop BB80_15 Depth=3
                                        ; =>      This Inner Loop Header: Depth=4
	s_waitcnt lgkmcnt(0)
	v_add_f64 v[29:30], v[21:22], v[17:18]
	ds_cmpstore_rtn_b64 v[29:30], v28, v[29:30], v[21:22] offset:32768
	s_waitcnt lgkmcnt(0)
	v_cmp_eq_u64_e32 vcc_lo, v[29:30], v[21:22]
	v_dual_mov_b32 v21, v29 :: v_dual_mov_b32 v22, v30
	s_or_b32 s29, vcc_lo, s29
	s_delay_alu instid0(SALU_CYCLE_1)
	s_and_not1_b32 exec_lo, exec_lo, s29
	s_cbranch_execnz .LBB80_21
; %bb.22:                               ;   in Loop: Header=BB80_15 Depth=3
	s_or_b32 exec_lo, exec_lo, s29
	ds_load_b64 v[21:22], v28 offset:32776
	s_mov_b32 s29, 0
.LBB80_23:                              ;   Parent Loop BB80_10 Depth=1
                                        ;     Parent Loop BB80_13 Depth=2
                                        ;       Parent Loop BB80_15 Depth=3
                                        ; =>      This Inner Loop Header: Depth=4
	s_waitcnt lgkmcnt(0)
	v_add_f64 v[29:30], v[21:22], v[19:20]
	ds_cmpstore_rtn_b64 v[29:30], v28, v[29:30], v[21:22] offset:32776
	s_waitcnt lgkmcnt(0)
	v_cmp_eq_u64_e32 vcc_lo, v[29:30], v[21:22]
	v_dual_mov_b32 v21, v29 :: v_dual_mov_b32 v22, v30
	s_or_b32 s29, vcc_lo, s29
	s_delay_alu instid0(SALU_CYCLE_1)
	s_and_not1_b32 exec_lo, exec_lo, s29
	s_cbranch_execnz .LBB80_23
; %bb.24:                               ;   in Loop: Header=BB80_15 Depth=3
	s_or_b32 exec_lo, exec_lo, s29
	s_delay_alu instid0(SALU_CYCLE_1)
	s_xor_b32 s29, exec_lo, -1
.LBB80_25:                              ;   in Loop: Header=BB80_15 Depth=3
	s_or_b32 exec_lo, exec_lo, s28
	s_delay_alu instid0(SALU_CYCLE_1) | instskip(SKIP_1) | instid1(SALU_CYCLE_1)
	s_and_not1_b32 s25, s25, exec_lo
	s_and_b32 s28, s29, exec_lo
	s_or_b32 s25, s25, s28
.LBB80_26:                              ;   in Loop: Header=BB80_15 Depth=3
	s_or_b32 exec_lo, exec_lo, s27
	s_delay_alu instid0(SALU_CYCLE_1)
	s_and_b32 s25, s25, exec_lo
                                        ; implicit-def: $vgpr21
.LBB80_27:                              ;   in Loop: Header=BB80_15 Depth=3
	s_and_not1_saveexec_b32 s23, s23
	s_cbranch_execz .LBB80_14
; %bb.28:                               ;   in Loop: Header=BB80_15 Depth=3
	v_mul_lo_u32 v22, v12, 12
	s_mov_b32 s27, 0
	s_delay_alu instid0(VALU_DEP_1)
	v_add_nc_u32_e32 v28, v21, v22
	ds_load_b64 v[21:22], v28 offset:32768
.LBB80_29:                              ;   Parent Loop BB80_10 Depth=1
                                        ;     Parent Loop BB80_13 Depth=2
                                        ;       Parent Loop BB80_15 Depth=3
                                        ; =>      This Inner Loop Header: Depth=4
	s_waitcnt lgkmcnt(0)
	v_add_f64 v[29:30], v[21:22], v[17:18]
	ds_cmpstore_rtn_b64 v[29:30], v28, v[29:30], v[21:22] offset:32768
	s_waitcnt lgkmcnt(0)
	v_cmp_eq_u64_e32 vcc_lo, v[29:30], v[21:22]
	v_dual_mov_b32 v21, v29 :: v_dual_mov_b32 v22, v30
	s_or_b32 s27, vcc_lo, s27
	s_delay_alu instid0(SALU_CYCLE_1)
	s_and_not1_b32 exec_lo, exec_lo, s27
	s_cbranch_execnz .LBB80_29
; %bb.30:                               ;   in Loop: Header=BB80_15 Depth=3
	s_or_b32 exec_lo, exec_lo, s27
	ds_load_b64 v[21:22], v28 offset:32776
	s_mov_b32 s27, 0
.LBB80_31:                              ;   Parent Loop BB80_10 Depth=1
                                        ;     Parent Loop BB80_13 Depth=2
                                        ;       Parent Loop BB80_15 Depth=3
                                        ; =>      This Inner Loop Header: Depth=4
	s_waitcnt lgkmcnt(0)
	v_add_f64 v[29:30], v[21:22], v[19:20]
	ds_cmpstore_rtn_b64 v[29:30], v28, v[29:30], v[21:22] offset:32776
	s_waitcnt lgkmcnt(0)
	v_cmp_eq_u64_e32 vcc_lo, v[29:30], v[21:22]
	v_dual_mov_b32 v21, v29 :: v_dual_mov_b32 v22, v30
	s_or_b32 s27, vcc_lo, s27
	s_delay_alu instid0(SALU_CYCLE_1)
	s_and_not1_b32 exec_lo, exec_lo, s27
	s_cbranch_execnz .LBB80_31
; %bb.32:                               ;   in Loop: Header=BB80_15 Depth=3
	s_or_b32 exec_lo, exec_lo, s27
	s_delay_alu instid0(SALU_CYCLE_1)
	s_and_not1_b32 s25, s25, exec_lo
	s_branch .LBB80_14
.LBB80_33:
	s_or_b32 exec_lo, exec_lo, s14
.LBB80_34:
	s_clause 0x1
	s_load_b64 s[16:17], s[0:1], 0x90
	s_load_b128 s[20:23], s[0:1], 0x80
	s_and_not1_b32 vcc_lo, exec_lo, s12
	s_cbranch_vccnz .LBB80_59
; %bb.35:
	s_load_b64 s[2:3], s[0:1], 0x68
	s_waitcnt lgkmcnt(0)
	s_ashr_i32 s25, s24, 31
	v_subrev_nc_u32_e32 v5, s19, v0
	s_lshl_b64 s[4:5], s[24:25], 2
	s_delay_alu instid0(SALU_CYCLE_1)
	s_add_u32 s2, s2, s4
	s_addc_u32 s3, s3, s5
	s_mov_b32 s5, exec_lo
	s_load_b64 s[2:3], s[2:3], 0x0
	s_waitcnt lgkmcnt(0)
	v_add_nc_u32_e32 v5, s2, v5
	s_sub_i32 s4, s3, s19
	s_delay_alu instid0(VALU_DEP_1) | instid1(SALU_CYCLE_1)
	v_cmpx_gt_i32_e64 s4, v5
	s_cbranch_execz .LBB80_58
; %bb.36:
	s_load_b128 s[0:3], s[0:1], 0x70
	s_mov_b32 s6, 0
	s_branch .LBB80_38
.LBB80_37:                              ;   in Loop: Header=BB80_38 Depth=1
	s_or_b32 exec_lo, exec_lo, s7
	v_add_nc_u32_e32 v5, 0x400, v5
	s_delay_alu instid0(VALU_DEP_1) | instskip(SKIP_1) | instid1(SALU_CYCLE_1)
	v_cmp_le_i32_e32 vcc_lo, s4, v5
	s_or_b32 s6, vcc_lo, s6
	s_and_not1_b32 exec_lo, exec_lo, s6
	s_cbranch_execz .LBB80_58
.LBB80_38:                              ; =>This Loop Header: Depth=1
                                        ;     Child Loop BB80_40 Depth 2
                                        ;       Child Loop BB80_46 Depth 3
                                        ;       Child Loop BB80_48 Depth 3
	;; [unrolled: 1-line block ×4, first 2 shown]
	v_ashrrev_i32_e32 v6, 31, v5
	s_mov_b32 s7, 0
	s_delay_alu instid0(VALU_DEP_1) | instskip(SKIP_1) | instid1(VALU_DEP_1)
	v_lshlrev_b64 v[7:8], 4, v[5:6]
	s_waitcnt lgkmcnt(0)
	v_add_co_u32 v7, vcc_lo, s2, v7
	s_delay_alu instid0(VALU_DEP_2) | instskip(SKIP_2) | instid1(VALU_DEP_1)
	v_add_co_ci_u32_e32 v8, vcc_lo, s3, v8, vcc_lo
	global_load_b128 v[8:11], v[7:8], off
	v_lshlrev_b64 v[6:7], 2, v[5:6]
	v_add_co_u32 v6, vcc_lo, s0, v6
	s_delay_alu instid0(VALU_DEP_2)
	v_add_co_ci_u32_e32 v7, vcc_lo, s1, v7, vcc_lo
	global_load_b32 v12, v[6:7], off
	s_waitcnt vmcnt(1)
	v_mul_f64 v[6:7], v[10:11], -v[1:2]
	v_mul_f64 v[10:11], v[3:4], v[10:11]
	s_waitcnt vmcnt(0)
	v_subrev_nc_u32_e32 v12, s19, v12
	s_delay_alu instid0(VALU_DEP_3) | instskip(NEXT) | instid1(VALU_DEP_3)
	v_fma_f64 v[6:7], v[3:4], v[8:9], v[6:7]
	v_fma_f64 v[8:9], v[1:2], v[8:9], v[10:11]
	s_delay_alu instid0(VALU_DEP_3) | instskip(NEXT) | instid1(VALU_DEP_1)
	v_mul_lo_u32 v10, 0x89, v12
	v_and_b32_e32 v13, 0x1fff, v10
	s_branch .LBB80_40
.LBB80_39:                              ;   in Loop: Header=BB80_40 Depth=2
	s_or_b32 exec_lo, exec_lo, s8
	s_xor_b32 s8, s9, -1
	s_delay_alu instid0(SALU_CYCLE_1) | instskip(NEXT) | instid1(SALU_CYCLE_1)
	s_and_b32 s8, exec_lo, s8
	s_or_b32 s7, s8, s7
	s_delay_alu instid0(SALU_CYCLE_1)
	s_and_not1_b32 exec_lo, exec_lo, s7
	s_cbranch_execz .LBB80_37
.LBB80_40:                              ;   Parent Loop BB80_38 Depth=1
                                        ; =>  This Loop Header: Depth=2
                                        ;       Child Loop BB80_46 Depth 3
                                        ;       Child Loop BB80_48 Depth 3
	;; [unrolled: 1-line block ×4, first 2 shown]
	s_delay_alu instid0(VALU_DEP_1)
	v_lshl_add_u32 v10, v13, 2, 0
	s_mov_b32 s8, exec_lo
                                        ; implicit-def: $sgpr9
	ds_load_b32 v11, v10
	s_waitcnt lgkmcnt(0)
	v_cmpx_ne_u32_e64 v11, v12
	s_xor_b32 s8, exec_lo, s8
	s_cbranch_execz .LBB80_52
; %bb.41:                               ;   in Loop: Header=BB80_40 Depth=2
	s_mov_b32 s10, exec_lo
                                        ; implicit-def: $sgpr9
	v_cmpx_ne_u32_e64 s26, v11
	s_xor_b32 s10, exec_lo, s10
; %bb.42:                               ;   in Loop: Header=BB80_40 Depth=2
	v_add_nc_u32_e32 v10, 1, v13
	s_mov_b32 s9, -1
	s_delay_alu instid0(VALU_DEP_1)
	v_and_b32_e32 v13, 0x1fff, v10
                                        ; implicit-def: $vgpr10
; %bb.43:                               ;   in Loop: Header=BB80_40 Depth=2
	s_and_not1_saveexec_b32 s10, s10
	s_cbranch_execz .LBB80_51
; %bb.44:                               ;   in Loop: Header=BB80_40 Depth=2
	v_mov_b32_e32 v11, s26
	s_mov_b32 s12, -1
	s_mov_b32 s11, exec_lo
	ds_cmpstore_rtn_b32 v11, v10, v12, v11
	s_waitcnt lgkmcnt(0)
	v_cmpx_eq_u32_e64 s26, v11
	s_cbranch_execz .LBB80_50
; %bb.45:                               ;   in Loop: Header=BB80_40 Depth=2
	v_mul_lo_u32 v11, v13, 12
	s_mov_b32 s12, 0
	s_delay_alu instid0(VALU_DEP_1)
	v_add_nc_u32_e32 v14, v10, v11
	ds_load_b64 v[10:11], v14 offset:32768
.LBB80_46:                              ;   Parent Loop BB80_38 Depth=1
                                        ;     Parent Loop BB80_40 Depth=2
                                        ; =>    This Inner Loop Header: Depth=3
	s_waitcnt lgkmcnt(0)
	v_add_f64 v[15:16], v[10:11], v[6:7]
	ds_cmpstore_rtn_b64 v[15:16], v14, v[15:16], v[10:11] offset:32768
	s_waitcnt lgkmcnt(0)
	v_cmp_eq_u64_e32 vcc_lo, v[15:16], v[10:11]
	v_dual_mov_b32 v10, v15 :: v_dual_mov_b32 v11, v16
	s_or_b32 s12, vcc_lo, s12
	s_delay_alu instid0(SALU_CYCLE_1)
	s_and_not1_b32 exec_lo, exec_lo, s12
	s_cbranch_execnz .LBB80_46
; %bb.47:                               ;   in Loop: Header=BB80_40 Depth=2
	s_or_b32 exec_lo, exec_lo, s12
	ds_load_b64 v[10:11], v14 offset:32776
	s_mov_b32 s12, 0
.LBB80_48:                              ;   Parent Loop BB80_38 Depth=1
                                        ;     Parent Loop BB80_40 Depth=2
                                        ; =>    This Inner Loop Header: Depth=3
	s_waitcnt lgkmcnt(0)
	v_add_f64 v[15:16], v[10:11], v[8:9]
	ds_cmpstore_rtn_b64 v[15:16], v14, v[15:16], v[10:11] offset:32776
	s_waitcnt lgkmcnt(0)
	v_cmp_eq_u64_e32 vcc_lo, v[15:16], v[10:11]
	v_dual_mov_b32 v10, v15 :: v_dual_mov_b32 v11, v16
	s_or_b32 s12, vcc_lo, s12
	s_delay_alu instid0(SALU_CYCLE_1)
	s_and_not1_b32 exec_lo, exec_lo, s12
	s_cbranch_execnz .LBB80_48
; %bb.49:                               ;   in Loop: Header=BB80_40 Depth=2
	s_or_b32 exec_lo, exec_lo, s12
	s_delay_alu instid0(SALU_CYCLE_1)
	s_xor_b32 s12, exec_lo, -1
.LBB80_50:                              ;   in Loop: Header=BB80_40 Depth=2
	s_or_b32 exec_lo, exec_lo, s11
	s_delay_alu instid0(SALU_CYCLE_1) | instskip(SKIP_1) | instid1(SALU_CYCLE_1)
	s_and_not1_b32 s9, s9, exec_lo
	s_and_b32 s11, s12, exec_lo
	s_or_b32 s9, s9, s11
.LBB80_51:                              ;   in Loop: Header=BB80_40 Depth=2
	s_or_b32 exec_lo, exec_lo, s10
	s_delay_alu instid0(SALU_CYCLE_1)
	s_and_b32 s9, s9, exec_lo
                                        ; implicit-def: $vgpr10
.LBB80_52:                              ;   in Loop: Header=BB80_40 Depth=2
	s_and_not1_saveexec_b32 s8, s8
	s_cbranch_execz .LBB80_39
; %bb.53:                               ;   in Loop: Header=BB80_40 Depth=2
	v_mul_lo_u32 v11, v13, 12
	s_mov_b32 s10, 0
	s_delay_alu instid0(VALU_DEP_1)
	v_add_nc_u32_e32 v14, v10, v11
	ds_load_b64 v[10:11], v14 offset:32768
.LBB80_54:                              ;   Parent Loop BB80_38 Depth=1
                                        ;     Parent Loop BB80_40 Depth=2
                                        ; =>    This Inner Loop Header: Depth=3
	s_waitcnt lgkmcnt(0)
	v_add_f64 v[15:16], v[10:11], v[6:7]
	ds_cmpstore_rtn_b64 v[15:16], v14, v[15:16], v[10:11] offset:32768
	s_waitcnt lgkmcnt(0)
	v_cmp_eq_u64_e32 vcc_lo, v[15:16], v[10:11]
	v_dual_mov_b32 v10, v15 :: v_dual_mov_b32 v11, v16
	s_or_b32 s10, vcc_lo, s10
	s_delay_alu instid0(SALU_CYCLE_1)
	s_and_not1_b32 exec_lo, exec_lo, s10
	s_cbranch_execnz .LBB80_54
; %bb.55:                               ;   in Loop: Header=BB80_40 Depth=2
	s_or_b32 exec_lo, exec_lo, s10
	ds_load_b64 v[10:11], v14 offset:32776
	s_mov_b32 s10, 0
.LBB80_56:                              ;   Parent Loop BB80_38 Depth=1
                                        ;     Parent Loop BB80_40 Depth=2
                                        ; =>    This Inner Loop Header: Depth=3
	s_waitcnt lgkmcnt(0)
	v_add_f64 v[15:16], v[10:11], v[8:9]
	ds_cmpstore_rtn_b64 v[15:16], v14, v[15:16], v[10:11] offset:32776
	s_waitcnt lgkmcnt(0)
	v_cmp_eq_u64_e32 vcc_lo, v[15:16], v[10:11]
	v_dual_mov_b32 v10, v15 :: v_dual_mov_b32 v11, v16
	s_or_b32 s10, vcc_lo, s10
	s_delay_alu instid0(SALU_CYCLE_1)
	s_and_not1_b32 exec_lo, exec_lo, s10
	s_cbranch_execnz .LBB80_56
; %bb.57:                               ;   in Loop: Header=BB80_40 Depth=2
	s_or_b32 exec_lo, exec_lo, s10
	s_delay_alu instid0(SALU_CYCLE_1)
	s_and_not1_b32 s9, s9, exec_lo
	s_branch .LBB80_39
.LBB80_58:
	s_or_b32 exec_lo, exec_lo, s5
.LBB80_59:
	v_mbcnt_lo_u32_b32 v1, -1, 0
	v_dual_mov_b32 v5, 0 :: v_dual_lshlrev_b32 v2, 2, v25
	s_add_i32 s38, 0, 0x2803c
	v_cmp_eq_u32_e32 vcc_lo, 0x3ff, v0
	s_delay_alu instid0(VALU_DEP_3) | instskip(NEXT) | instid1(VALU_DEP_3)
	v_xor_b32_e32 v1, 63, v1
	v_add3_u32 v3, 0, 0x28000, v2
	v_cmp_lt_u32_e64 s0, 63, v0
	v_cmp_lt_u32_e64 s1, 0x7f, v0
	;; [unrolled: 1-line block ×3, first 2 shown]
	v_lshrrev_b64 v[1:2], v1, -1
	v_cmp_lt_u32_e64 s3, 0xff, v0
	v_cmp_lt_u32_e64 s4, 0x13f, v0
	;; [unrolled: 1-line block ×12, first 2 shown]
	v_add3_u32 v2, v24, 0, 0x8000
	v_or_b32_e32 v4, 0xfffffc00, v0
	v_mov_b32_e32 v6, s38
	s_mov_b32 s19, 0
	s_add_i32 s25, 0, 0x28000
	s_add_i32 s27, 0, 0x28004
	;; [unrolled: 1-line block ×15, first 2 shown]
	s_waitcnt lgkmcnt(0)
	s_barrier
	buffer_gl0_inv
	s_branch .LBB80_61
.LBB80_60:                              ;   in Loop: Header=BB80_61 Depth=1
	s_or_b32 exec_lo, exec_lo, s15
	s_waitcnt lgkmcnt(0)
	s_barrier
	buffer_gl0_inv
	ds_load_b32 v7, v6
	v_add_nc_u32_e32 v4, 0x400, v4
	v_add_nc_u32_e32 v2, 0x4000, v2
	;; [unrolled: 1-line block ×3, first 2 shown]
	s_delay_alu instid0(VALU_DEP_3) | instskip(NEXT) | instid1(VALU_DEP_1)
	v_cmp_lt_u32_e64 s15, 0x1bff, v4
	s_or_b32 s19, s15, s19
	s_waitcnt lgkmcnt(0)
	v_add_nc_u32_e32 v5, v7, v5
	s_and_not1_b32 exec_lo, exec_lo, s19
	s_cbranch_execz .LBB80_95
.LBB80_61:                              ; =>This Inner Loop Header: Depth=1
	ds_load_b32 v7, v23
	ds_load_2addr_b64 v[8:11], v2 offset1:1
	s_waitcnt lgkmcnt(1)
	v_cmp_gt_i32_e64 s15, s26, v7
	s_waitcnt lgkmcnt(0)
	scratch_store_b128 off, v[8:11], off
	s_waitcnt_vscnt null, 0x0
	s_barrier
	buffer_gl0_inv
	s_bcnt1_i32_b32 s43, s15
	s_delay_alu instid0(SALU_CYCLE_1) | instskip(NEXT) | instid1(VALU_DEP_1)
	v_dual_mov_b32 v9, s43 :: v_dual_and_b32 v8, s15, v1
	v_bcnt_u32_b32 v8, v8, 0
	ds_store_b32 v3, v9
	s_waitcnt lgkmcnt(0)
	s_barrier
	buffer_gl0_inv
	s_and_saveexec_b32 s43, s0
	s_cbranch_execnz .LBB80_78
; %bb.62:                               ;   in Loop: Header=BB80_61 Depth=1
	s_or_b32 exec_lo, exec_lo, s43
	s_and_saveexec_b32 s43, s1
	s_cbranch_execnz .LBB80_79
.LBB80_63:                              ;   in Loop: Header=BB80_61 Depth=1
	s_or_b32 exec_lo, exec_lo, s43
	s_and_saveexec_b32 s43, s2
	s_cbranch_execnz .LBB80_80
.LBB80_64:                              ;   in Loop: Header=BB80_61 Depth=1
	s_or_b32 exec_lo, exec_lo, s43
	s_and_saveexec_b32 s43, s3
	s_cbranch_execnz .LBB80_81
.LBB80_65:                              ;   in Loop: Header=BB80_61 Depth=1
	s_or_b32 exec_lo, exec_lo, s43
	s_and_saveexec_b32 s43, s4
	s_cbranch_execnz .LBB80_82
.LBB80_66:                              ;   in Loop: Header=BB80_61 Depth=1
	s_or_b32 exec_lo, exec_lo, s43
	s_and_saveexec_b32 s43, s5
	s_cbranch_execnz .LBB80_83
.LBB80_67:                              ;   in Loop: Header=BB80_61 Depth=1
	s_or_b32 exec_lo, exec_lo, s43
	s_and_saveexec_b32 s43, s6
	s_cbranch_execnz .LBB80_84
.LBB80_68:                              ;   in Loop: Header=BB80_61 Depth=1
	s_or_b32 exec_lo, exec_lo, s43
	s_and_saveexec_b32 s43, s7
	s_cbranch_execnz .LBB80_85
.LBB80_69:                              ;   in Loop: Header=BB80_61 Depth=1
	s_or_b32 exec_lo, exec_lo, s43
	s_and_saveexec_b32 s43, s8
	s_cbranch_execnz .LBB80_86
.LBB80_70:                              ;   in Loop: Header=BB80_61 Depth=1
	s_or_b32 exec_lo, exec_lo, s43
	s_and_saveexec_b32 s43, s9
	s_cbranch_execnz .LBB80_87
.LBB80_71:                              ;   in Loop: Header=BB80_61 Depth=1
	s_or_b32 exec_lo, exec_lo, s43
	s_and_saveexec_b32 s43, s10
	s_cbranch_execnz .LBB80_88
.LBB80_72:                              ;   in Loop: Header=BB80_61 Depth=1
	s_or_b32 exec_lo, exec_lo, s43
	s_and_saveexec_b32 s43, s11
	s_cbranch_execnz .LBB80_89
.LBB80_73:                              ;   in Loop: Header=BB80_61 Depth=1
	s_or_b32 exec_lo, exec_lo, s43
	s_and_saveexec_b32 s43, s12
	s_cbranch_execnz .LBB80_90
.LBB80_74:                              ;   in Loop: Header=BB80_61 Depth=1
	s_or_b32 exec_lo, exec_lo, s43
	s_and_saveexec_b32 s43, s13
	s_cbranch_execnz .LBB80_91
.LBB80_75:                              ;   in Loop: Header=BB80_61 Depth=1
	s_or_b32 exec_lo, exec_lo, s43
	s_and_saveexec_b32 s43, s14
	s_cbranch_execnz .LBB80_92
.LBB80_76:                              ;   in Loop: Header=BB80_61 Depth=1
	s_or_b32 exec_lo, exec_lo, s43
	s_and_saveexec_b32 s43, s15
	s_cbranch_execnz .LBB80_93
.LBB80_77:                              ;   in Loop: Header=BB80_61 Depth=1
	s_or_b32 exec_lo, exec_lo, s43
	s_and_saveexec_b32 s15, vcc_lo
	s_cbranch_execz .LBB80_60
	s_branch .LBB80_94
.LBB80_78:                              ;   in Loop: Header=BB80_61 Depth=1
	v_mov_b32_e32 v9, s25
	ds_load_b32 v9, v9
	s_waitcnt lgkmcnt(0)
	v_add_nc_u32_e32 v8, v9, v8
	s_or_b32 exec_lo, exec_lo, s43
	s_and_saveexec_b32 s43, s1
	s_cbranch_execz .LBB80_63
.LBB80_79:                              ;   in Loop: Header=BB80_61 Depth=1
	v_mov_b32_e32 v9, s27
	ds_load_b32 v9, v9
	s_waitcnt lgkmcnt(0)
	v_add_nc_u32_e32 v8, v9, v8
	s_or_b32 exec_lo, exec_lo, s43
	s_and_saveexec_b32 s43, s2
	s_cbranch_execz .LBB80_64
.LBB80_80:                              ;   in Loop: Header=BB80_61 Depth=1
	v_mov_b32_e32 v9, s28
	ds_load_b32 v9, v9
	s_waitcnt lgkmcnt(0)
	v_add_nc_u32_e32 v8, v9, v8
	s_or_b32 exec_lo, exec_lo, s43
	s_and_saveexec_b32 s43, s3
	s_cbranch_execz .LBB80_65
.LBB80_81:                              ;   in Loop: Header=BB80_61 Depth=1
	v_mov_b32_e32 v9, s29
	ds_load_b32 v9, v9
	s_waitcnt lgkmcnt(0)
	v_add_nc_u32_e32 v8, v9, v8
	s_or_b32 exec_lo, exec_lo, s43
	s_and_saveexec_b32 s43, s4
	s_cbranch_execz .LBB80_66
.LBB80_82:                              ;   in Loop: Header=BB80_61 Depth=1
	v_mov_b32_e32 v9, s30
	ds_load_b32 v9, v9
	s_waitcnt lgkmcnt(0)
	v_add_nc_u32_e32 v8, v9, v8
	s_or_b32 exec_lo, exec_lo, s43
	s_and_saveexec_b32 s43, s5
	s_cbranch_execz .LBB80_67
.LBB80_83:                              ;   in Loop: Header=BB80_61 Depth=1
	v_mov_b32_e32 v9, s31
	ds_load_b32 v9, v9
	s_waitcnt lgkmcnt(0)
	v_add_nc_u32_e32 v8, v9, v8
	s_or_b32 exec_lo, exec_lo, s43
	s_and_saveexec_b32 s43, s6
	s_cbranch_execz .LBB80_68
.LBB80_84:                              ;   in Loop: Header=BB80_61 Depth=1
	v_mov_b32_e32 v9, s33
	ds_load_b32 v9, v9
	s_waitcnt lgkmcnt(0)
	v_add_nc_u32_e32 v8, v9, v8
	s_or_b32 exec_lo, exec_lo, s43
	s_and_saveexec_b32 s43, s7
	s_cbranch_execz .LBB80_69
.LBB80_85:                              ;   in Loop: Header=BB80_61 Depth=1
	v_mov_b32_e32 v9, s34
	ds_load_b32 v9, v9
	s_waitcnt lgkmcnt(0)
	v_add_nc_u32_e32 v8, v9, v8
	s_or_b32 exec_lo, exec_lo, s43
	s_and_saveexec_b32 s43, s8
	s_cbranch_execz .LBB80_70
.LBB80_86:                              ;   in Loop: Header=BB80_61 Depth=1
	v_mov_b32_e32 v9, s35
	ds_load_b32 v9, v9
	s_waitcnt lgkmcnt(0)
	v_add_nc_u32_e32 v8, v9, v8
	s_or_b32 exec_lo, exec_lo, s43
	s_and_saveexec_b32 s43, s9
	s_cbranch_execz .LBB80_71
.LBB80_87:                              ;   in Loop: Header=BB80_61 Depth=1
	v_mov_b32_e32 v9, s36
	ds_load_b32 v9, v9
	s_waitcnt lgkmcnt(0)
	v_add_nc_u32_e32 v8, v9, v8
	s_or_b32 exec_lo, exec_lo, s43
	s_and_saveexec_b32 s43, s10
	s_cbranch_execz .LBB80_72
.LBB80_88:                              ;   in Loop: Header=BB80_61 Depth=1
	v_mov_b32_e32 v9, s37
	ds_load_b32 v9, v9
	s_waitcnt lgkmcnt(0)
	v_add_nc_u32_e32 v8, v9, v8
	s_or_b32 exec_lo, exec_lo, s43
	s_and_saveexec_b32 s43, s11
	s_cbranch_execz .LBB80_73
.LBB80_89:                              ;   in Loop: Header=BB80_61 Depth=1
	v_mov_b32_e32 v9, s39
	ds_load_b32 v9, v9
	s_waitcnt lgkmcnt(0)
	v_add_nc_u32_e32 v8, v9, v8
	s_or_b32 exec_lo, exec_lo, s43
	s_and_saveexec_b32 s43, s12
	s_cbranch_execz .LBB80_74
.LBB80_90:                              ;   in Loop: Header=BB80_61 Depth=1
	v_mov_b32_e32 v9, s40
	ds_load_b32 v9, v9
	s_waitcnt lgkmcnt(0)
	v_add_nc_u32_e32 v8, v9, v8
	s_or_b32 exec_lo, exec_lo, s43
	s_and_saveexec_b32 s43, s13
	s_cbranch_execz .LBB80_75
.LBB80_91:                              ;   in Loop: Header=BB80_61 Depth=1
	v_mov_b32_e32 v9, s41
	ds_load_b32 v9, v9
	s_waitcnt lgkmcnt(0)
	v_add_nc_u32_e32 v8, v9, v8
	s_or_b32 exec_lo, exec_lo, s43
	s_and_saveexec_b32 s43, s14
	s_cbranch_execz .LBB80_76
.LBB80_92:                              ;   in Loop: Header=BB80_61 Depth=1
	v_mov_b32_e32 v9, s42
	ds_load_b32 v9, v9
	s_waitcnt lgkmcnt(0)
	v_add_nc_u32_e32 v8, v9, v8
	s_or_b32 exec_lo, exec_lo, s43
	s_and_saveexec_b32 s43, s15
	s_cbranch_execz .LBB80_77
.LBB80_93:                              ;   in Loop: Header=BB80_61 Depth=1
	scratch_load_b128 v[9:12], off, off
	v_add3_u32 v13, v5, -1, v8
	s_delay_alu instid0(VALU_DEP_1) | instskip(SKIP_1) | instid1(VALU_DEP_2)
	v_lshlrev_b32_e32 v14, 4, v13
	v_lshl_add_u32 v13, v13, 2, 0
	v_add3_u32 v14, 0, v14, 0x8000
	ds_store_b32 v13, v7
	s_waitcnt vmcnt(0)
	ds_store_2addr_b64 v14, v[9:10], v[11:12] offset1:1
	s_or_b32 exec_lo, exec_lo, s43
	s_and_saveexec_b32 s15, vcc_lo
	s_cbranch_execz .LBB80_60
.LBB80_94:                              ;   in Loop: Header=BB80_61 Depth=1
	v_mov_b32_e32 v7, s38
	ds_store_b32 v7, v8
	s_branch .LBB80_60
.LBB80_95:
	s_or_b32 exec_lo, exec_lo, s19
	s_ashr_i32 s25, s24, 31
	s_mov_b32 s3, exec_lo
	s_lshl_b64 s[0:1], s[24:25], 2
	s_delay_alu instid0(SALU_CYCLE_1) | instskip(SKIP_4) | instid1(SALU_CYCLE_1)
	s_add_u32 s0, s20, s0
	s_addc_u32 s1, s21, s1
	s_load_b64 s[0:1], s[0:1], 0x0
	s_waitcnt lgkmcnt(0)
	s_sub_i32 s2, s1, s0
	v_cmpx_gt_i32_e64 s2, v0
	s_cbranch_execz .LBB80_105
; %bb.96:
	s_sub_i32 s3, s0, s18
	s_sub_i32 s0, s0, s1
	s_and_b32 s1, s2, 7
	s_cmp_lt_u32 s0, -7
	s_mov_b32 s7, 0
	s_cselect_b32 s4, -1, 0
	s_and_b32 s5, s2, -8
	s_cmp_lg_u32 s1, 0
	s_cselect_b32 s6, -1, 0
	s_branch .LBB80_98
.LBB80_97:                              ;   in Loop: Header=BB80_98 Depth=1
	v_mul_lo_u32 v4, v0, 12
	v_add_nc_u32_e32 v0, 0x400, v0
	s_waitcnt lgkmcnt(0)
	v_add_nc_u32_e32 v3, s18, v3
	s_delay_alu instid0(VALU_DEP_3) | instskip(SKIP_4) | instid1(VALU_DEP_2)
	v_add3_u32 v4, v2, v4, 0x8000
	v_ashrrev_i32_e32 v2, 31, v1
	ds_load_2addr_b64 v[4:7], v4 offset1:1
	v_lshlrev_b64 v[8:9], 2, v[1:2]
	v_lshlrev_b64 v[1:2], 4, v[1:2]
	v_add_co_u32 v8, vcc_lo, s22, v8
	s_delay_alu instid0(VALU_DEP_3) | instskip(SKIP_1) | instid1(VALU_DEP_4)
	v_add_co_ci_u32_e32 v9, vcc_lo, s23, v9, vcc_lo
	v_cmp_le_i32_e32 vcc_lo, s2, v0
	v_add_co_u32 v1, s0, s16, v1
	s_delay_alu instid0(VALU_DEP_1)
	v_add_co_ci_u32_e64 v2, s0, s17, v2, s0
	s_or_b32 s7, vcc_lo, s7
	global_store_b32 v[8:9], v3, off
	s_waitcnt lgkmcnt(0)
	global_store_b128 v[1:2], v[4:7], off
	s_and_not1_b32 exec_lo, exec_lo, s7
	s_cbranch_execz .LBB80_105
.LBB80_98:                              ; =>This Loop Header: Depth=1
                                        ;     Child Loop BB80_100 Depth 2
                                        ;     Child Loop BB80_104 Depth 2
	v_lshl_add_u32 v2, v0, 2, 0
	v_mov_b32_e32 v1, s3
	s_and_not1_b32 vcc_lo, exec_lo, s4
	s_mov_b32 s0, 0
	ds_load_b32 v3, v2
	s_cbranch_vccnz .LBB80_102
; %bb.99:                               ;   in Loop: Header=BB80_98 Depth=1
	v_mov_b32_e32 v1, s3
	s_mov_b32 s8, 0
	s_set_inst_prefetch_distance 0x1
	.p2align	6
.LBB80_100:                             ;   Parent Loop BB80_98 Depth=1
                                        ; =>  This Inner Loop Header: Depth=2
	v_mov_b32_e32 v10, s8
	s_add_i32 s0, s0, 8
	s_add_i32 s8, s8, 32
	s_cmp_eq_u32 s5, s0
	ds_load_2addr_b32 v[4:5], v10 offset1:1
	ds_load_2addr_b32 v[6:7], v10 offset0:2 offset1:3
	ds_load_2addr_b32 v[8:9], v10 offset0:4 offset1:5
	;; [unrolled: 1-line block ×3, first 2 shown]
	s_waitcnt lgkmcnt(3)
	v_cmp_gt_i32_e32 vcc_lo, v3, v4
	v_cndmask_b32_e64 v4, 0, 1, vcc_lo
	s_waitcnt lgkmcnt(2)
	v_cmp_gt_i32_e32 vcc_lo, v3, v6
	v_cndmask_b32_e64 v6, 0, 1, vcc_lo
	v_cmp_gt_i32_e32 vcc_lo, v3, v5
	v_add_co_ci_u32_e32 v1, vcc_lo, v1, v4, vcc_lo
	s_waitcnt lgkmcnt(1)
	v_cmp_gt_i32_e32 vcc_lo, v3, v8
	v_cndmask_b32_e64 v4, 0, 1, vcc_lo
	v_cmp_gt_i32_e32 vcc_lo, v3, v7
	v_add_co_ci_u32_e32 v1, vcc_lo, v1, v6, vcc_lo
	;; [unrolled: 5-line block ×3, first 2 shown]
	v_cmp_gt_i32_e32 vcc_lo, v3, v11
	s_delay_alu instid0(VALU_DEP_2)
	v_add_co_ci_u32_e32 v1, vcc_lo, v1, v5, vcc_lo
	s_cbranch_scc0 .LBB80_100
; %bb.101:                              ;   in Loop: Header=BB80_98 Depth=1
	s_set_inst_prefetch_distance 0x2
	s_mov_b32 s0, s5
.LBB80_102:                             ;   in Loop: Header=BB80_98 Depth=1
	s_and_not1_b32 vcc_lo, exec_lo, s6
	s_cbranch_vccnz .LBB80_97
; %bb.103:                              ;   in Loop: Header=BB80_98 Depth=1
	s_lshl_b32 s0, s0, 2
	s_mov_b32 s8, s1
	s_add_i32 s0, s0, 0
.LBB80_104:                             ;   Parent Loop BB80_98 Depth=1
                                        ; =>  This Inner Loop Header: Depth=2
	s_delay_alu instid0(SALU_CYCLE_1)
	v_mov_b32_e32 v4, s0
	s_add_i32 s8, s8, -1
	s_add_i32 s0, s0, 4
	s_cmp_lg_u32 s8, 0
	ds_load_b32 v4, v4
	s_waitcnt lgkmcnt(0)
	v_cmp_gt_i32_e32 vcc_lo, v3, v4
	v_add_co_ci_u32_e32 v1, vcc_lo, 0, v1, vcc_lo
	s_cbranch_scc1 .LBB80_104
	s_branch .LBB80_97
.LBB80_105:
	s_nop 0
	s_sendmsg sendmsg(MSG_DEALLOC_VGPRS)
	s_endpgm
	.section	.rodata,"a",@progbits
	.p2align	6, 0x0
	.amdhsa_kernel _ZN9rocsparseL26csrgemm_fill_block_per_rowILj1024ELj64ELj8192ELj137ELj64Eii21rocsparse_complex_numIdEEEvT5_PKS3_S5_NS_24const_host_device_scalarIT6_EEPKT4_S5_PKS7_SB_S5_SD_S8_SB_S5_SD_SB_PS3_PS7_21rocsparse_index_base_SG_SG_SG_bbb
		.amdhsa_group_segment_fixed_size 0
		.amdhsa_private_segment_fixed_size 40
		.amdhsa_kernarg_size 172
		.amdhsa_user_sgpr_count 15
		.amdhsa_user_sgpr_dispatch_ptr 0
		.amdhsa_user_sgpr_queue_ptr 0
		.amdhsa_user_sgpr_kernarg_segment_ptr 1
		.amdhsa_user_sgpr_dispatch_id 0
		.amdhsa_user_sgpr_private_segment_size 0
		.amdhsa_wavefront_size32 1
		.amdhsa_uses_dynamic_stack 0
		.amdhsa_enable_private_segment 1
		.amdhsa_system_sgpr_workgroup_id_x 1
		.amdhsa_system_sgpr_workgroup_id_y 0
		.amdhsa_system_sgpr_workgroup_id_z 0
		.amdhsa_system_sgpr_workgroup_info 0
		.amdhsa_system_vgpr_workitem_id 0
		.amdhsa_next_free_vgpr 31
		.amdhsa_next_free_sgpr 44
		.amdhsa_reserve_vcc 1
		.amdhsa_float_round_mode_32 0
		.amdhsa_float_round_mode_16_64 0
		.amdhsa_float_denorm_mode_32 3
		.amdhsa_float_denorm_mode_16_64 3
		.amdhsa_dx10_clamp 1
		.amdhsa_ieee_mode 1
		.amdhsa_fp16_overflow 0
		.amdhsa_workgroup_processor_mode 1
		.amdhsa_memory_ordered 1
		.amdhsa_forward_progress 0
		.amdhsa_shared_vgpr_count 0
		.amdhsa_exception_fp_ieee_invalid_op 0
		.amdhsa_exception_fp_denorm_src 0
		.amdhsa_exception_fp_ieee_div_zero 0
		.amdhsa_exception_fp_ieee_overflow 0
		.amdhsa_exception_fp_ieee_underflow 0
		.amdhsa_exception_fp_ieee_inexact 0
		.amdhsa_exception_int_div_zero 0
	.end_amdhsa_kernel
	.section	.text._ZN9rocsparseL26csrgemm_fill_block_per_rowILj1024ELj64ELj8192ELj137ELj64Eii21rocsparse_complex_numIdEEEvT5_PKS3_S5_NS_24const_host_device_scalarIT6_EEPKT4_S5_PKS7_SB_S5_SD_S8_SB_S5_SD_SB_PS3_PS7_21rocsparse_index_base_SG_SG_SG_bbb,"axG",@progbits,_ZN9rocsparseL26csrgemm_fill_block_per_rowILj1024ELj64ELj8192ELj137ELj64Eii21rocsparse_complex_numIdEEEvT5_PKS3_S5_NS_24const_host_device_scalarIT6_EEPKT4_S5_PKS7_SB_S5_SD_S8_SB_S5_SD_SB_PS3_PS7_21rocsparse_index_base_SG_SG_SG_bbb,comdat
.Lfunc_end80:
	.size	_ZN9rocsparseL26csrgemm_fill_block_per_rowILj1024ELj64ELj8192ELj137ELj64Eii21rocsparse_complex_numIdEEEvT5_PKS3_S5_NS_24const_host_device_scalarIT6_EEPKT4_S5_PKS7_SB_S5_SD_S8_SB_S5_SD_SB_PS3_PS7_21rocsparse_index_base_SG_SG_SG_bbb, .Lfunc_end80-_ZN9rocsparseL26csrgemm_fill_block_per_rowILj1024ELj64ELj8192ELj137ELj64Eii21rocsparse_complex_numIdEEEvT5_PKS3_S5_NS_24const_host_device_scalarIT6_EEPKT4_S5_PKS7_SB_S5_SD_S8_SB_S5_SD_SB_PS3_PS7_21rocsparse_index_base_SG_SG_SG_bbb
                                        ; -- End function
	.section	.AMDGPU.csdata,"",@progbits
; Kernel info:
; codeLenInByte = 4448
; NumSgprs: 46
; NumVgprs: 31
; ScratchSize: 40
; MemoryBound: 0
; FloatMode: 240
; IeeeMode: 1
; LDSByteSize: 0 bytes/workgroup (compile time only)
; SGPRBlocks: 5
; VGPRBlocks: 3
; NumSGPRsForWavesPerEU: 46
; NumVGPRsForWavesPerEU: 31
; Occupancy: 16
; WaveLimiterHint : 1
; COMPUTE_PGM_RSRC2:SCRATCH_EN: 1
; COMPUTE_PGM_RSRC2:USER_SGPR: 15
; COMPUTE_PGM_RSRC2:TRAP_HANDLER: 0
; COMPUTE_PGM_RSRC2:TGID_X_EN: 1
; COMPUTE_PGM_RSRC2:TGID_Y_EN: 0
; COMPUTE_PGM_RSRC2:TGID_Z_EN: 0
; COMPUTE_PGM_RSRC2:TIDIG_COMP_CNT: 0
	.section	.text._ZN9rocsparseL26csrgemm_fill_block_per_rowILj1024ELj64ELj16384ELj137ELj32Eii21rocsparse_complex_numIdEEEvT5_PKS3_S5_NS_24const_host_device_scalarIT6_EEPKT4_S5_PKS7_SB_S5_SD_S8_SB_S5_SD_SB_PS3_PS7_21rocsparse_index_base_SG_SG_SG_bbb,"axG",@progbits,_ZN9rocsparseL26csrgemm_fill_block_per_rowILj1024ELj64ELj16384ELj137ELj32Eii21rocsparse_complex_numIdEEEvT5_PKS3_S5_NS_24const_host_device_scalarIT6_EEPKT4_S5_PKS7_SB_S5_SD_S8_SB_S5_SD_SB_PS3_PS7_21rocsparse_index_base_SG_SG_SG_bbb,comdat
	.globl	_ZN9rocsparseL26csrgemm_fill_block_per_rowILj1024ELj64ELj16384ELj137ELj32Eii21rocsparse_complex_numIdEEEvT5_PKS3_S5_NS_24const_host_device_scalarIT6_EEPKT4_S5_PKS7_SB_S5_SD_S8_SB_S5_SD_SB_PS3_PS7_21rocsparse_index_base_SG_SG_SG_bbb ; -- Begin function _ZN9rocsparseL26csrgemm_fill_block_per_rowILj1024ELj64ELj16384ELj137ELj32Eii21rocsparse_complex_numIdEEEvT5_PKS3_S5_NS_24const_host_device_scalarIT6_EEPKT4_S5_PKS7_SB_S5_SD_S8_SB_S5_SD_SB_PS3_PS7_21rocsparse_index_base_SG_SG_SG_bbb
	.p2align	8
	.type	_ZN9rocsparseL26csrgemm_fill_block_per_rowILj1024ELj64ELj16384ELj137ELj32Eii21rocsparse_complex_numIdEEEvT5_PKS3_S5_NS_24const_host_device_scalarIT6_EEPKT4_S5_PKS7_SB_S5_SD_S8_SB_S5_SD_SB_PS3_PS7_21rocsparse_index_base_SG_SG_SG_bbb,@function
_ZN9rocsparseL26csrgemm_fill_block_per_rowILj1024ELj64ELj16384ELj137ELj32Eii21rocsparse_complex_numIdEEEvT5_PKS3_S5_NS_24const_host_device_scalarIT6_EEPKT4_S5_PKS7_SB_S5_SD_S8_SB_S5_SD_SB_PS3_PS7_21rocsparse_index_base_SG_SG_SG_bbb: ; @_ZN9rocsparseL26csrgemm_fill_block_per_rowILj1024ELj64ELj16384ELj137ELj32Eii21rocsparse_complex_numIdEEEvT5_PKS3_S5_NS_24const_host_device_scalarIT6_EEPKT4_S5_PKS7_SB_S5_SD_S8_SB_S5_SD_SB_PS3_PS7_21rocsparse_index_base_SG_SG_SG_bbb
; %bb.0:
	s_clause 0x3
	s_load_b32 s14, s[0:1], 0xa8
	s_load_b128 s[4:7], s[0:1], 0x18
	s_load_b128 s[20:23], s[0:1], 0x58
	;; [unrolled: 1-line block ×3, first 2 shown]
	v_mov_b32_e32 v1, 0
	v_mov_b32_e32 v2, 0
	s_waitcnt lgkmcnt(0)
	s_bitcmp1_b32 s14, 0
	v_mov_b32_e32 v3, s4
	s_cselect_b32 s12, -1, 0
	s_bitcmp1_b32 s14, 16
	v_dual_mov_b32 v6, v2 :: v_dual_mov_b32 v5, v1
	s_cselect_b32 s2, -1, 0
	v_mov_b32_e32 v4, s5
	s_xor_b32 s13, s2, -1
	v_dual_mov_b32 v9, s20 :: v_dual_mov_b32 v10, s21
	v_cndmask_b32_e64 v7, 0, 1, s13
	s_bitcmp0_b32 s14, 0
	s_clause 0x1
	scratch_store_b64 off, v[3:4], off offset:16
	scratch_store_b64 off, v[9:10], off offset:24
	v_cmp_ne_u32_e32 vcc_lo, 1, v7
	v_dual_mov_b32 v8, v2 :: v_dual_mov_b32 v7, v1
	s_cbranch_scc1 .LBB81_3
; %bb.1:
	s_mov_b64 s[8:9], src_private_base
	s_and_b32 s3, s2, exec_lo
	s_cselect_b32 s3, s9, s5
	s_delay_alu instid0(SALU_CYCLE_1) | instskip(SKIP_2) | instid1(VALU_DEP_2)
	v_dual_mov_b32 v3, 16 :: v_dual_mov_b32 v4, s3
	v_dual_mov_b32 v8, s7 :: v_dual_mov_b32 v7, s6
	s_and_b32 vcc_lo, exec_lo, vcc_lo
	v_cndmask_b32_e64 v3, s4, v3, s2
	flat_load_b64 v[5:6], v[3:4]
	s_cbranch_vccnz .LBB81_3
; %bb.2:
	v_dual_mov_b32 v3, s4 :: v_dual_mov_b32 v4, s5
	flat_load_b64 v[7:8], v[3:4] offset:8
.LBB81_3:
	s_clause 0x4
	s_load_b128 s[48:51], s[0:1], 0x88
	s_load_b256 s[36:43], s[0:1], 0x68
	s_load_b128 s[16:19], s[0:1], 0x48
	s_load_b128 s[24:27], s[0:1], 0x8
	s_load_b256 s[4:11], s[0:1], 0x28
	s_bitcmp1_b32 s14, 8
	v_dual_mov_b32 v4, v2 :: v_dual_mov_b32 v3, v1
	s_cselect_b32 s3, -1, 0
	s_bfe_u32 s14, s14, 0x10008
	s_delay_alu instid0(SALU_CYCLE_1)
	s_cmp_eq_u32 s14, 0
	s_cbranch_scc1 .LBB81_6
; %bb.4:
	s_mov_b64 s[28:29], src_private_base
	s_and_b32 s14, s2, exec_lo
	s_cselect_b32 s14, s29, s21
	s_delay_alu instid0(SALU_CYCLE_1) | instskip(SKIP_1) | instid1(VALU_DEP_1)
	v_dual_mov_b32 v1, 24 :: v_dual_mov_b32 v2, s14
	s_and_not1_b32 vcc_lo, exec_lo, s13
	v_cndmask_b32_e64 v1, s20, v1, s2
	flat_load_b64 v[3:4], v[1:2]
	v_dual_mov_b32 v1, s22 :: v_dual_mov_b32 v2, s23
	s_cbranch_vccnz .LBB81_6
; %bb.5:
	v_dual_mov_b32 v1, s20 :: v_dual_mov_b32 v2, s21
	flat_load_b64 v[1:2], v[1:2] offset:8
.LBB81_6:
	s_load_b32 s33, s[0:1], 0x0
	s_mov_b32 s0, 0
	v_or_b32_e32 v23, 0xfffffc00, v0
	v_lshl_add_u32 v24, v0, 2, 0
	s_mov_b32 s1, s0
	s_delay_alu instid0(SALU_CYCLE_1)
	v_dual_mov_b32 v10, s1 :: v_dual_lshlrev_b32 v25, 4, v0
	s_mov_b32 s20, s0
	s_mov_b32 s21, s0
	v_dual_mov_b32 v11, s20 :: v_dual_mov_b32 v14, v24
	v_dual_mov_b32 v9, s0 :: v_dual_mov_b32 v12, s21
	v_add3_u32 v13, v25, 0, 0x10008
	s_waitcnt lgkmcnt(0)
	v_dual_mov_b32 v16, v23 :: v_dual_mov_b32 v15, s33
.LBB81_7:                               ; =>This Inner Loop Header: Depth=1
	s_delay_alu instid0(VALU_DEP_1)
	v_add_nc_u32_e32 v16, 0x400, v16
	ds_store_b32 v14, v15
	v_add_nc_u32_e32 v17, -8, v13
	v_add_nc_u32_e32 v13, 0x4000, v13
	v_add_nc_u32_e32 v14, 0x1000, v14
	v_cmp_lt_u32_e32 vcc_lo, 0x3bff, v16
	ds_store_2addr_b64 v17, v[9:10], v[11:12] offset1:1
	s_or_b32 s0, vcc_lo, s0
	s_delay_alu instid0(SALU_CYCLE_1)
	s_and_not1_b32 exec_lo, exec_lo, s0
	s_cbranch_execnz .LBB81_7
; %bb.8:
	s_or_b32 exec_lo, exec_lo, s0
	s_waitcnt vmcnt(0) lgkmcnt(0)
	s_waitcnt_vscnt null, 0x0
	s_barrier
	buffer_gl0_inv
	s_load_b32 s0, s[24:25], 0x0
	s_mov_b32 s1, 0
	s_waitcnt lgkmcnt(0)
	s_add_i32 s0, s0, s15
	s_delay_alu instid0(SALU_CYCLE_1) | instskip(NEXT) | instid1(SALU_CYCLE_1)
	s_lshl_b64 s[0:1], s[0:1], 2
	s_add_u32 s0, s26, s0
	s_addc_u32 s1, s27, s1
	s_and_b32 vcc_lo, exec_lo, s12
	s_load_b32 s34, s[0:1], 0x0
	s_cbranch_vccz .LBB81_36
; %bb.9:
	s_waitcnt lgkmcnt(0)
	s_ashr_i32 s35, s34, 31
	v_lshrrev_b32_e32 v9, 6, v0
	s_lshl_b64 s[0:1], s[34:35], 2
	s_delay_alu instid0(SALU_CYCLE_1) | instskip(SKIP_1) | instid1(VALU_DEP_1)
	s_add_u32 s0, s4, s0
	s_addc_u32 s1, s5, s1
	v_subrev_nc_u32_e32 v9, s44, v9
	s_load_b64 s[0:1], s[0:1], 0x0
	s_waitcnt lgkmcnt(0)
	s_delay_alu instid0(VALU_DEP_1) | instskip(SKIP_2) | instid1(VALU_DEP_1)
	v_add_nc_u32_e32 v9, s0, v9
	s_sub_i32 s0, s1, s44
	s_mov_b32 s1, exec_lo
	v_cmpx_gt_i32_e64 s0, v9
	s_cbranch_execz .LBB81_35
; %bb.10:
	v_and_b32_e32 v10, 63, v0
	s_mov_b32 s2, 0
	s_delay_alu instid0(VALU_DEP_1)
	v_subrev_nc_u32_e32 v26, s45, v10
	s_branch .LBB81_12
.LBB81_11:                              ;   in Loop: Header=BB81_12 Depth=1
	s_or_b32 exec_lo, exec_lo, s4
	v_add_nc_u32_e32 v9, 16, v9
	s_delay_alu instid0(VALU_DEP_1) | instskip(SKIP_1) | instid1(SALU_CYCLE_1)
	v_cmp_le_i32_e32 vcc_lo, s0, v9
	s_or_b32 s2, vcc_lo, s2
	s_and_not1_b32 exec_lo, exec_lo, s2
	s_cbranch_execz .LBB81_35
.LBB81_12:                              ; =>This Loop Header: Depth=1
                                        ;     Child Loop BB81_15 Depth 2
                                        ;       Child Loop BB81_17 Depth 3
                                        ;         Child Loop BB81_23 Depth 4
                                        ;         Child Loop BB81_25 Depth 4
                                        ;         Child Loop BB81_31 Depth 4
                                        ;         Child Loop BB81_33 Depth 4
	v_ashrrev_i32_e32 v10, 31, v9
	s_mov_b32 s4, exec_lo
	s_delay_alu instid0(VALU_DEP_1) | instskip(NEXT) | instid1(VALU_DEP_1)
	v_lshlrev_b64 v[11:12], 2, v[9:10]
	v_add_co_u32 v11, vcc_lo, s6, v11
	s_delay_alu instid0(VALU_DEP_2) | instskip(SKIP_3) | instid1(VALU_DEP_1)
	v_add_co_ci_u32_e32 v12, vcc_lo, s7, v12, vcc_lo
	global_load_b32 v11, v[11:12], off
	s_waitcnt vmcnt(0)
	v_subrev_nc_u32_e32 v11, s44, v11
	v_ashrrev_i32_e32 v12, 31, v11
	s_delay_alu instid0(VALU_DEP_1) | instskip(NEXT) | instid1(VALU_DEP_1)
	v_lshlrev_b64 v[11:12], 2, v[11:12]
	v_add_co_u32 v11, vcc_lo, s10, v11
	s_delay_alu instid0(VALU_DEP_2) | instskip(SKIP_4) | instid1(VALU_DEP_1)
	v_add_co_ci_u32_e32 v12, vcc_lo, s11, v12, vcc_lo
	global_load_b64 v[11:12], v[11:12], off
	s_waitcnt vmcnt(0)
	v_subrev_nc_u32_e32 v27, s45, v12
	v_add_nc_u32_e32 v11, v11, v26
	v_cmpx_lt_i32_e64 v11, v27
	s_cbranch_execz .LBB81_11
; %bb.13:                               ;   in Loop: Header=BB81_12 Depth=1
	v_lshlrev_b64 v[12:13], 4, v[9:10]
	s_mov_b32 s5, 0
	s_delay_alu instid0(VALU_DEP_1) | instskip(NEXT) | instid1(VALU_DEP_2)
	v_add_co_u32 v12, vcc_lo, s8, v12
	v_add_co_ci_u32_e32 v13, vcc_lo, s9, v13, vcc_lo
	global_load_b128 v[15:18], v[12:13], off
	s_waitcnt vmcnt(0)
	v_mul_f64 v[12:13], v[17:18], -v[7:8]
	v_mul_f64 v[17:18], v[5:6], v[17:18]
	s_delay_alu instid0(VALU_DEP_2) | instskip(NEXT) | instid1(VALU_DEP_2)
	v_fma_f64 v[13:14], v[5:6], v[15:16], v[12:13]
	v_fma_f64 v[15:16], v[7:8], v[15:16], v[17:18]
	s_branch .LBB81_15
.LBB81_14:                              ;   in Loop: Header=BB81_15 Depth=2
	s_or_b32 exec_lo, exec_lo, s12
	v_add_nc_u32_e32 v11, 64, v11
	s_delay_alu instid0(VALU_DEP_1) | instskip(SKIP_1) | instid1(SALU_CYCLE_1)
	v_cmp_ge_i32_e32 vcc_lo, v11, v27
	s_or_b32 s5, vcc_lo, s5
	s_and_not1_b32 exec_lo, exec_lo, s5
	s_cbranch_execz .LBB81_11
.LBB81_15:                              ;   Parent Loop BB81_12 Depth=1
                                        ; =>  This Loop Header: Depth=2
                                        ;       Child Loop BB81_17 Depth 3
                                        ;         Child Loop BB81_23 Depth 4
                                        ;         Child Loop BB81_25 Depth 4
	;; [unrolled: 1-line block ×4, first 2 shown]
	v_ashrrev_i32_e32 v12, 31, v11
	s_mov_b32 s12, 0
	s_delay_alu instid0(VALU_DEP_1) | instskip(NEXT) | instid1(VALU_DEP_1)
	v_lshlrev_b64 v[17:18], 4, v[11:12]
	v_add_co_u32 v17, vcc_lo, s18, v17
	s_delay_alu instid0(VALU_DEP_2) | instskip(SKIP_2) | instid1(VALU_DEP_1)
	v_add_co_ci_u32_e32 v18, vcc_lo, s19, v18, vcc_lo
	global_load_b128 v[19:22], v[17:18], off
	v_lshlrev_b64 v[17:18], 2, v[11:12]
	v_add_co_u32 v17, vcc_lo, s16, v17
	s_delay_alu instid0(VALU_DEP_2)
	v_add_co_ci_u32_e32 v18, vcc_lo, s17, v18, vcc_lo
	global_load_b32 v10, v[17:18], off
	s_waitcnt vmcnt(1)
	v_mul_f64 v[17:18], v[21:22], -v[15:16]
	v_mul_f64 v[21:22], v[13:14], v[21:22]
	s_waitcnt vmcnt(0)
	v_subrev_nc_u32_e32 v10, s45, v10
	s_delay_alu instid0(VALU_DEP_1) | instskip(NEXT) | instid1(VALU_DEP_1)
	v_mul_lo_u32 v12, 0x89, v10
	v_and_b32_e32 v12, 0x3fff, v12
	v_fma_f64 v[17:18], v[13:14], v[19:20], v[17:18]
	v_fma_f64 v[19:20], v[15:16], v[19:20], v[21:22]
	s_branch .LBB81_17
.LBB81_16:                              ;   in Loop: Header=BB81_17 Depth=3
	s_or_b32 exec_lo, exec_lo, s13
	s_xor_b32 s13, s14, -1
	s_delay_alu instid0(SALU_CYCLE_1) | instskip(NEXT) | instid1(SALU_CYCLE_1)
	s_and_b32 s13, exec_lo, s13
	s_or_b32 s12, s13, s12
	s_delay_alu instid0(SALU_CYCLE_1)
	s_and_not1_b32 exec_lo, exec_lo, s12
	s_cbranch_execz .LBB81_14
.LBB81_17:                              ;   Parent Loop BB81_12 Depth=1
                                        ;     Parent Loop BB81_15 Depth=2
                                        ; =>    This Loop Header: Depth=3
                                        ;         Child Loop BB81_23 Depth 4
                                        ;         Child Loop BB81_25 Depth 4
	;; [unrolled: 1-line block ×4, first 2 shown]
	s_delay_alu instid0(VALU_DEP_3)
	v_lshl_add_u32 v21, v12, 2, 0
	s_mov_b32 s13, exec_lo
                                        ; implicit-def: $sgpr14
	ds_load_b32 v22, v21
	s_waitcnt lgkmcnt(0)
	v_cmpx_ne_u32_e64 v22, v10
	s_xor_b32 s13, exec_lo, s13
	s_cbranch_execz .LBB81_29
; %bb.18:                               ;   in Loop: Header=BB81_17 Depth=3
	s_mov_b32 s15, exec_lo
                                        ; implicit-def: $sgpr14
	v_cmpx_ne_u32_e64 s33, v22
	s_xor_b32 s15, exec_lo, s15
; %bb.19:                               ;   in Loop: Header=BB81_17 Depth=3
	v_add_nc_u32_e32 v12, 1, v12
	s_mov_b32 s14, -1
                                        ; implicit-def: $vgpr21
	s_delay_alu instid0(VALU_DEP_1)
	v_and_b32_e32 v12, 0x3fff, v12
; %bb.20:                               ;   in Loop: Header=BB81_17 Depth=3
	s_and_not1_saveexec_b32 s15, s15
	s_cbranch_execz .LBB81_28
; %bb.21:                               ;   in Loop: Header=BB81_17 Depth=3
	v_mov_b32_e32 v22, s33
	s_mov_b32 s21, -1
	s_mov_b32 s20, exec_lo
	ds_cmpstore_rtn_b32 v21, v21, v10, v22
	s_waitcnt lgkmcnt(0)
	v_cmpx_eq_u32_e64 s33, v21
	s_cbranch_execz .LBB81_27
; %bb.22:                               ;   in Loop: Header=BB81_17 Depth=3
	v_lshlrev_b32_e32 v21, 4, v12
	s_mov_b32 s21, 0
	s_delay_alu instid0(VALU_DEP_1)
	v_add3_u32 v28, 0, v21, 0x10000
	ds_load_b64 v[21:22], v28
.LBB81_23:                              ;   Parent Loop BB81_12 Depth=1
                                        ;     Parent Loop BB81_15 Depth=2
                                        ;       Parent Loop BB81_17 Depth=3
                                        ; =>      This Inner Loop Header: Depth=4
	s_waitcnt lgkmcnt(0)
	v_add_f64 v[29:30], v[21:22], v[17:18]
	ds_cmpstore_rtn_b64 v[29:30], v28, v[29:30], v[21:22]
	s_waitcnt lgkmcnt(0)
	v_cmp_eq_u64_e32 vcc_lo, v[29:30], v[21:22]
	v_dual_mov_b32 v21, v29 :: v_dual_mov_b32 v22, v30
	s_or_b32 s21, vcc_lo, s21
	s_delay_alu instid0(SALU_CYCLE_1)
	s_and_not1_b32 exec_lo, exec_lo, s21
	s_cbranch_execnz .LBB81_23
; %bb.24:                               ;   in Loop: Header=BB81_17 Depth=3
	s_or_b32 exec_lo, exec_lo, s21
	ds_load_b64 v[21:22], v28 offset:8
	s_mov_b32 s21, 0
.LBB81_25:                              ;   Parent Loop BB81_12 Depth=1
                                        ;     Parent Loop BB81_15 Depth=2
                                        ;       Parent Loop BB81_17 Depth=3
                                        ; =>      This Inner Loop Header: Depth=4
	s_waitcnt lgkmcnt(0)
	v_add_f64 v[29:30], v[21:22], v[19:20]
	ds_cmpstore_rtn_b64 v[29:30], v28, v[29:30], v[21:22] offset:8
	s_waitcnt lgkmcnt(0)
	v_cmp_eq_u64_e32 vcc_lo, v[29:30], v[21:22]
	v_dual_mov_b32 v21, v29 :: v_dual_mov_b32 v22, v30
	s_or_b32 s21, vcc_lo, s21
	s_delay_alu instid0(SALU_CYCLE_1)
	s_and_not1_b32 exec_lo, exec_lo, s21
	s_cbranch_execnz .LBB81_25
; %bb.26:                               ;   in Loop: Header=BB81_17 Depth=3
	s_or_b32 exec_lo, exec_lo, s21
	s_delay_alu instid0(SALU_CYCLE_1)
	s_xor_b32 s21, exec_lo, -1
.LBB81_27:                              ;   in Loop: Header=BB81_17 Depth=3
	s_or_b32 exec_lo, exec_lo, s20
	s_delay_alu instid0(SALU_CYCLE_1) | instskip(SKIP_1) | instid1(SALU_CYCLE_1)
	s_and_not1_b32 s14, s14, exec_lo
	s_and_b32 s20, s21, exec_lo
	s_or_b32 s14, s14, s20
.LBB81_28:                              ;   in Loop: Header=BB81_17 Depth=3
	s_or_b32 exec_lo, exec_lo, s15
	s_delay_alu instid0(SALU_CYCLE_1)
	s_and_b32 s14, s14, exec_lo
.LBB81_29:                              ;   in Loop: Header=BB81_17 Depth=3
	s_and_not1_saveexec_b32 s13, s13
	s_cbranch_execz .LBB81_16
; %bb.30:                               ;   in Loop: Header=BB81_17 Depth=3
	v_lshlrev_b32_e32 v21, 4, v12
	s_mov_b32 s15, 0
	s_delay_alu instid0(VALU_DEP_1)
	v_add3_u32 v28, 0, v21, 0x10000
	ds_load_b64 v[21:22], v28
.LBB81_31:                              ;   Parent Loop BB81_12 Depth=1
                                        ;     Parent Loop BB81_15 Depth=2
                                        ;       Parent Loop BB81_17 Depth=3
                                        ; =>      This Inner Loop Header: Depth=4
	s_waitcnt lgkmcnt(0)
	v_add_f64 v[29:30], v[21:22], v[17:18]
	ds_cmpstore_rtn_b64 v[29:30], v28, v[29:30], v[21:22]
	s_waitcnt lgkmcnt(0)
	v_cmp_eq_u64_e32 vcc_lo, v[29:30], v[21:22]
	v_dual_mov_b32 v21, v29 :: v_dual_mov_b32 v22, v30
	s_or_b32 s15, vcc_lo, s15
	s_delay_alu instid0(SALU_CYCLE_1)
	s_and_not1_b32 exec_lo, exec_lo, s15
	s_cbranch_execnz .LBB81_31
; %bb.32:                               ;   in Loop: Header=BB81_17 Depth=3
	s_or_b32 exec_lo, exec_lo, s15
	ds_load_b64 v[21:22], v28 offset:8
	s_mov_b32 s15, 0
.LBB81_33:                              ;   Parent Loop BB81_12 Depth=1
                                        ;     Parent Loop BB81_15 Depth=2
                                        ;       Parent Loop BB81_17 Depth=3
                                        ; =>      This Inner Loop Header: Depth=4
	s_waitcnt lgkmcnt(0)
	v_add_f64 v[29:30], v[21:22], v[19:20]
	ds_cmpstore_rtn_b64 v[29:30], v28, v[29:30], v[21:22] offset:8
	s_waitcnt lgkmcnt(0)
	v_cmp_eq_u64_e32 vcc_lo, v[29:30], v[21:22]
	v_dual_mov_b32 v21, v29 :: v_dual_mov_b32 v22, v30
	s_or_b32 s15, vcc_lo, s15
	s_delay_alu instid0(SALU_CYCLE_1)
	s_and_not1_b32 exec_lo, exec_lo, s15
	s_cbranch_execnz .LBB81_33
; %bb.34:                               ;   in Loop: Header=BB81_17 Depth=3
	s_or_b32 exec_lo, exec_lo, s15
	s_delay_alu instid0(SALU_CYCLE_1)
	s_and_not1_b32 s14, s14, exec_lo
	s_branch .LBB81_16
.LBB81_35:
	s_or_b32 exec_lo, exec_lo, s1
.LBB81_36:
	s_delay_alu instid0(SALU_CYCLE_1)
	s_and_not1_b32 vcc_lo, exec_lo, s3
	s_cbranch_vccnz .LBB81_61
; %bb.37:
	s_waitcnt lgkmcnt(0)
	s_ashr_i32 s35, s34, 31
	v_subrev_nc_u32_e32 v5, s47, v0
	s_lshl_b64 s[0:1], s[34:35], 2
	s_delay_alu instid0(SALU_CYCLE_1)
	s_add_u32 s0, s36, s0
	s_addc_u32 s1, s37, s1
	s_load_b64 s[0:1], s[0:1], 0x0
	s_waitcnt lgkmcnt(0)
	v_add_nc_u32_e32 v5, s0, v5
	s_sub_i32 s0, s1, s47
	s_mov_b32 s1, exec_lo
	s_delay_alu instid0(VALU_DEP_1)
	v_cmpx_gt_i32_e64 s0, v5
	s_cbranch_execz .LBB81_60
; %bb.38:
	s_mov_b32 s2, 0
	s_branch .LBB81_40
.LBB81_39:                              ;   in Loop: Header=BB81_40 Depth=1
	s_or_b32 exec_lo, exec_lo, s3
	v_add_nc_u32_e32 v5, 0x400, v5
	s_delay_alu instid0(VALU_DEP_1) | instskip(SKIP_1) | instid1(SALU_CYCLE_1)
	v_cmp_le_i32_e32 vcc_lo, s0, v5
	s_or_b32 s2, vcc_lo, s2
	s_and_not1_b32 exec_lo, exec_lo, s2
	s_cbranch_execz .LBB81_60
.LBB81_40:                              ; =>This Loop Header: Depth=1
                                        ;     Child Loop BB81_42 Depth 2
                                        ;       Child Loop BB81_48 Depth 3
                                        ;       Child Loop BB81_50 Depth 3
	;; [unrolled: 1-line block ×4, first 2 shown]
	v_ashrrev_i32_e32 v6, 31, v5
	s_mov_b32 s3, 0
	s_delay_alu instid0(VALU_DEP_1) | instskip(NEXT) | instid1(VALU_DEP_1)
	v_lshlrev_b64 v[7:8], 4, v[5:6]
	v_add_co_u32 v7, vcc_lo, s40, v7
	s_delay_alu instid0(VALU_DEP_2) | instskip(SKIP_2) | instid1(VALU_DEP_1)
	v_add_co_ci_u32_e32 v8, vcc_lo, s41, v8, vcc_lo
	global_load_b128 v[8:11], v[7:8], off
	v_lshlrev_b64 v[6:7], 2, v[5:6]
	v_add_co_u32 v6, vcc_lo, s38, v6
	s_delay_alu instid0(VALU_DEP_2)
	v_add_co_ci_u32_e32 v7, vcc_lo, s39, v7, vcc_lo
	global_load_b32 v12, v[6:7], off
	s_waitcnt vmcnt(1)
	v_mul_f64 v[6:7], v[10:11], -v[1:2]
	v_mul_f64 v[10:11], v[3:4], v[10:11]
	s_waitcnt vmcnt(0)
	v_subrev_nc_u32_e32 v12, s47, v12
	s_delay_alu instid0(VALU_DEP_3) | instskip(NEXT) | instid1(VALU_DEP_3)
	v_fma_f64 v[6:7], v[3:4], v[8:9], v[6:7]
	v_fma_f64 v[8:9], v[1:2], v[8:9], v[10:11]
	s_delay_alu instid0(VALU_DEP_3) | instskip(NEXT) | instid1(VALU_DEP_1)
	v_mul_lo_u32 v10, 0x89, v12
	v_and_b32_e32 v13, 0x3fff, v10
	s_branch .LBB81_42
.LBB81_41:                              ;   in Loop: Header=BB81_42 Depth=2
	s_or_b32 exec_lo, exec_lo, s4
	s_xor_b32 s4, s5, -1
	s_delay_alu instid0(SALU_CYCLE_1) | instskip(NEXT) | instid1(SALU_CYCLE_1)
	s_and_b32 s4, exec_lo, s4
	s_or_b32 s3, s4, s3
	s_delay_alu instid0(SALU_CYCLE_1)
	s_and_not1_b32 exec_lo, exec_lo, s3
	s_cbranch_execz .LBB81_39
.LBB81_42:                              ;   Parent Loop BB81_40 Depth=1
                                        ; =>  This Loop Header: Depth=2
                                        ;       Child Loop BB81_48 Depth 3
                                        ;       Child Loop BB81_50 Depth 3
	;; [unrolled: 1-line block ×4, first 2 shown]
	s_delay_alu instid0(VALU_DEP_1)
	v_lshl_add_u32 v10, v13, 2, 0
	s_mov_b32 s4, exec_lo
                                        ; implicit-def: $sgpr5
	ds_load_b32 v11, v10
	s_waitcnt lgkmcnt(0)
	v_cmpx_ne_u32_e64 v11, v12
	s_xor_b32 s4, exec_lo, s4
	s_cbranch_execz .LBB81_54
; %bb.43:                               ;   in Loop: Header=BB81_42 Depth=2
	s_mov_b32 s6, exec_lo
                                        ; implicit-def: $sgpr5
	v_cmpx_ne_u32_e64 s33, v11
	s_xor_b32 s6, exec_lo, s6
; %bb.44:                               ;   in Loop: Header=BB81_42 Depth=2
	v_add_nc_u32_e32 v10, 1, v13
	s_mov_b32 s5, -1
	s_delay_alu instid0(VALU_DEP_1)
	v_and_b32_e32 v13, 0x3fff, v10
                                        ; implicit-def: $vgpr10
; %bb.45:                               ;   in Loop: Header=BB81_42 Depth=2
	s_and_not1_saveexec_b32 s6, s6
	s_cbranch_execz .LBB81_53
; %bb.46:                               ;   in Loop: Header=BB81_42 Depth=2
	v_mov_b32_e32 v11, s33
	s_mov_b32 s8, -1
	s_mov_b32 s7, exec_lo
	ds_cmpstore_rtn_b32 v10, v10, v12, v11
	s_waitcnt lgkmcnt(0)
	v_cmpx_eq_u32_e64 s33, v10
	s_cbranch_execz .LBB81_52
; %bb.47:                               ;   in Loop: Header=BB81_42 Depth=2
	v_lshlrev_b32_e32 v10, 4, v13
	s_mov_b32 s8, 0
	s_delay_alu instid0(VALU_DEP_1)
	v_add3_u32 v14, 0, v10, 0x10000
	ds_load_b64 v[10:11], v14
.LBB81_48:                              ;   Parent Loop BB81_40 Depth=1
                                        ;     Parent Loop BB81_42 Depth=2
                                        ; =>    This Inner Loop Header: Depth=3
	s_waitcnt lgkmcnt(0)
	v_add_f64 v[15:16], v[10:11], v[6:7]
	ds_cmpstore_rtn_b64 v[15:16], v14, v[15:16], v[10:11]
	s_waitcnt lgkmcnt(0)
	v_cmp_eq_u64_e32 vcc_lo, v[15:16], v[10:11]
	v_dual_mov_b32 v10, v15 :: v_dual_mov_b32 v11, v16
	s_or_b32 s8, vcc_lo, s8
	s_delay_alu instid0(SALU_CYCLE_1)
	s_and_not1_b32 exec_lo, exec_lo, s8
	s_cbranch_execnz .LBB81_48
; %bb.49:                               ;   in Loop: Header=BB81_42 Depth=2
	s_or_b32 exec_lo, exec_lo, s8
	ds_load_b64 v[10:11], v14 offset:8
	s_mov_b32 s8, 0
.LBB81_50:                              ;   Parent Loop BB81_40 Depth=1
                                        ;     Parent Loop BB81_42 Depth=2
                                        ; =>    This Inner Loop Header: Depth=3
	s_waitcnt lgkmcnt(0)
	v_add_f64 v[15:16], v[10:11], v[8:9]
	ds_cmpstore_rtn_b64 v[15:16], v14, v[15:16], v[10:11] offset:8
	s_waitcnt lgkmcnt(0)
	v_cmp_eq_u64_e32 vcc_lo, v[15:16], v[10:11]
	v_dual_mov_b32 v10, v15 :: v_dual_mov_b32 v11, v16
	s_or_b32 s8, vcc_lo, s8
	s_delay_alu instid0(SALU_CYCLE_1)
	s_and_not1_b32 exec_lo, exec_lo, s8
	s_cbranch_execnz .LBB81_50
; %bb.51:                               ;   in Loop: Header=BB81_42 Depth=2
	s_or_b32 exec_lo, exec_lo, s8
	s_delay_alu instid0(SALU_CYCLE_1)
	s_xor_b32 s8, exec_lo, -1
.LBB81_52:                              ;   in Loop: Header=BB81_42 Depth=2
	s_or_b32 exec_lo, exec_lo, s7
	s_delay_alu instid0(SALU_CYCLE_1) | instskip(SKIP_1) | instid1(SALU_CYCLE_1)
	s_and_not1_b32 s5, s5, exec_lo
	s_and_b32 s7, s8, exec_lo
	s_or_b32 s5, s5, s7
.LBB81_53:                              ;   in Loop: Header=BB81_42 Depth=2
	s_or_b32 exec_lo, exec_lo, s6
	s_delay_alu instid0(SALU_CYCLE_1)
	s_and_b32 s5, s5, exec_lo
.LBB81_54:                              ;   in Loop: Header=BB81_42 Depth=2
	s_and_not1_saveexec_b32 s4, s4
	s_cbranch_execz .LBB81_41
; %bb.55:                               ;   in Loop: Header=BB81_42 Depth=2
	v_lshlrev_b32_e32 v10, 4, v13
	s_mov_b32 s6, 0
	s_delay_alu instid0(VALU_DEP_1)
	v_add3_u32 v14, 0, v10, 0x10000
	ds_load_b64 v[10:11], v14
.LBB81_56:                              ;   Parent Loop BB81_40 Depth=1
                                        ;     Parent Loop BB81_42 Depth=2
                                        ; =>    This Inner Loop Header: Depth=3
	s_waitcnt lgkmcnt(0)
	v_add_f64 v[15:16], v[10:11], v[6:7]
	ds_cmpstore_rtn_b64 v[15:16], v14, v[15:16], v[10:11]
	s_waitcnt lgkmcnt(0)
	v_cmp_eq_u64_e32 vcc_lo, v[15:16], v[10:11]
	v_dual_mov_b32 v10, v15 :: v_dual_mov_b32 v11, v16
	s_or_b32 s6, vcc_lo, s6
	s_delay_alu instid0(SALU_CYCLE_1)
	s_and_not1_b32 exec_lo, exec_lo, s6
	s_cbranch_execnz .LBB81_56
; %bb.57:                               ;   in Loop: Header=BB81_42 Depth=2
	s_or_b32 exec_lo, exec_lo, s6
	ds_load_b64 v[10:11], v14 offset:8
	s_mov_b32 s6, 0
.LBB81_58:                              ;   Parent Loop BB81_40 Depth=1
                                        ;     Parent Loop BB81_42 Depth=2
                                        ; =>    This Inner Loop Header: Depth=3
	s_waitcnt lgkmcnt(0)
	v_add_f64 v[15:16], v[10:11], v[8:9]
	ds_cmpstore_rtn_b64 v[15:16], v14, v[15:16], v[10:11] offset:8
	s_waitcnt lgkmcnt(0)
	v_cmp_eq_u64_e32 vcc_lo, v[15:16], v[10:11]
	v_dual_mov_b32 v10, v15 :: v_dual_mov_b32 v11, v16
	s_or_b32 s6, vcc_lo, s6
	s_delay_alu instid0(SALU_CYCLE_1)
	s_and_not1_b32 exec_lo, exec_lo, s6
	s_cbranch_execnz .LBB81_58
; %bb.59:                               ;   in Loop: Header=BB81_42 Depth=2
	s_or_b32 exec_lo, exec_lo, s6
	s_delay_alu instid0(SALU_CYCLE_1)
	s_and_not1_b32 s5, s5, exec_lo
	s_branch .LBB81_41
.LBB81_60:
	s_or_b32 exec_lo, exec_lo, s1
.LBB81_61:
	v_mbcnt_lo_u32_b32 v1, -1, 0
	v_lshrrev_b32_e32 v2, 3, v0
	s_add_i32 s70, 0, 0x5007c
	v_cmp_eq_u32_e32 vcc_lo, 0x3ff, v0
	v_cmp_lt_u32_e64 s0, 31, v0
	v_xor_b32_e32 v1, 63, v1
	v_dual_mov_b32 v4, 0 :: v_dual_and_b32 v3, 0x7c, v2
	v_cmp_lt_u32_e64 s1, 63, v0
	v_cmp_lt_u32_e64 s2, 0x5f, v0
	s_delay_alu instid0(VALU_DEP_4) | instskip(NEXT) | instid1(VALU_DEP_4)
	v_lshrrev_b64 v[1:2], v1, -1
	v_add3_u32 v2, 0, 0x50000, v3
	v_cmp_lt_u32_e64 s3, 0x7f, v0
	v_cmp_lt_u32_e64 s4, 0x9f, v0
	;; [unrolled: 1-line block ×28, first 2 shown]
	v_add3_u32 v3, v25, 0, 0x10000
	v_mov_b32_e32 v5, s70
	s_mov_b32 s35, 0
	s_add_i32 s36, 0, 0x50000
	s_add_i32 s37, 0, 0x50004
	;; [unrolled: 1-line block ×31, first 2 shown]
	s_waitcnt lgkmcnt(0)
	s_barrier
	buffer_gl0_inv
	s_branch .LBB81_63
.LBB81_62:                              ;   in Loop: Header=BB81_63 Depth=1
	s_or_b32 exec_lo, exec_lo, s31
	s_waitcnt lgkmcnt(0)
	s_barrier
	buffer_gl0_inv
	ds_load_b32 v6, v5
	v_add_nc_u32_e32 v23, 0x400, v23
	v_add_nc_u32_e32 v3, 0x4000, v3
	;; [unrolled: 1-line block ×3, first 2 shown]
	s_delay_alu instid0(VALU_DEP_3) | instskip(NEXT) | instid1(VALU_DEP_1)
	v_cmp_lt_u32_e64 s31, 0x3bff, v23
	s_or_b32 s35, s31, s35
	s_waitcnt lgkmcnt(0)
	v_add_nc_u32_e32 v4, v6, v4
	s_and_not1_b32 exec_lo, exec_lo, s35
	s_cbranch_execz .LBB81_129
.LBB81_63:                              ; =>This Inner Loop Header: Depth=1
	ds_load_b32 v6, v24
	ds_load_2addr_b64 v[7:10], v3 offset1:1
	s_waitcnt lgkmcnt(1)
	v_cmp_gt_i32_e64 s31, s33, v6
	s_waitcnt lgkmcnt(0)
	scratch_store_b128 off, v[7:10], off
	s_waitcnt_vscnt null, 0x0
	s_barrier
	buffer_gl0_inv
	s_bcnt1_i32_b32 s75, s31
	s_delay_alu instid0(SALU_CYCLE_1) | instskip(NEXT) | instid1(VALU_DEP_1)
	v_dual_mov_b32 v8, s75 :: v_dual_and_b32 v7, s31, v1
	v_bcnt_u32_b32 v7, v7, 0
	ds_store_b32 v2, v8
	s_waitcnt lgkmcnt(0)
	s_barrier
	buffer_gl0_inv
	s_and_saveexec_b32 s75, s0
	s_cbranch_execnz .LBB81_96
; %bb.64:                               ;   in Loop: Header=BB81_63 Depth=1
	s_or_b32 exec_lo, exec_lo, s75
	s_and_saveexec_b32 s75, s1
	s_cbranch_execnz .LBB81_97
.LBB81_65:                              ;   in Loop: Header=BB81_63 Depth=1
	s_or_b32 exec_lo, exec_lo, s75
	s_and_saveexec_b32 s75, s2
	s_cbranch_execnz .LBB81_98
.LBB81_66:                              ;   in Loop: Header=BB81_63 Depth=1
	s_or_b32 exec_lo, exec_lo, s75
	s_and_saveexec_b32 s75, s3
	s_cbranch_execnz .LBB81_99
.LBB81_67:                              ;   in Loop: Header=BB81_63 Depth=1
	s_or_b32 exec_lo, exec_lo, s75
	s_and_saveexec_b32 s75, s4
	s_cbranch_execnz .LBB81_100
.LBB81_68:                              ;   in Loop: Header=BB81_63 Depth=1
	s_or_b32 exec_lo, exec_lo, s75
	s_and_saveexec_b32 s75, s5
	s_cbranch_execnz .LBB81_101
.LBB81_69:                              ;   in Loop: Header=BB81_63 Depth=1
	s_or_b32 exec_lo, exec_lo, s75
	s_and_saveexec_b32 s75, s6
	s_cbranch_execnz .LBB81_102
.LBB81_70:                              ;   in Loop: Header=BB81_63 Depth=1
	s_or_b32 exec_lo, exec_lo, s75
	s_and_saveexec_b32 s75, s7
	s_cbranch_execnz .LBB81_103
.LBB81_71:                              ;   in Loop: Header=BB81_63 Depth=1
	s_or_b32 exec_lo, exec_lo, s75
	s_and_saveexec_b32 s75, s8
	s_cbranch_execnz .LBB81_104
.LBB81_72:                              ;   in Loop: Header=BB81_63 Depth=1
	s_or_b32 exec_lo, exec_lo, s75
	s_and_saveexec_b32 s75, s9
	s_cbranch_execnz .LBB81_105
.LBB81_73:                              ;   in Loop: Header=BB81_63 Depth=1
	s_or_b32 exec_lo, exec_lo, s75
	s_and_saveexec_b32 s75, s10
	s_cbranch_execnz .LBB81_106
.LBB81_74:                              ;   in Loop: Header=BB81_63 Depth=1
	s_or_b32 exec_lo, exec_lo, s75
	s_and_saveexec_b32 s75, s11
	s_cbranch_execnz .LBB81_107
.LBB81_75:                              ;   in Loop: Header=BB81_63 Depth=1
	s_or_b32 exec_lo, exec_lo, s75
	s_and_saveexec_b32 s75, s12
	s_cbranch_execnz .LBB81_108
.LBB81_76:                              ;   in Loop: Header=BB81_63 Depth=1
	s_or_b32 exec_lo, exec_lo, s75
	s_and_saveexec_b32 s75, s13
	s_cbranch_execnz .LBB81_109
.LBB81_77:                              ;   in Loop: Header=BB81_63 Depth=1
	s_or_b32 exec_lo, exec_lo, s75
	s_and_saveexec_b32 s75, s14
	s_cbranch_execnz .LBB81_110
.LBB81_78:                              ;   in Loop: Header=BB81_63 Depth=1
	s_or_b32 exec_lo, exec_lo, s75
	s_and_saveexec_b32 s75, s15
	s_cbranch_execnz .LBB81_111
.LBB81_79:                              ;   in Loop: Header=BB81_63 Depth=1
	s_or_b32 exec_lo, exec_lo, s75
	s_and_saveexec_b32 s75, s16
	s_cbranch_execnz .LBB81_112
.LBB81_80:                              ;   in Loop: Header=BB81_63 Depth=1
	s_or_b32 exec_lo, exec_lo, s75
	s_and_saveexec_b32 s75, s17
	s_cbranch_execnz .LBB81_113
.LBB81_81:                              ;   in Loop: Header=BB81_63 Depth=1
	s_or_b32 exec_lo, exec_lo, s75
	s_and_saveexec_b32 s75, s18
	s_cbranch_execnz .LBB81_114
.LBB81_82:                              ;   in Loop: Header=BB81_63 Depth=1
	s_or_b32 exec_lo, exec_lo, s75
	s_and_saveexec_b32 s75, s19
	s_cbranch_execnz .LBB81_115
.LBB81_83:                              ;   in Loop: Header=BB81_63 Depth=1
	s_or_b32 exec_lo, exec_lo, s75
	s_and_saveexec_b32 s75, s20
	s_cbranch_execnz .LBB81_116
.LBB81_84:                              ;   in Loop: Header=BB81_63 Depth=1
	s_or_b32 exec_lo, exec_lo, s75
	s_and_saveexec_b32 s75, s21
	s_cbranch_execnz .LBB81_117
.LBB81_85:                              ;   in Loop: Header=BB81_63 Depth=1
	s_or_b32 exec_lo, exec_lo, s75
	s_and_saveexec_b32 s75, s22
	s_cbranch_execnz .LBB81_118
.LBB81_86:                              ;   in Loop: Header=BB81_63 Depth=1
	s_or_b32 exec_lo, exec_lo, s75
	s_and_saveexec_b32 s75, s23
	s_cbranch_execnz .LBB81_119
.LBB81_87:                              ;   in Loop: Header=BB81_63 Depth=1
	s_or_b32 exec_lo, exec_lo, s75
	s_and_saveexec_b32 s75, s24
	s_cbranch_execnz .LBB81_120
.LBB81_88:                              ;   in Loop: Header=BB81_63 Depth=1
	s_or_b32 exec_lo, exec_lo, s75
	s_and_saveexec_b32 s75, s25
	s_cbranch_execnz .LBB81_121
.LBB81_89:                              ;   in Loop: Header=BB81_63 Depth=1
	s_or_b32 exec_lo, exec_lo, s75
	s_and_saveexec_b32 s75, s26
	s_cbranch_execnz .LBB81_122
.LBB81_90:                              ;   in Loop: Header=BB81_63 Depth=1
	s_or_b32 exec_lo, exec_lo, s75
	s_and_saveexec_b32 s75, s27
	s_cbranch_execnz .LBB81_123
.LBB81_91:                              ;   in Loop: Header=BB81_63 Depth=1
	s_or_b32 exec_lo, exec_lo, s75
	s_and_saveexec_b32 s75, s28
	s_cbranch_execnz .LBB81_124
.LBB81_92:                              ;   in Loop: Header=BB81_63 Depth=1
	s_or_b32 exec_lo, exec_lo, s75
	s_and_saveexec_b32 s75, s29
	s_cbranch_execnz .LBB81_125
.LBB81_93:                              ;   in Loop: Header=BB81_63 Depth=1
	s_or_b32 exec_lo, exec_lo, s75
	s_and_saveexec_b32 s75, s30
	s_cbranch_execnz .LBB81_126
.LBB81_94:                              ;   in Loop: Header=BB81_63 Depth=1
	s_or_b32 exec_lo, exec_lo, s75
	s_and_saveexec_b32 s75, s31
	s_cbranch_execnz .LBB81_127
.LBB81_95:                              ;   in Loop: Header=BB81_63 Depth=1
	s_or_b32 exec_lo, exec_lo, s75
	s_and_saveexec_b32 s31, vcc_lo
	s_cbranch_execz .LBB81_62
	s_branch .LBB81_128
.LBB81_96:                              ;   in Loop: Header=BB81_63 Depth=1
	v_mov_b32_e32 v8, s36
	ds_load_b32 v8, v8
	s_waitcnt lgkmcnt(0)
	v_add_nc_u32_e32 v7, v8, v7
	s_or_b32 exec_lo, exec_lo, s75
	s_and_saveexec_b32 s75, s1
	s_cbranch_execz .LBB81_65
.LBB81_97:                              ;   in Loop: Header=BB81_63 Depth=1
	v_mov_b32_e32 v8, s37
	ds_load_b32 v8, v8
	s_waitcnt lgkmcnt(0)
	v_add_nc_u32_e32 v7, v8, v7
	s_or_b32 exec_lo, exec_lo, s75
	s_and_saveexec_b32 s75, s2
	s_cbranch_execz .LBB81_66
.LBB81_98:                              ;   in Loop: Header=BB81_63 Depth=1
	v_mov_b32_e32 v8, s38
	ds_load_b32 v8, v8
	s_waitcnt lgkmcnt(0)
	v_add_nc_u32_e32 v7, v8, v7
	s_or_b32 exec_lo, exec_lo, s75
	s_and_saveexec_b32 s75, s3
	s_cbranch_execz .LBB81_67
.LBB81_99:                              ;   in Loop: Header=BB81_63 Depth=1
	v_mov_b32_e32 v8, s39
	ds_load_b32 v8, v8
	s_waitcnt lgkmcnt(0)
	v_add_nc_u32_e32 v7, v8, v7
	s_or_b32 exec_lo, exec_lo, s75
	s_and_saveexec_b32 s75, s4
	s_cbranch_execz .LBB81_68
.LBB81_100:                             ;   in Loop: Header=BB81_63 Depth=1
	v_mov_b32_e32 v8, s40
	ds_load_b32 v8, v8
	s_waitcnt lgkmcnt(0)
	v_add_nc_u32_e32 v7, v8, v7
	s_or_b32 exec_lo, exec_lo, s75
	s_and_saveexec_b32 s75, s5
	s_cbranch_execz .LBB81_69
.LBB81_101:                             ;   in Loop: Header=BB81_63 Depth=1
	v_mov_b32_e32 v8, s41
	ds_load_b32 v8, v8
	s_waitcnt lgkmcnt(0)
	v_add_nc_u32_e32 v7, v8, v7
	s_or_b32 exec_lo, exec_lo, s75
	s_and_saveexec_b32 s75, s6
	s_cbranch_execz .LBB81_70
.LBB81_102:                             ;   in Loop: Header=BB81_63 Depth=1
	v_mov_b32_e32 v8, s44
	ds_load_b32 v8, v8
	s_waitcnt lgkmcnt(0)
	v_add_nc_u32_e32 v7, v8, v7
	s_or_b32 exec_lo, exec_lo, s75
	s_and_saveexec_b32 s75, s7
	s_cbranch_execz .LBB81_71
.LBB81_103:                             ;   in Loop: Header=BB81_63 Depth=1
	v_mov_b32_e32 v8, s45
	ds_load_b32 v8, v8
	s_waitcnt lgkmcnt(0)
	v_add_nc_u32_e32 v7, v8, v7
	s_or_b32 exec_lo, exec_lo, s75
	s_and_saveexec_b32 s75, s8
	s_cbranch_execz .LBB81_72
.LBB81_104:                             ;   in Loop: Header=BB81_63 Depth=1
	v_mov_b32_e32 v8, s47
	ds_load_b32 v8, v8
	s_waitcnt lgkmcnt(0)
	v_add_nc_u32_e32 v7, v8, v7
	s_or_b32 exec_lo, exec_lo, s75
	s_and_saveexec_b32 s75, s9
	s_cbranch_execz .LBB81_73
.LBB81_105:                             ;   in Loop: Header=BB81_63 Depth=1
	v_mov_b32_e32 v8, s52
	ds_load_b32 v8, v8
	s_waitcnt lgkmcnt(0)
	v_add_nc_u32_e32 v7, v8, v7
	s_or_b32 exec_lo, exec_lo, s75
	s_and_saveexec_b32 s75, s10
	s_cbranch_execz .LBB81_74
.LBB81_106:                             ;   in Loop: Header=BB81_63 Depth=1
	v_mov_b32_e32 v8, s53
	ds_load_b32 v8, v8
	s_waitcnt lgkmcnt(0)
	v_add_nc_u32_e32 v7, v8, v7
	s_or_b32 exec_lo, exec_lo, s75
	s_and_saveexec_b32 s75, s11
	s_cbranch_execz .LBB81_75
.LBB81_107:                             ;   in Loop: Header=BB81_63 Depth=1
	v_mov_b32_e32 v8, s54
	ds_load_b32 v8, v8
	s_waitcnt lgkmcnt(0)
	v_add_nc_u32_e32 v7, v8, v7
	s_or_b32 exec_lo, exec_lo, s75
	s_and_saveexec_b32 s75, s12
	s_cbranch_execz .LBB81_76
.LBB81_108:                             ;   in Loop: Header=BB81_63 Depth=1
	v_mov_b32_e32 v8, s55
	ds_load_b32 v8, v8
	s_waitcnt lgkmcnt(0)
	v_add_nc_u32_e32 v7, v8, v7
	s_or_b32 exec_lo, exec_lo, s75
	s_and_saveexec_b32 s75, s13
	s_cbranch_execz .LBB81_77
.LBB81_109:                             ;   in Loop: Header=BB81_63 Depth=1
	v_mov_b32_e32 v8, s56
	ds_load_b32 v8, v8
	s_waitcnt lgkmcnt(0)
	v_add_nc_u32_e32 v7, v8, v7
	s_or_b32 exec_lo, exec_lo, s75
	s_and_saveexec_b32 s75, s14
	s_cbranch_execz .LBB81_78
.LBB81_110:                             ;   in Loop: Header=BB81_63 Depth=1
	v_mov_b32_e32 v8, s57
	ds_load_b32 v8, v8
	s_waitcnt lgkmcnt(0)
	v_add_nc_u32_e32 v7, v8, v7
	s_or_b32 exec_lo, exec_lo, s75
	s_and_saveexec_b32 s75, s15
	s_cbranch_execz .LBB81_79
.LBB81_111:                             ;   in Loop: Header=BB81_63 Depth=1
	v_mov_b32_e32 v8, s58
	ds_load_b32 v8, v8
	s_waitcnt lgkmcnt(0)
	v_add_nc_u32_e32 v7, v8, v7
	s_or_b32 exec_lo, exec_lo, s75
	s_and_saveexec_b32 s75, s16
	s_cbranch_execz .LBB81_80
.LBB81_112:                             ;   in Loop: Header=BB81_63 Depth=1
	v_mov_b32_e32 v8, s59
	ds_load_b32 v8, v8
	s_waitcnt lgkmcnt(0)
	v_add_nc_u32_e32 v7, v8, v7
	s_or_b32 exec_lo, exec_lo, s75
	s_and_saveexec_b32 s75, s17
	s_cbranch_execz .LBB81_81
.LBB81_113:                             ;   in Loop: Header=BB81_63 Depth=1
	v_mov_b32_e32 v8, s60
	ds_load_b32 v8, v8
	s_waitcnt lgkmcnt(0)
	v_add_nc_u32_e32 v7, v8, v7
	s_or_b32 exec_lo, exec_lo, s75
	s_and_saveexec_b32 s75, s18
	s_cbranch_execz .LBB81_82
.LBB81_114:                             ;   in Loop: Header=BB81_63 Depth=1
	v_mov_b32_e32 v8, s61
	ds_load_b32 v8, v8
	s_waitcnt lgkmcnt(0)
	v_add_nc_u32_e32 v7, v8, v7
	s_or_b32 exec_lo, exec_lo, s75
	s_and_saveexec_b32 s75, s19
	s_cbranch_execz .LBB81_83
.LBB81_115:                             ;   in Loop: Header=BB81_63 Depth=1
	v_mov_b32_e32 v8, s62
	ds_load_b32 v8, v8
	s_waitcnt lgkmcnt(0)
	v_add_nc_u32_e32 v7, v8, v7
	s_or_b32 exec_lo, exec_lo, s75
	s_and_saveexec_b32 s75, s20
	s_cbranch_execz .LBB81_84
.LBB81_116:                             ;   in Loop: Header=BB81_63 Depth=1
	v_mov_b32_e32 v8, s63
	ds_load_b32 v8, v8
	s_waitcnt lgkmcnt(0)
	v_add_nc_u32_e32 v7, v8, v7
	s_or_b32 exec_lo, exec_lo, s75
	s_and_saveexec_b32 s75, s21
	s_cbranch_execz .LBB81_85
.LBB81_117:                             ;   in Loop: Header=BB81_63 Depth=1
	v_mov_b32_e32 v8, s64
	ds_load_b32 v8, v8
	s_waitcnt lgkmcnt(0)
	v_add_nc_u32_e32 v7, v8, v7
	s_or_b32 exec_lo, exec_lo, s75
	s_and_saveexec_b32 s75, s22
	s_cbranch_execz .LBB81_86
.LBB81_118:                             ;   in Loop: Header=BB81_63 Depth=1
	v_mov_b32_e32 v8, s65
	ds_load_b32 v8, v8
	s_waitcnt lgkmcnt(0)
	v_add_nc_u32_e32 v7, v8, v7
	s_or_b32 exec_lo, exec_lo, s75
	s_and_saveexec_b32 s75, s23
	s_cbranch_execz .LBB81_87
.LBB81_119:                             ;   in Loop: Header=BB81_63 Depth=1
	v_mov_b32_e32 v8, s66
	ds_load_b32 v8, v8
	s_waitcnt lgkmcnt(0)
	v_add_nc_u32_e32 v7, v8, v7
	s_or_b32 exec_lo, exec_lo, s75
	s_and_saveexec_b32 s75, s24
	s_cbranch_execz .LBB81_88
.LBB81_120:                             ;   in Loop: Header=BB81_63 Depth=1
	v_mov_b32_e32 v8, s67
	ds_load_b32 v8, v8
	s_waitcnt lgkmcnt(0)
	v_add_nc_u32_e32 v7, v8, v7
	s_or_b32 exec_lo, exec_lo, s75
	s_and_saveexec_b32 s75, s25
	s_cbranch_execz .LBB81_89
.LBB81_121:                             ;   in Loop: Header=BB81_63 Depth=1
	v_mov_b32_e32 v8, s68
	ds_load_b32 v8, v8
	s_waitcnt lgkmcnt(0)
	v_add_nc_u32_e32 v7, v8, v7
	s_or_b32 exec_lo, exec_lo, s75
	s_and_saveexec_b32 s75, s26
	s_cbranch_execz .LBB81_90
.LBB81_122:                             ;   in Loop: Header=BB81_63 Depth=1
	v_mov_b32_e32 v8, s69
	ds_load_b32 v8, v8
	s_waitcnt lgkmcnt(0)
	v_add_nc_u32_e32 v7, v8, v7
	s_or_b32 exec_lo, exec_lo, s75
	s_and_saveexec_b32 s75, s27
	s_cbranch_execz .LBB81_91
.LBB81_123:                             ;   in Loop: Header=BB81_63 Depth=1
	v_mov_b32_e32 v8, s71
	ds_load_b32 v8, v8
	s_waitcnt lgkmcnt(0)
	v_add_nc_u32_e32 v7, v8, v7
	s_or_b32 exec_lo, exec_lo, s75
	s_and_saveexec_b32 s75, s28
	s_cbranch_execz .LBB81_92
.LBB81_124:                             ;   in Loop: Header=BB81_63 Depth=1
	v_mov_b32_e32 v8, s72
	ds_load_b32 v8, v8
	s_waitcnt lgkmcnt(0)
	v_add_nc_u32_e32 v7, v8, v7
	s_or_b32 exec_lo, exec_lo, s75
	s_and_saveexec_b32 s75, s29
	s_cbranch_execz .LBB81_93
.LBB81_125:                             ;   in Loop: Header=BB81_63 Depth=1
	v_mov_b32_e32 v8, s73
	ds_load_b32 v8, v8
	s_waitcnt lgkmcnt(0)
	v_add_nc_u32_e32 v7, v8, v7
	s_or_b32 exec_lo, exec_lo, s75
	s_and_saveexec_b32 s75, s30
	s_cbranch_execz .LBB81_94
.LBB81_126:                             ;   in Loop: Header=BB81_63 Depth=1
	v_mov_b32_e32 v8, s74
	ds_load_b32 v8, v8
	s_waitcnt lgkmcnt(0)
	v_add_nc_u32_e32 v7, v8, v7
	s_or_b32 exec_lo, exec_lo, s75
	s_and_saveexec_b32 s75, s31
	s_cbranch_execz .LBB81_95
.LBB81_127:                             ;   in Loop: Header=BB81_63 Depth=1
	scratch_load_b128 v[8:11], off, off
	v_add3_u32 v12, v4, -1, v7
	s_delay_alu instid0(VALU_DEP_1) | instskip(SKIP_1) | instid1(VALU_DEP_2)
	v_lshlrev_b32_e32 v13, 4, v12
	v_lshl_add_u32 v12, v12, 2, 0
	v_add3_u32 v13, 0, v13, 0x10000
	ds_store_b32 v12, v6
	s_waitcnt vmcnt(0)
	ds_store_2addr_b64 v13, v[8:9], v[10:11] offset1:1
	s_or_b32 exec_lo, exec_lo, s75
	s_and_saveexec_b32 s31, vcc_lo
	s_cbranch_execz .LBB81_62
.LBB81_128:                             ;   in Loop: Header=BB81_63 Depth=1
	v_mov_b32_e32 v6, s70
	ds_store_b32 v6, v7
	s_branch .LBB81_62
.LBB81_129:
	s_or_b32 exec_lo, exec_lo, s35
	s_ashr_i32 s35, s34, 31
	s_mov_b32 s3, exec_lo
	s_lshl_b64 s[0:1], s[34:35], 2
	s_delay_alu instid0(SALU_CYCLE_1) | instskip(SKIP_4) | instid1(SALU_CYCLE_1)
	s_add_u32 s0, s42, s0
	s_addc_u32 s1, s43, s1
	s_load_b64 s[0:1], s[0:1], 0x0
	s_waitcnt lgkmcnt(0)
	s_sub_i32 s2, s1, s0
	v_cmpx_gt_i32_e64 s2, v0
	s_cbranch_execz .LBB81_139
; %bb.130:
	s_sub_i32 s3, s0, s46
	s_sub_i32 s0, s0, s1
	s_and_b32 s1, s2, 7
	s_cmp_lt_u32 s0, -7
	s_mov_b32 s7, 0
	s_cselect_b32 s4, -1, 0
	s_and_b32 s5, s2, -8
	s_cmp_lg_u32 s1, 0
	s_cselect_b32 s6, -1, 0
	s_branch .LBB81_132
.LBB81_131:                             ;   in Loop: Header=BB81_132 Depth=1
	v_lshlrev_b32_e32 v2, 4, v0
	v_add_nc_u32_e32 v0, 0x400, v0
	s_waitcnt lgkmcnt(0)
	v_add_nc_u32_e32 v3, s46, v3
	s_delay_alu instid0(VALU_DEP_3) | instskip(SKIP_4) | instid1(VALU_DEP_2)
	v_add3_u32 v4, 0, v2, 0x10000
	v_ashrrev_i32_e32 v2, 31, v1
	ds_load_2addr_b64 v[4:7], v4 offset1:1
	v_lshlrev_b64 v[8:9], 2, v[1:2]
	v_lshlrev_b64 v[1:2], 4, v[1:2]
	v_add_co_u32 v8, vcc_lo, s48, v8
	s_delay_alu instid0(VALU_DEP_3) | instskip(SKIP_1) | instid1(VALU_DEP_4)
	v_add_co_ci_u32_e32 v9, vcc_lo, s49, v9, vcc_lo
	v_cmp_le_i32_e32 vcc_lo, s2, v0
	v_add_co_u32 v1, s0, s50, v1
	s_delay_alu instid0(VALU_DEP_1)
	v_add_co_ci_u32_e64 v2, s0, s51, v2, s0
	s_or_b32 s7, vcc_lo, s7
	global_store_b32 v[8:9], v3, off
	s_waitcnt lgkmcnt(0)
	global_store_b128 v[1:2], v[4:7], off
	s_and_not1_b32 exec_lo, exec_lo, s7
	s_cbranch_execz .LBB81_139
.LBB81_132:                             ; =>This Loop Header: Depth=1
                                        ;     Child Loop BB81_134 Depth 2
                                        ;     Child Loop BB81_138 Depth 2
	v_lshl_add_u32 v1, v0, 2, 0
	s_and_not1_b32 vcc_lo, exec_lo, s4
	s_mov_b32 s0, 0
	ds_load_b32 v3, v1
	v_mov_b32_e32 v1, s3
	s_cbranch_vccnz .LBB81_136
; %bb.133:                              ;   in Loop: Header=BB81_132 Depth=1
	v_mov_b32_e32 v1, s3
	s_mov_b32 s8, 0
	s_set_inst_prefetch_distance 0x1
	.p2align	6
.LBB81_134:                             ;   Parent Loop BB81_132 Depth=1
                                        ; =>  This Inner Loop Header: Depth=2
	v_mov_b32_e32 v2, s8
	s_add_i32 s0, s0, 8
	s_add_i32 s8, s8, 32
	s_cmp_eq_u32 s5, s0
	ds_load_2addr_b32 v[4:5], v2 offset1:1
	ds_load_2addr_b32 v[6:7], v2 offset0:2 offset1:3
	ds_load_2addr_b32 v[8:9], v2 offset0:4 offset1:5
	;; [unrolled: 1-line block ×3, first 2 shown]
	s_waitcnt lgkmcnt(3)
	v_cmp_gt_i32_e32 vcc_lo, v3, v4
	v_cndmask_b32_e64 v2, 0, 1, vcc_lo
	s_waitcnt lgkmcnt(2)
	v_cmp_gt_i32_e32 vcc_lo, v3, v6
	v_cndmask_b32_e64 v4, 0, 1, vcc_lo
	v_cmp_gt_i32_e32 vcc_lo, v3, v5
	v_add_co_ci_u32_e32 v1, vcc_lo, v1, v2, vcc_lo
	s_waitcnt lgkmcnt(1)
	v_cmp_gt_i32_e32 vcc_lo, v3, v8
	v_cndmask_b32_e64 v2, 0, 1, vcc_lo
	v_cmp_gt_i32_e32 vcc_lo, v3, v7
	v_add_co_ci_u32_e32 v1, vcc_lo, v1, v4, vcc_lo
	;; [unrolled: 5-line block ×3, first 2 shown]
	v_cmp_gt_i32_e32 vcc_lo, v3, v11
	s_delay_alu instid0(VALU_DEP_2)
	v_add_co_ci_u32_e32 v1, vcc_lo, v1, v4, vcc_lo
	s_cbranch_scc0 .LBB81_134
; %bb.135:                              ;   in Loop: Header=BB81_132 Depth=1
	s_set_inst_prefetch_distance 0x2
	s_mov_b32 s0, s5
.LBB81_136:                             ;   in Loop: Header=BB81_132 Depth=1
	s_and_not1_b32 vcc_lo, exec_lo, s6
	s_cbranch_vccnz .LBB81_131
; %bb.137:                              ;   in Loop: Header=BB81_132 Depth=1
	s_lshl_b32 s0, s0, 2
	s_mov_b32 s8, s1
	s_add_i32 s0, s0, 0
.LBB81_138:                             ;   Parent Loop BB81_132 Depth=1
                                        ; =>  This Inner Loop Header: Depth=2
	s_delay_alu instid0(SALU_CYCLE_1)
	v_mov_b32_e32 v2, s0
	s_add_i32 s8, s8, -1
	s_add_i32 s0, s0, 4
	s_cmp_lg_u32 s8, 0
	ds_load_b32 v2, v2
	s_waitcnt lgkmcnt(0)
	v_cmp_gt_i32_e32 vcc_lo, v3, v2
	v_add_co_ci_u32_e32 v1, vcc_lo, 0, v1, vcc_lo
	s_cbranch_scc1 .LBB81_138
	s_branch .LBB81_131
.LBB81_139:
	s_nop 0
	s_sendmsg sendmsg(MSG_DEALLOC_VGPRS)
	s_endpgm
	.section	.rodata,"a",@progbits
	.p2align	6, 0x0
	.amdhsa_kernel _ZN9rocsparseL26csrgemm_fill_block_per_rowILj1024ELj64ELj16384ELj137ELj32Eii21rocsparse_complex_numIdEEEvT5_PKS3_S5_NS_24const_host_device_scalarIT6_EEPKT4_S5_PKS7_SB_S5_SD_S8_SB_S5_SD_SB_PS3_PS7_21rocsparse_index_base_SG_SG_SG_bbb
		.amdhsa_group_segment_fixed_size 0
		.amdhsa_private_segment_fixed_size 40
		.amdhsa_kernarg_size 172
		.amdhsa_user_sgpr_count 15
		.amdhsa_user_sgpr_dispatch_ptr 0
		.amdhsa_user_sgpr_queue_ptr 0
		.amdhsa_user_sgpr_kernarg_segment_ptr 1
		.amdhsa_user_sgpr_dispatch_id 0
		.amdhsa_user_sgpr_private_segment_size 0
		.amdhsa_wavefront_size32 1
		.amdhsa_uses_dynamic_stack 0
		.amdhsa_enable_private_segment 1
		.amdhsa_system_sgpr_workgroup_id_x 1
		.amdhsa_system_sgpr_workgroup_id_y 0
		.amdhsa_system_sgpr_workgroup_id_z 0
		.amdhsa_system_sgpr_workgroup_info 0
		.amdhsa_system_vgpr_workitem_id 0
		.amdhsa_next_free_vgpr 31
		.amdhsa_next_free_sgpr 76
		.amdhsa_reserve_vcc 1
		.amdhsa_float_round_mode_32 0
		.amdhsa_float_round_mode_16_64 0
		.amdhsa_float_denorm_mode_32 3
		.amdhsa_float_denorm_mode_16_64 3
		.amdhsa_dx10_clamp 1
		.amdhsa_ieee_mode 1
		.amdhsa_fp16_overflow 0
		.amdhsa_workgroup_processor_mode 1
		.amdhsa_memory_ordered 1
		.amdhsa_forward_progress 0
		.amdhsa_shared_vgpr_count 0
		.amdhsa_exception_fp_ieee_invalid_op 0
		.amdhsa_exception_fp_denorm_src 0
		.amdhsa_exception_fp_ieee_div_zero 0
		.amdhsa_exception_fp_ieee_overflow 0
		.amdhsa_exception_fp_ieee_underflow 0
		.amdhsa_exception_fp_ieee_inexact 0
		.amdhsa_exception_int_div_zero 0
	.end_amdhsa_kernel
	.section	.text._ZN9rocsparseL26csrgemm_fill_block_per_rowILj1024ELj64ELj16384ELj137ELj32Eii21rocsparse_complex_numIdEEEvT5_PKS3_S5_NS_24const_host_device_scalarIT6_EEPKT4_S5_PKS7_SB_S5_SD_S8_SB_S5_SD_SB_PS3_PS7_21rocsparse_index_base_SG_SG_SG_bbb,"axG",@progbits,_ZN9rocsparseL26csrgemm_fill_block_per_rowILj1024ELj64ELj16384ELj137ELj32Eii21rocsparse_complex_numIdEEEvT5_PKS3_S5_NS_24const_host_device_scalarIT6_EEPKT4_S5_PKS7_SB_S5_SD_S8_SB_S5_SD_SB_PS3_PS7_21rocsparse_index_base_SG_SG_SG_bbb,comdat
.Lfunc_end81:
	.size	_ZN9rocsparseL26csrgemm_fill_block_per_rowILj1024ELj64ELj16384ELj137ELj32Eii21rocsparse_complex_numIdEEEvT5_PKS3_S5_NS_24const_host_device_scalarIT6_EEPKT4_S5_PKS7_SB_S5_SD_S8_SB_S5_SD_SB_PS3_PS7_21rocsparse_index_base_SG_SG_SG_bbb, .Lfunc_end81-_ZN9rocsparseL26csrgemm_fill_block_per_rowILj1024ELj64ELj16384ELj137ELj32Eii21rocsparse_complex_numIdEEEvT5_PKS3_S5_NS_24const_host_device_scalarIT6_EEPKT4_S5_PKS7_SB_S5_SD_S8_SB_S5_SD_SB_PS3_PS7_21rocsparse_index_base_SG_SG_SG_bbb
                                        ; -- End function
	.section	.AMDGPU.csdata,"",@progbits
; Kernel info:
; codeLenInByte = 5340
; NumSgprs: 78
; NumVgprs: 31
; ScratchSize: 40
; MemoryBound: 0
; FloatMode: 240
; IeeeMode: 1
; LDSByteSize: 0 bytes/workgroup (compile time only)
; SGPRBlocks: 9
; VGPRBlocks: 3
; NumSGPRsForWavesPerEU: 78
; NumVGPRsForWavesPerEU: 31
; Occupancy: 16
; WaveLimiterHint : 1
; COMPUTE_PGM_RSRC2:SCRATCH_EN: 1
; COMPUTE_PGM_RSRC2:USER_SGPR: 15
; COMPUTE_PGM_RSRC2:TRAP_HANDLER: 0
; COMPUTE_PGM_RSRC2:TGID_X_EN: 1
; COMPUTE_PGM_RSRC2:TGID_Y_EN: 0
; COMPUTE_PGM_RSRC2:TGID_Z_EN: 0
; COMPUTE_PGM_RSRC2:TIDIG_COMP_CNT: 0
	.section	.text._ZN9rocsparseL26csrgemm_fill_block_per_rowILj1024ELj64ELj16384ELj137ELj64Eii21rocsparse_complex_numIdEEEvT5_PKS3_S5_NS_24const_host_device_scalarIT6_EEPKT4_S5_PKS7_SB_S5_SD_S8_SB_S5_SD_SB_PS3_PS7_21rocsparse_index_base_SG_SG_SG_bbb,"axG",@progbits,_ZN9rocsparseL26csrgemm_fill_block_per_rowILj1024ELj64ELj16384ELj137ELj64Eii21rocsparse_complex_numIdEEEvT5_PKS3_S5_NS_24const_host_device_scalarIT6_EEPKT4_S5_PKS7_SB_S5_SD_S8_SB_S5_SD_SB_PS3_PS7_21rocsparse_index_base_SG_SG_SG_bbb,comdat
	.globl	_ZN9rocsparseL26csrgemm_fill_block_per_rowILj1024ELj64ELj16384ELj137ELj64Eii21rocsparse_complex_numIdEEEvT5_PKS3_S5_NS_24const_host_device_scalarIT6_EEPKT4_S5_PKS7_SB_S5_SD_S8_SB_S5_SD_SB_PS3_PS7_21rocsparse_index_base_SG_SG_SG_bbb ; -- Begin function _ZN9rocsparseL26csrgemm_fill_block_per_rowILj1024ELj64ELj16384ELj137ELj64Eii21rocsparse_complex_numIdEEEvT5_PKS3_S5_NS_24const_host_device_scalarIT6_EEPKT4_S5_PKS7_SB_S5_SD_S8_SB_S5_SD_SB_PS3_PS7_21rocsparse_index_base_SG_SG_SG_bbb
	.p2align	8
	.type	_ZN9rocsparseL26csrgemm_fill_block_per_rowILj1024ELj64ELj16384ELj137ELj64Eii21rocsparse_complex_numIdEEEvT5_PKS3_S5_NS_24const_host_device_scalarIT6_EEPKT4_S5_PKS7_SB_S5_SD_S8_SB_S5_SD_SB_PS3_PS7_21rocsparse_index_base_SG_SG_SG_bbb,@function
_ZN9rocsparseL26csrgemm_fill_block_per_rowILj1024ELj64ELj16384ELj137ELj64Eii21rocsparse_complex_numIdEEEvT5_PKS3_S5_NS_24const_host_device_scalarIT6_EEPKT4_S5_PKS7_SB_S5_SD_S8_SB_S5_SD_SB_PS3_PS7_21rocsparse_index_base_SG_SG_SG_bbb: ; @_ZN9rocsparseL26csrgemm_fill_block_per_rowILj1024ELj64ELj16384ELj137ELj64Eii21rocsparse_complex_numIdEEEvT5_PKS3_S5_NS_24const_host_device_scalarIT6_EEPKT4_S5_PKS7_SB_S5_SD_S8_SB_S5_SD_SB_PS3_PS7_21rocsparse_index_base_SG_SG_SG_bbb
; %bb.0:
	s_clause 0x3
	s_load_b32 s14, s[0:1], 0xa8
	s_load_b128 s[4:7], s[0:1], 0x18
	s_load_b128 s[40:43], s[0:1], 0x58
	;; [unrolled: 1-line block ×3, first 2 shown]
	v_mov_b32_e32 v1, 0
	v_mov_b32_e32 v2, 0
	s_waitcnt lgkmcnt(0)
	s_bitcmp1_b32 s14, 0
	v_mov_b32_e32 v3, s4
	s_cselect_b32 s12, -1, 0
	s_bitcmp1_b32 s14, 16
	v_dual_mov_b32 v6, v2 :: v_dual_mov_b32 v5, v1
	s_cselect_b32 s2, -1, 0
	v_mov_b32_e32 v4, s5
	s_xor_b32 s13, s2, -1
	v_dual_mov_b32 v9, s40 :: v_dual_mov_b32 v10, s41
	v_cndmask_b32_e64 v7, 0, 1, s13
	s_bitcmp0_b32 s14, 0
	s_clause 0x1
	scratch_store_b64 off, v[3:4], off offset:16
	scratch_store_b64 off, v[9:10], off offset:24
	v_cmp_ne_u32_e32 vcc_lo, 1, v7
	v_dual_mov_b32 v8, v2 :: v_dual_mov_b32 v7, v1
	s_cbranch_scc1 .LBB82_3
; %bb.1:
	s_mov_b64 s[8:9], src_private_base
	s_and_b32 s3, s2, exec_lo
	s_cselect_b32 s3, s9, s5
	s_delay_alu instid0(SALU_CYCLE_1) | instskip(SKIP_2) | instid1(VALU_DEP_2)
	v_dual_mov_b32 v3, 16 :: v_dual_mov_b32 v4, s3
	v_dual_mov_b32 v8, s7 :: v_dual_mov_b32 v7, s6
	s_and_b32 vcc_lo, exec_lo, vcc_lo
	v_cndmask_b32_e64 v3, s4, v3, s2
	flat_load_b64 v[5:6], v[3:4]
	s_cbranch_vccnz .LBB82_3
; %bb.2:
	v_dual_mov_b32 v3, s4 :: v_dual_mov_b32 v4, s5
	flat_load_b64 v[7:8], v[3:4] offset:8
.LBB82_3:
	s_clause 0x4
	s_load_b128 s[28:31], s[0:1], 0x88
	s_load_b256 s[16:23], s[0:1], 0x68
	s_load_b128 s[36:39], s[0:1], 0x48
	s_load_b128 s[44:47], s[0:1], 0x8
	s_load_b256 s[4:11], s[0:1], 0x28
	s_bitcmp1_b32 s14, 8
	v_dual_mov_b32 v4, v2 :: v_dual_mov_b32 v3, v1
	s_cselect_b32 s3, -1, 0
	s_bfe_u32 s14, s14, 0x10008
	s_delay_alu instid0(SALU_CYCLE_1)
	s_cmp_eq_u32 s14, 0
	s_cbranch_scc1 .LBB82_6
; %bb.4:
	s_mov_b64 s[34:35], src_private_base
	s_and_b32 s14, s2, exec_lo
	s_cselect_b32 s14, s35, s41
	s_delay_alu instid0(SALU_CYCLE_1) | instskip(SKIP_1) | instid1(VALU_DEP_1)
	v_dual_mov_b32 v1, 24 :: v_dual_mov_b32 v2, s14
	s_and_not1_b32 vcc_lo, exec_lo, s13
	v_cndmask_b32_e64 v1, s40, v1, s2
	flat_load_b64 v[3:4], v[1:2]
	v_dual_mov_b32 v1, s42 :: v_dual_mov_b32 v2, s43
	s_cbranch_vccnz .LBB82_6
; %bb.5:
	v_dual_mov_b32 v1, s40 :: v_dual_mov_b32 v2, s41
	flat_load_b64 v[1:2], v[1:2] offset:8
.LBB82_6:
	s_load_b32 s33, s[0:1], 0x0
	s_mov_b32 s0, 0
	v_or_b32_e32 v23, 0xfffffc00, v0
	v_lshl_add_u32 v24, v0, 2, 0
	s_mov_b32 s1, s0
	s_delay_alu instid0(SALU_CYCLE_1)
	v_dual_mov_b32 v10, s1 :: v_dual_lshlrev_b32 v25, 4, v0
	s_mov_b32 s34, s0
	s_mov_b32 s35, s0
	v_dual_mov_b32 v11, s34 :: v_dual_mov_b32 v14, v24
	v_dual_mov_b32 v9, s0 :: v_dual_mov_b32 v12, s35
	v_add3_u32 v13, v25, 0, 0x10008
	s_waitcnt lgkmcnt(0)
	v_dual_mov_b32 v16, v23 :: v_dual_mov_b32 v15, s33
.LBB82_7:                               ; =>This Inner Loop Header: Depth=1
	s_delay_alu instid0(VALU_DEP_1)
	v_add_nc_u32_e32 v16, 0x400, v16
	ds_store_b32 v14, v15
	v_add_nc_u32_e32 v17, -8, v13
	v_add_nc_u32_e32 v13, 0x4000, v13
	v_add_nc_u32_e32 v14, 0x1000, v14
	v_cmp_lt_u32_e32 vcc_lo, 0x3bff, v16
	ds_store_2addr_b64 v17, v[9:10], v[11:12] offset1:1
	s_or_b32 s0, vcc_lo, s0
	s_delay_alu instid0(SALU_CYCLE_1)
	s_and_not1_b32 exec_lo, exec_lo, s0
	s_cbranch_execnz .LBB82_7
; %bb.8:
	s_or_b32 exec_lo, exec_lo, s0
	s_waitcnt vmcnt(0) lgkmcnt(0)
	s_waitcnt_vscnt null, 0x0
	s_barrier
	buffer_gl0_inv
	s_load_b32 s0, s[44:45], 0x0
	s_mov_b32 s1, 0
	v_lshrrev_b32_e32 v26, 6, v0
	s_waitcnt lgkmcnt(0)
	s_add_i32 s0, s0, s15
	s_delay_alu instid0(SALU_CYCLE_1) | instskip(NEXT) | instid1(SALU_CYCLE_1)
	s_lshl_b64 s[0:1], s[0:1], 2
	s_add_u32 s0, s46, s0
	s_addc_u32 s1, s47, s1
	s_and_b32 vcc_lo, exec_lo, s12
	s_load_b32 s34, s[0:1], 0x0
	s_cbranch_vccz .LBB82_36
; %bb.9:
	s_waitcnt lgkmcnt(0)
	s_ashr_i32 s35, s34, 31
	v_subrev_nc_u32_e32 v9, s24, v26
	s_lshl_b64 s[0:1], s[34:35], 2
	s_delay_alu instid0(SALU_CYCLE_1)
	s_add_u32 s0, s4, s0
	s_addc_u32 s1, s5, s1
	s_load_b64 s[0:1], s[0:1], 0x0
	s_waitcnt lgkmcnt(0)
	v_add_nc_u32_e32 v9, s0, v9
	s_sub_i32 s0, s1, s24
	s_mov_b32 s1, exec_lo
	s_delay_alu instid0(VALU_DEP_1)
	v_cmpx_gt_i32_e64 s0, v9
	s_cbranch_execz .LBB82_35
; %bb.10:
	v_and_b32_e32 v10, 63, v0
	s_mov_b32 s2, 0
	s_delay_alu instid0(VALU_DEP_1)
	v_subrev_nc_u32_e32 v27, s25, v10
	s_branch .LBB82_12
.LBB82_11:                              ;   in Loop: Header=BB82_12 Depth=1
	s_or_b32 exec_lo, exec_lo, s4
	v_add_nc_u32_e32 v9, 16, v9
	s_delay_alu instid0(VALU_DEP_1) | instskip(SKIP_1) | instid1(SALU_CYCLE_1)
	v_cmp_le_i32_e32 vcc_lo, s0, v9
	s_or_b32 s2, vcc_lo, s2
	s_and_not1_b32 exec_lo, exec_lo, s2
	s_cbranch_execz .LBB82_35
.LBB82_12:                              ; =>This Loop Header: Depth=1
                                        ;     Child Loop BB82_15 Depth 2
                                        ;       Child Loop BB82_17 Depth 3
                                        ;         Child Loop BB82_23 Depth 4
                                        ;         Child Loop BB82_25 Depth 4
	;; [unrolled: 1-line block ×4, first 2 shown]
	v_ashrrev_i32_e32 v10, 31, v9
	s_mov_b32 s4, exec_lo
	s_delay_alu instid0(VALU_DEP_1) | instskip(NEXT) | instid1(VALU_DEP_1)
	v_lshlrev_b64 v[11:12], 2, v[9:10]
	v_add_co_u32 v11, vcc_lo, s6, v11
	s_delay_alu instid0(VALU_DEP_2) | instskip(SKIP_3) | instid1(VALU_DEP_1)
	v_add_co_ci_u32_e32 v12, vcc_lo, s7, v12, vcc_lo
	global_load_b32 v11, v[11:12], off
	s_waitcnt vmcnt(0)
	v_subrev_nc_u32_e32 v11, s24, v11
	v_ashrrev_i32_e32 v12, 31, v11
	s_delay_alu instid0(VALU_DEP_1) | instskip(NEXT) | instid1(VALU_DEP_1)
	v_lshlrev_b64 v[11:12], 2, v[11:12]
	v_add_co_u32 v11, vcc_lo, s10, v11
	s_delay_alu instid0(VALU_DEP_2) | instskip(SKIP_4) | instid1(VALU_DEP_1)
	v_add_co_ci_u32_e32 v12, vcc_lo, s11, v12, vcc_lo
	global_load_b64 v[11:12], v[11:12], off
	s_waitcnt vmcnt(0)
	v_subrev_nc_u32_e32 v28, s25, v12
	v_add_nc_u32_e32 v11, v11, v27
	v_cmpx_lt_i32_e64 v11, v28
	s_cbranch_execz .LBB82_11
; %bb.13:                               ;   in Loop: Header=BB82_12 Depth=1
	v_lshlrev_b64 v[12:13], 4, v[9:10]
	s_mov_b32 s5, 0
	s_delay_alu instid0(VALU_DEP_1) | instskip(NEXT) | instid1(VALU_DEP_2)
	v_add_co_u32 v12, vcc_lo, s8, v12
	v_add_co_ci_u32_e32 v13, vcc_lo, s9, v13, vcc_lo
	global_load_b128 v[15:18], v[12:13], off
	s_waitcnt vmcnt(0)
	v_mul_f64 v[12:13], v[17:18], -v[7:8]
	v_mul_f64 v[17:18], v[5:6], v[17:18]
	s_delay_alu instid0(VALU_DEP_2) | instskip(NEXT) | instid1(VALU_DEP_2)
	v_fma_f64 v[13:14], v[5:6], v[15:16], v[12:13]
	v_fma_f64 v[15:16], v[7:8], v[15:16], v[17:18]
	s_branch .LBB82_15
.LBB82_14:                              ;   in Loop: Header=BB82_15 Depth=2
	s_or_b32 exec_lo, exec_lo, s12
	v_add_nc_u32_e32 v11, 64, v11
	s_delay_alu instid0(VALU_DEP_1) | instskip(SKIP_1) | instid1(SALU_CYCLE_1)
	v_cmp_ge_i32_e32 vcc_lo, v11, v28
	s_or_b32 s5, vcc_lo, s5
	s_and_not1_b32 exec_lo, exec_lo, s5
	s_cbranch_execz .LBB82_11
.LBB82_15:                              ;   Parent Loop BB82_12 Depth=1
                                        ; =>  This Loop Header: Depth=2
                                        ;       Child Loop BB82_17 Depth 3
                                        ;         Child Loop BB82_23 Depth 4
                                        ;         Child Loop BB82_25 Depth 4
	;; [unrolled: 1-line block ×4, first 2 shown]
	v_ashrrev_i32_e32 v12, 31, v11
	s_mov_b32 s12, 0
	s_delay_alu instid0(VALU_DEP_1) | instskip(NEXT) | instid1(VALU_DEP_1)
	v_lshlrev_b64 v[17:18], 4, v[11:12]
	v_add_co_u32 v17, vcc_lo, s38, v17
	s_delay_alu instid0(VALU_DEP_2) | instskip(SKIP_2) | instid1(VALU_DEP_1)
	v_add_co_ci_u32_e32 v18, vcc_lo, s39, v18, vcc_lo
	global_load_b128 v[19:22], v[17:18], off
	v_lshlrev_b64 v[17:18], 2, v[11:12]
	v_add_co_u32 v17, vcc_lo, s36, v17
	s_delay_alu instid0(VALU_DEP_2)
	v_add_co_ci_u32_e32 v18, vcc_lo, s37, v18, vcc_lo
	global_load_b32 v10, v[17:18], off
	s_waitcnt vmcnt(1)
	v_mul_f64 v[17:18], v[21:22], -v[15:16]
	v_mul_f64 v[21:22], v[13:14], v[21:22]
	s_waitcnt vmcnt(0)
	v_subrev_nc_u32_e32 v10, s25, v10
	s_delay_alu instid0(VALU_DEP_1) | instskip(NEXT) | instid1(VALU_DEP_1)
	v_mul_lo_u32 v12, 0x89, v10
	v_and_b32_e32 v12, 0x3fff, v12
	v_fma_f64 v[17:18], v[13:14], v[19:20], v[17:18]
	v_fma_f64 v[19:20], v[15:16], v[19:20], v[21:22]
	s_branch .LBB82_17
.LBB82_16:                              ;   in Loop: Header=BB82_17 Depth=3
	s_or_b32 exec_lo, exec_lo, s13
	s_xor_b32 s13, s14, -1
	s_delay_alu instid0(SALU_CYCLE_1) | instskip(NEXT) | instid1(SALU_CYCLE_1)
	s_and_b32 s13, exec_lo, s13
	s_or_b32 s12, s13, s12
	s_delay_alu instid0(SALU_CYCLE_1)
	s_and_not1_b32 exec_lo, exec_lo, s12
	s_cbranch_execz .LBB82_14
.LBB82_17:                              ;   Parent Loop BB82_12 Depth=1
                                        ;     Parent Loop BB82_15 Depth=2
                                        ; =>    This Loop Header: Depth=3
                                        ;         Child Loop BB82_23 Depth 4
                                        ;         Child Loop BB82_25 Depth 4
                                        ;         Child Loop BB82_31 Depth 4
                                        ;         Child Loop BB82_33 Depth 4
	s_delay_alu instid0(VALU_DEP_3)
	v_lshl_add_u32 v21, v12, 2, 0
	s_mov_b32 s13, exec_lo
                                        ; implicit-def: $sgpr14
	ds_load_b32 v22, v21
	s_waitcnt lgkmcnt(0)
	v_cmpx_ne_u32_e64 v22, v10
	s_xor_b32 s13, exec_lo, s13
	s_cbranch_execz .LBB82_29
; %bb.18:                               ;   in Loop: Header=BB82_17 Depth=3
	s_mov_b32 s15, exec_lo
                                        ; implicit-def: $sgpr14
	v_cmpx_ne_u32_e64 s33, v22
	s_xor_b32 s15, exec_lo, s15
; %bb.19:                               ;   in Loop: Header=BB82_17 Depth=3
	v_add_nc_u32_e32 v12, 1, v12
	s_mov_b32 s14, -1
                                        ; implicit-def: $vgpr21
	s_delay_alu instid0(VALU_DEP_1)
	v_and_b32_e32 v12, 0x3fff, v12
; %bb.20:                               ;   in Loop: Header=BB82_17 Depth=3
	s_and_not1_saveexec_b32 s15, s15
	s_cbranch_execz .LBB82_28
; %bb.21:                               ;   in Loop: Header=BB82_17 Depth=3
	v_mov_b32_e32 v22, s33
	s_mov_b32 s40, -1
	s_mov_b32 s35, exec_lo
	ds_cmpstore_rtn_b32 v21, v21, v10, v22
	s_waitcnt lgkmcnt(0)
	v_cmpx_eq_u32_e64 s33, v21
	s_cbranch_execz .LBB82_27
; %bb.22:                               ;   in Loop: Header=BB82_17 Depth=3
	v_lshlrev_b32_e32 v21, 4, v12
	s_mov_b32 s40, 0
	s_delay_alu instid0(VALU_DEP_1)
	v_add3_u32 v29, 0, v21, 0x10000
	ds_load_b64 v[21:22], v29
.LBB82_23:                              ;   Parent Loop BB82_12 Depth=1
                                        ;     Parent Loop BB82_15 Depth=2
                                        ;       Parent Loop BB82_17 Depth=3
                                        ; =>      This Inner Loop Header: Depth=4
	s_waitcnt lgkmcnt(0)
	v_add_f64 v[30:31], v[21:22], v[17:18]
	ds_cmpstore_rtn_b64 v[30:31], v29, v[30:31], v[21:22]
	s_waitcnt lgkmcnt(0)
	v_cmp_eq_u64_e32 vcc_lo, v[30:31], v[21:22]
	v_dual_mov_b32 v21, v30 :: v_dual_mov_b32 v22, v31
	s_or_b32 s40, vcc_lo, s40
	s_delay_alu instid0(SALU_CYCLE_1)
	s_and_not1_b32 exec_lo, exec_lo, s40
	s_cbranch_execnz .LBB82_23
; %bb.24:                               ;   in Loop: Header=BB82_17 Depth=3
	s_or_b32 exec_lo, exec_lo, s40
	ds_load_b64 v[21:22], v29 offset:8
	s_mov_b32 s40, 0
.LBB82_25:                              ;   Parent Loop BB82_12 Depth=1
                                        ;     Parent Loop BB82_15 Depth=2
                                        ;       Parent Loop BB82_17 Depth=3
                                        ; =>      This Inner Loop Header: Depth=4
	s_waitcnt lgkmcnt(0)
	v_add_f64 v[30:31], v[21:22], v[19:20]
	ds_cmpstore_rtn_b64 v[30:31], v29, v[30:31], v[21:22] offset:8
	s_waitcnt lgkmcnt(0)
	v_cmp_eq_u64_e32 vcc_lo, v[30:31], v[21:22]
	v_dual_mov_b32 v21, v30 :: v_dual_mov_b32 v22, v31
	s_or_b32 s40, vcc_lo, s40
	s_delay_alu instid0(SALU_CYCLE_1)
	s_and_not1_b32 exec_lo, exec_lo, s40
	s_cbranch_execnz .LBB82_25
; %bb.26:                               ;   in Loop: Header=BB82_17 Depth=3
	s_or_b32 exec_lo, exec_lo, s40
	s_delay_alu instid0(SALU_CYCLE_1)
	s_xor_b32 s40, exec_lo, -1
.LBB82_27:                              ;   in Loop: Header=BB82_17 Depth=3
	s_or_b32 exec_lo, exec_lo, s35
	s_delay_alu instid0(SALU_CYCLE_1) | instskip(SKIP_1) | instid1(SALU_CYCLE_1)
	s_and_not1_b32 s14, s14, exec_lo
	s_and_b32 s35, s40, exec_lo
	s_or_b32 s14, s14, s35
.LBB82_28:                              ;   in Loop: Header=BB82_17 Depth=3
	s_or_b32 exec_lo, exec_lo, s15
	s_delay_alu instid0(SALU_CYCLE_1)
	s_and_b32 s14, s14, exec_lo
.LBB82_29:                              ;   in Loop: Header=BB82_17 Depth=3
	s_and_not1_saveexec_b32 s13, s13
	s_cbranch_execz .LBB82_16
; %bb.30:                               ;   in Loop: Header=BB82_17 Depth=3
	v_lshlrev_b32_e32 v21, 4, v12
	s_mov_b32 s15, 0
	s_delay_alu instid0(VALU_DEP_1)
	v_add3_u32 v29, 0, v21, 0x10000
	ds_load_b64 v[21:22], v29
.LBB82_31:                              ;   Parent Loop BB82_12 Depth=1
                                        ;     Parent Loop BB82_15 Depth=2
                                        ;       Parent Loop BB82_17 Depth=3
                                        ; =>      This Inner Loop Header: Depth=4
	s_waitcnt lgkmcnt(0)
	v_add_f64 v[30:31], v[21:22], v[17:18]
	ds_cmpstore_rtn_b64 v[30:31], v29, v[30:31], v[21:22]
	s_waitcnt lgkmcnt(0)
	v_cmp_eq_u64_e32 vcc_lo, v[30:31], v[21:22]
	v_dual_mov_b32 v21, v30 :: v_dual_mov_b32 v22, v31
	s_or_b32 s15, vcc_lo, s15
	s_delay_alu instid0(SALU_CYCLE_1)
	s_and_not1_b32 exec_lo, exec_lo, s15
	s_cbranch_execnz .LBB82_31
; %bb.32:                               ;   in Loop: Header=BB82_17 Depth=3
	s_or_b32 exec_lo, exec_lo, s15
	ds_load_b64 v[21:22], v29 offset:8
	s_mov_b32 s15, 0
.LBB82_33:                              ;   Parent Loop BB82_12 Depth=1
                                        ;     Parent Loop BB82_15 Depth=2
                                        ;       Parent Loop BB82_17 Depth=3
                                        ; =>      This Inner Loop Header: Depth=4
	s_waitcnt lgkmcnt(0)
	v_add_f64 v[30:31], v[21:22], v[19:20]
	ds_cmpstore_rtn_b64 v[30:31], v29, v[30:31], v[21:22] offset:8
	s_waitcnt lgkmcnt(0)
	v_cmp_eq_u64_e32 vcc_lo, v[30:31], v[21:22]
	v_dual_mov_b32 v21, v30 :: v_dual_mov_b32 v22, v31
	s_or_b32 s15, vcc_lo, s15
	s_delay_alu instid0(SALU_CYCLE_1)
	s_and_not1_b32 exec_lo, exec_lo, s15
	s_cbranch_execnz .LBB82_33
; %bb.34:                               ;   in Loop: Header=BB82_17 Depth=3
	s_or_b32 exec_lo, exec_lo, s15
	s_delay_alu instid0(SALU_CYCLE_1)
	s_and_not1_b32 s14, s14, exec_lo
	s_branch .LBB82_16
.LBB82_35:
	s_or_b32 exec_lo, exec_lo, s1
.LBB82_36:
	s_delay_alu instid0(SALU_CYCLE_1)
	s_and_not1_b32 vcc_lo, exec_lo, s3
	s_cbranch_vccnz .LBB82_61
; %bb.37:
	s_waitcnt lgkmcnt(0)
	s_ashr_i32 s35, s34, 31
	v_subrev_nc_u32_e32 v5, s27, v0
	s_lshl_b64 s[0:1], s[34:35], 2
	s_delay_alu instid0(SALU_CYCLE_1)
	s_add_u32 s0, s16, s0
	s_addc_u32 s1, s17, s1
	s_load_b64 s[0:1], s[0:1], 0x0
	s_waitcnt lgkmcnt(0)
	v_add_nc_u32_e32 v5, s0, v5
	s_sub_i32 s0, s1, s27
	s_mov_b32 s1, exec_lo
	s_delay_alu instid0(VALU_DEP_1)
	v_cmpx_gt_i32_e64 s0, v5
	s_cbranch_execz .LBB82_60
; %bb.38:
	s_mov_b32 s2, 0
	s_branch .LBB82_40
.LBB82_39:                              ;   in Loop: Header=BB82_40 Depth=1
	s_or_b32 exec_lo, exec_lo, s3
	v_add_nc_u32_e32 v5, 0x400, v5
	s_delay_alu instid0(VALU_DEP_1) | instskip(SKIP_1) | instid1(SALU_CYCLE_1)
	v_cmp_le_i32_e32 vcc_lo, s0, v5
	s_or_b32 s2, vcc_lo, s2
	s_and_not1_b32 exec_lo, exec_lo, s2
	s_cbranch_execz .LBB82_60
.LBB82_40:                              ; =>This Loop Header: Depth=1
                                        ;     Child Loop BB82_42 Depth 2
                                        ;       Child Loop BB82_48 Depth 3
                                        ;       Child Loop BB82_50 Depth 3
                                        ;       Child Loop BB82_56 Depth 3
                                        ;       Child Loop BB82_58 Depth 3
	v_ashrrev_i32_e32 v6, 31, v5
	s_mov_b32 s3, 0
	s_delay_alu instid0(VALU_DEP_1) | instskip(NEXT) | instid1(VALU_DEP_1)
	v_lshlrev_b64 v[7:8], 4, v[5:6]
	v_add_co_u32 v7, vcc_lo, s20, v7
	s_delay_alu instid0(VALU_DEP_2) | instskip(SKIP_2) | instid1(VALU_DEP_1)
	v_add_co_ci_u32_e32 v8, vcc_lo, s21, v8, vcc_lo
	global_load_b128 v[8:11], v[7:8], off
	v_lshlrev_b64 v[6:7], 2, v[5:6]
	v_add_co_u32 v6, vcc_lo, s18, v6
	s_delay_alu instid0(VALU_DEP_2)
	v_add_co_ci_u32_e32 v7, vcc_lo, s19, v7, vcc_lo
	global_load_b32 v12, v[6:7], off
	s_waitcnt vmcnt(1)
	v_mul_f64 v[6:7], v[10:11], -v[1:2]
	v_mul_f64 v[10:11], v[3:4], v[10:11]
	s_waitcnt vmcnt(0)
	v_subrev_nc_u32_e32 v12, s27, v12
	s_delay_alu instid0(VALU_DEP_3) | instskip(NEXT) | instid1(VALU_DEP_3)
	v_fma_f64 v[6:7], v[3:4], v[8:9], v[6:7]
	v_fma_f64 v[8:9], v[1:2], v[8:9], v[10:11]
	s_delay_alu instid0(VALU_DEP_3) | instskip(NEXT) | instid1(VALU_DEP_1)
	v_mul_lo_u32 v10, 0x89, v12
	v_and_b32_e32 v13, 0x3fff, v10
	s_branch .LBB82_42
.LBB82_41:                              ;   in Loop: Header=BB82_42 Depth=2
	s_or_b32 exec_lo, exec_lo, s4
	s_xor_b32 s4, s5, -1
	s_delay_alu instid0(SALU_CYCLE_1) | instskip(NEXT) | instid1(SALU_CYCLE_1)
	s_and_b32 s4, exec_lo, s4
	s_or_b32 s3, s4, s3
	s_delay_alu instid0(SALU_CYCLE_1)
	s_and_not1_b32 exec_lo, exec_lo, s3
	s_cbranch_execz .LBB82_39
.LBB82_42:                              ;   Parent Loop BB82_40 Depth=1
                                        ; =>  This Loop Header: Depth=2
                                        ;       Child Loop BB82_48 Depth 3
                                        ;       Child Loop BB82_50 Depth 3
	;; [unrolled: 1-line block ×4, first 2 shown]
	s_delay_alu instid0(VALU_DEP_1)
	v_lshl_add_u32 v10, v13, 2, 0
	s_mov_b32 s4, exec_lo
                                        ; implicit-def: $sgpr5
	ds_load_b32 v11, v10
	s_waitcnt lgkmcnt(0)
	v_cmpx_ne_u32_e64 v11, v12
	s_xor_b32 s4, exec_lo, s4
	s_cbranch_execz .LBB82_54
; %bb.43:                               ;   in Loop: Header=BB82_42 Depth=2
	s_mov_b32 s6, exec_lo
                                        ; implicit-def: $sgpr5
	v_cmpx_ne_u32_e64 s33, v11
	s_xor_b32 s6, exec_lo, s6
; %bb.44:                               ;   in Loop: Header=BB82_42 Depth=2
	v_add_nc_u32_e32 v10, 1, v13
	s_mov_b32 s5, -1
	s_delay_alu instid0(VALU_DEP_1)
	v_and_b32_e32 v13, 0x3fff, v10
                                        ; implicit-def: $vgpr10
; %bb.45:                               ;   in Loop: Header=BB82_42 Depth=2
	s_and_not1_saveexec_b32 s6, s6
	s_cbranch_execz .LBB82_53
; %bb.46:                               ;   in Loop: Header=BB82_42 Depth=2
	v_mov_b32_e32 v11, s33
	s_mov_b32 s8, -1
	s_mov_b32 s7, exec_lo
	ds_cmpstore_rtn_b32 v10, v10, v12, v11
	s_waitcnt lgkmcnt(0)
	v_cmpx_eq_u32_e64 s33, v10
	s_cbranch_execz .LBB82_52
; %bb.47:                               ;   in Loop: Header=BB82_42 Depth=2
	v_lshlrev_b32_e32 v10, 4, v13
	s_mov_b32 s8, 0
	s_delay_alu instid0(VALU_DEP_1)
	v_add3_u32 v14, 0, v10, 0x10000
	ds_load_b64 v[10:11], v14
.LBB82_48:                              ;   Parent Loop BB82_40 Depth=1
                                        ;     Parent Loop BB82_42 Depth=2
                                        ; =>    This Inner Loop Header: Depth=3
	s_waitcnt lgkmcnt(0)
	v_add_f64 v[15:16], v[10:11], v[6:7]
	ds_cmpstore_rtn_b64 v[15:16], v14, v[15:16], v[10:11]
	s_waitcnt lgkmcnt(0)
	v_cmp_eq_u64_e32 vcc_lo, v[15:16], v[10:11]
	v_dual_mov_b32 v10, v15 :: v_dual_mov_b32 v11, v16
	s_or_b32 s8, vcc_lo, s8
	s_delay_alu instid0(SALU_CYCLE_1)
	s_and_not1_b32 exec_lo, exec_lo, s8
	s_cbranch_execnz .LBB82_48
; %bb.49:                               ;   in Loop: Header=BB82_42 Depth=2
	s_or_b32 exec_lo, exec_lo, s8
	ds_load_b64 v[10:11], v14 offset:8
	s_mov_b32 s8, 0
.LBB82_50:                              ;   Parent Loop BB82_40 Depth=1
                                        ;     Parent Loop BB82_42 Depth=2
                                        ; =>    This Inner Loop Header: Depth=3
	s_waitcnt lgkmcnt(0)
	v_add_f64 v[15:16], v[10:11], v[8:9]
	ds_cmpstore_rtn_b64 v[15:16], v14, v[15:16], v[10:11] offset:8
	s_waitcnt lgkmcnt(0)
	v_cmp_eq_u64_e32 vcc_lo, v[15:16], v[10:11]
	v_dual_mov_b32 v10, v15 :: v_dual_mov_b32 v11, v16
	s_or_b32 s8, vcc_lo, s8
	s_delay_alu instid0(SALU_CYCLE_1)
	s_and_not1_b32 exec_lo, exec_lo, s8
	s_cbranch_execnz .LBB82_50
; %bb.51:                               ;   in Loop: Header=BB82_42 Depth=2
	s_or_b32 exec_lo, exec_lo, s8
	s_delay_alu instid0(SALU_CYCLE_1)
	s_xor_b32 s8, exec_lo, -1
.LBB82_52:                              ;   in Loop: Header=BB82_42 Depth=2
	s_or_b32 exec_lo, exec_lo, s7
	s_delay_alu instid0(SALU_CYCLE_1) | instskip(SKIP_1) | instid1(SALU_CYCLE_1)
	s_and_not1_b32 s5, s5, exec_lo
	s_and_b32 s7, s8, exec_lo
	s_or_b32 s5, s5, s7
.LBB82_53:                              ;   in Loop: Header=BB82_42 Depth=2
	s_or_b32 exec_lo, exec_lo, s6
	s_delay_alu instid0(SALU_CYCLE_1)
	s_and_b32 s5, s5, exec_lo
.LBB82_54:                              ;   in Loop: Header=BB82_42 Depth=2
	s_and_not1_saveexec_b32 s4, s4
	s_cbranch_execz .LBB82_41
; %bb.55:                               ;   in Loop: Header=BB82_42 Depth=2
	v_lshlrev_b32_e32 v10, 4, v13
	s_mov_b32 s6, 0
	s_delay_alu instid0(VALU_DEP_1)
	v_add3_u32 v14, 0, v10, 0x10000
	ds_load_b64 v[10:11], v14
.LBB82_56:                              ;   Parent Loop BB82_40 Depth=1
                                        ;     Parent Loop BB82_42 Depth=2
                                        ; =>    This Inner Loop Header: Depth=3
	s_waitcnt lgkmcnt(0)
	v_add_f64 v[15:16], v[10:11], v[6:7]
	ds_cmpstore_rtn_b64 v[15:16], v14, v[15:16], v[10:11]
	s_waitcnt lgkmcnt(0)
	v_cmp_eq_u64_e32 vcc_lo, v[15:16], v[10:11]
	v_dual_mov_b32 v10, v15 :: v_dual_mov_b32 v11, v16
	s_or_b32 s6, vcc_lo, s6
	s_delay_alu instid0(SALU_CYCLE_1)
	s_and_not1_b32 exec_lo, exec_lo, s6
	s_cbranch_execnz .LBB82_56
; %bb.57:                               ;   in Loop: Header=BB82_42 Depth=2
	s_or_b32 exec_lo, exec_lo, s6
	ds_load_b64 v[10:11], v14 offset:8
	s_mov_b32 s6, 0
.LBB82_58:                              ;   Parent Loop BB82_40 Depth=1
                                        ;     Parent Loop BB82_42 Depth=2
                                        ; =>    This Inner Loop Header: Depth=3
	s_waitcnt lgkmcnt(0)
	v_add_f64 v[15:16], v[10:11], v[8:9]
	ds_cmpstore_rtn_b64 v[15:16], v14, v[15:16], v[10:11] offset:8
	s_waitcnt lgkmcnt(0)
	v_cmp_eq_u64_e32 vcc_lo, v[15:16], v[10:11]
	v_dual_mov_b32 v10, v15 :: v_dual_mov_b32 v11, v16
	s_or_b32 s6, vcc_lo, s6
	s_delay_alu instid0(SALU_CYCLE_1)
	s_and_not1_b32 exec_lo, exec_lo, s6
	s_cbranch_execnz .LBB82_58
; %bb.59:                               ;   in Loop: Header=BB82_42 Depth=2
	s_or_b32 exec_lo, exec_lo, s6
	s_delay_alu instid0(SALU_CYCLE_1)
	s_and_not1_b32 s5, s5, exec_lo
	s_branch .LBB82_41
.LBB82_60:
	s_or_b32 exec_lo, exec_lo, s1
.LBB82_61:
	v_mbcnt_lo_u32_b32 v1, -1, 0
	s_add_i32 s38, 0, 0x5003c
	s_delay_alu instid0(SALU_CYCLE_1) | instskip(SKIP_1) | instid1(VALU_DEP_3)
	v_dual_mov_b32 v5, s38 :: v_dual_lshlrev_b32 v2, 2, v26
	v_cmp_eq_u32_e32 vcc_lo, 0x3ff, v0
	v_xor_b32_e32 v1, 63, v1
	v_cmp_lt_u32_e64 s0, 63, v0
	s_delay_alu instid0(VALU_DEP_4)
	v_add3_u32 v3, 0, 0x50000, v2
	v_cmp_lt_u32_e64 s1, 0x7f, v0
	v_cmp_lt_u32_e64 s2, 0xbf, v0
	v_lshrrev_b64 v[1:2], v1, -1
	v_cmp_lt_u32_e64 s3, 0xff, v0
	v_cmp_lt_u32_e64 s4, 0x13f, v0
	;; [unrolled: 1-line block ×12, first 2 shown]
	v_add3_u32 v2, v25, 0, 0x10000
	v_mov_b32_e32 v4, 0
	s_mov_b32 s16, 0
	s_add_i32 s17, 0, 0x50000
	s_add_i32 s18, 0, 0x50004
	;; [unrolled: 1-line block ×15, first 2 shown]
	s_waitcnt lgkmcnt(0)
	s_barrier
	buffer_gl0_inv
	s_branch .LBB82_63
.LBB82_62:                              ;   in Loop: Header=BB82_63 Depth=1
	s_or_b32 exec_lo, exec_lo, s15
	s_waitcnt lgkmcnt(0)
	s_barrier
	buffer_gl0_inv
	ds_load_b32 v6, v5
	v_add_nc_u32_e32 v23, 0x400, v23
	v_add_nc_u32_e32 v2, 0x4000, v2
	;; [unrolled: 1-line block ×3, first 2 shown]
	s_delay_alu instid0(VALU_DEP_3) | instskip(NEXT) | instid1(VALU_DEP_1)
	v_cmp_lt_u32_e64 s15, 0x3bff, v23
	s_or_b32 s16, s15, s16
	s_waitcnt lgkmcnt(0)
	v_add_nc_u32_e32 v4, v6, v4
	s_and_not1_b32 exec_lo, exec_lo, s16
	s_cbranch_execz .LBB82_97
.LBB82_63:                              ; =>This Inner Loop Header: Depth=1
	ds_load_b32 v6, v24
	ds_load_2addr_b64 v[7:10], v2 offset1:1
	s_waitcnt lgkmcnt(1)
	v_cmp_gt_i32_e64 s15, s33, v6
	s_waitcnt lgkmcnt(0)
	scratch_store_b128 off, v[7:10], off
	s_waitcnt_vscnt null, 0x0
	s_barrier
	buffer_gl0_inv
	s_bcnt1_i32_b32 s43, s15
	s_delay_alu instid0(SALU_CYCLE_1) | instskip(NEXT) | instid1(VALU_DEP_1)
	v_dual_mov_b32 v8, s43 :: v_dual_and_b32 v7, s15, v1
	v_bcnt_u32_b32 v7, v7, 0
	ds_store_b32 v3, v8
	s_waitcnt lgkmcnt(0)
	s_barrier
	buffer_gl0_inv
	s_and_saveexec_b32 s43, s0
	s_cbranch_execnz .LBB82_80
; %bb.64:                               ;   in Loop: Header=BB82_63 Depth=1
	s_or_b32 exec_lo, exec_lo, s43
	s_and_saveexec_b32 s43, s1
	s_cbranch_execnz .LBB82_81
.LBB82_65:                              ;   in Loop: Header=BB82_63 Depth=1
	s_or_b32 exec_lo, exec_lo, s43
	s_and_saveexec_b32 s43, s2
	s_cbranch_execnz .LBB82_82
.LBB82_66:                              ;   in Loop: Header=BB82_63 Depth=1
	s_or_b32 exec_lo, exec_lo, s43
	s_and_saveexec_b32 s43, s3
	s_cbranch_execnz .LBB82_83
.LBB82_67:                              ;   in Loop: Header=BB82_63 Depth=1
	s_or_b32 exec_lo, exec_lo, s43
	s_and_saveexec_b32 s43, s4
	s_cbranch_execnz .LBB82_84
.LBB82_68:                              ;   in Loop: Header=BB82_63 Depth=1
	s_or_b32 exec_lo, exec_lo, s43
	s_and_saveexec_b32 s43, s5
	s_cbranch_execnz .LBB82_85
.LBB82_69:                              ;   in Loop: Header=BB82_63 Depth=1
	s_or_b32 exec_lo, exec_lo, s43
	s_and_saveexec_b32 s43, s6
	s_cbranch_execnz .LBB82_86
.LBB82_70:                              ;   in Loop: Header=BB82_63 Depth=1
	s_or_b32 exec_lo, exec_lo, s43
	s_and_saveexec_b32 s43, s7
	s_cbranch_execnz .LBB82_87
.LBB82_71:                              ;   in Loop: Header=BB82_63 Depth=1
	s_or_b32 exec_lo, exec_lo, s43
	s_and_saveexec_b32 s43, s8
	s_cbranch_execnz .LBB82_88
.LBB82_72:                              ;   in Loop: Header=BB82_63 Depth=1
	s_or_b32 exec_lo, exec_lo, s43
	s_and_saveexec_b32 s43, s9
	s_cbranch_execnz .LBB82_89
.LBB82_73:                              ;   in Loop: Header=BB82_63 Depth=1
	s_or_b32 exec_lo, exec_lo, s43
	s_and_saveexec_b32 s43, s10
	s_cbranch_execnz .LBB82_90
.LBB82_74:                              ;   in Loop: Header=BB82_63 Depth=1
	s_or_b32 exec_lo, exec_lo, s43
	s_and_saveexec_b32 s43, s11
	s_cbranch_execnz .LBB82_91
.LBB82_75:                              ;   in Loop: Header=BB82_63 Depth=1
	s_or_b32 exec_lo, exec_lo, s43
	s_and_saveexec_b32 s43, s12
	s_cbranch_execnz .LBB82_92
.LBB82_76:                              ;   in Loop: Header=BB82_63 Depth=1
	s_or_b32 exec_lo, exec_lo, s43
	s_and_saveexec_b32 s43, s13
	s_cbranch_execnz .LBB82_93
.LBB82_77:                              ;   in Loop: Header=BB82_63 Depth=1
	s_or_b32 exec_lo, exec_lo, s43
	s_and_saveexec_b32 s43, s14
	s_cbranch_execnz .LBB82_94
.LBB82_78:                              ;   in Loop: Header=BB82_63 Depth=1
	s_or_b32 exec_lo, exec_lo, s43
	s_and_saveexec_b32 s43, s15
	s_cbranch_execnz .LBB82_95
.LBB82_79:                              ;   in Loop: Header=BB82_63 Depth=1
	s_or_b32 exec_lo, exec_lo, s43
	s_and_saveexec_b32 s15, vcc_lo
	s_cbranch_execz .LBB82_62
	s_branch .LBB82_96
.LBB82_80:                              ;   in Loop: Header=BB82_63 Depth=1
	v_mov_b32_e32 v8, s17
	ds_load_b32 v8, v8
	s_waitcnt lgkmcnt(0)
	v_add_nc_u32_e32 v7, v8, v7
	s_or_b32 exec_lo, exec_lo, s43
	s_and_saveexec_b32 s43, s1
	s_cbranch_execz .LBB82_65
.LBB82_81:                              ;   in Loop: Header=BB82_63 Depth=1
	v_mov_b32_e32 v8, s18
	ds_load_b32 v8, v8
	s_waitcnt lgkmcnt(0)
	v_add_nc_u32_e32 v7, v8, v7
	s_or_b32 exec_lo, exec_lo, s43
	s_and_saveexec_b32 s43, s2
	s_cbranch_execz .LBB82_66
.LBB82_82:                              ;   in Loop: Header=BB82_63 Depth=1
	v_mov_b32_e32 v8, s19
	ds_load_b32 v8, v8
	s_waitcnt lgkmcnt(0)
	v_add_nc_u32_e32 v7, v8, v7
	s_or_b32 exec_lo, exec_lo, s43
	s_and_saveexec_b32 s43, s3
	s_cbranch_execz .LBB82_67
.LBB82_83:                              ;   in Loop: Header=BB82_63 Depth=1
	v_mov_b32_e32 v8, s20
	ds_load_b32 v8, v8
	s_waitcnt lgkmcnt(0)
	v_add_nc_u32_e32 v7, v8, v7
	s_or_b32 exec_lo, exec_lo, s43
	s_and_saveexec_b32 s43, s4
	s_cbranch_execz .LBB82_68
.LBB82_84:                              ;   in Loop: Header=BB82_63 Depth=1
	v_mov_b32_e32 v8, s21
	ds_load_b32 v8, v8
	s_waitcnt lgkmcnt(0)
	v_add_nc_u32_e32 v7, v8, v7
	s_or_b32 exec_lo, exec_lo, s43
	s_and_saveexec_b32 s43, s5
	s_cbranch_execz .LBB82_69
.LBB82_85:                              ;   in Loop: Header=BB82_63 Depth=1
	v_mov_b32_e32 v8, s24
	ds_load_b32 v8, v8
	s_waitcnt lgkmcnt(0)
	v_add_nc_u32_e32 v7, v8, v7
	s_or_b32 exec_lo, exec_lo, s43
	s_and_saveexec_b32 s43, s6
	s_cbranch_execz .LBB82_70
.LBB82_86:                              ;   in Loop: Header=BB82_63 Depth=1
	v_mov_b32_e32 v8, s25
	ds_load_b32 v8, v8
	s_waitcnt lgkmcnt(0)
	v_add_nc_u32_e32 v7, v8, v7
	s_or_b32 exec_lo, exec_lo, s43
	s_and_saveexec_b32 s43, s7
	s_cbranch_execz .LBB82_71
.LBB82_87:                              ;   in Loop: Header=BB82_63 Depth=1
	v_mov_b32_e32 v8, s27
	ds_load_b32 v8, v8
	s_waitcnt lgkmcnt(0)
	v_add_nc_u32_e32 v7, v8, v7
	s_or_b32 exec_lo, exec_lo, s43
	s_and_saveexec_b32 s43, s8
	s_cbranch_execz .LBB82_72
.LBB82_88:                              ;   in Loop: Header=BB82_63 Depth=1
	v_mov_b32_e32 v8, s35
	ds_load_b32 v8, v8
	s_waitcnt lgkmcnt(0)
	v_add_nc_u32_e32 v7, v8, v7
	s_or_b32 exec_lo, exec_lo, s43
	s_and_saveexec_b32 s43, s9
	s_cbranch_execz .LBB82_73
.LBB82_89:                              ;   in Loop: Header=BB82_63 Depth=1
	v_mov_b32_e32 v8, s36
	ds_load_b32 v8, v8
	s_waitcnt lgkmcnt(0)
	v_add_nc_u32_e32 v7, v8, v7
	s_or_b32 exec_lo, exec_lo, s43
	s_and_saveexec_b32 s43, s10
	s_cbranch_execz .LBB82_74
.LBB82_90:                              ;   in Loop: Header=BB82_63 Depth=1
	v_mov_b32_e32 v8, s37
	ds_load_b32 v8, v8
	s_waitcnt lgkmcnt(0)
	v_add_nc_u32_e32 v7, v8, v7
	s_or_b32 exec_lo, exec_lo, s43
	s_and_saveexec_b32 s43, s11
	s_cbranch_execz .LBB82_75
.LBB82_91:                              ;   in Loop: Header=BB82_63 Depth=1
	v_mov_b32_e32 v8, s39
	ds_load_b32 v8, v8
	s_waitcnt lgkmcnt(0)
	v_add_nc_u32_e32 v7, v8, v7
	s_or_b32 exec_lo, exec_lo, s43
	s_and_saveexec_b32 s43, s12
	s_cbranch_execz .LBB82_76
.LBB82_92:                              ;   in Loop: Header=BB82_63 Depth=1
	v_mov_b32_e32 v8, s40
	ds_load_b32 v8, v8
	s_waitcnt lgkmcnt(0)
	v_add_nc_u32_e32 v7, v8, v7
	s_or_b32 exec_lo, exec_lo, s43
	s_and_saveexec_b32 s43, s13
	s_cbranch_execz .LBB82_77
.LBB82_93:                              ;   in Loop: Header=BB82_63 Depth=1
	v_mov_b32_e32 v8, s41
	ds_load_b32 v8, v8
	s_waitcnt lgkmcnt(0)
	v_add_nc_u32_e32 v7, v8, v7
	s_or_b32 exec_lo, exec_lo, s43
	s_and_saveexec_b32 s43, s14
	s_cbranch_execz .LBB82_78
.LBB82_94:                              ;   in Loop: Header=BB82_63 Depth=1
	v_mov_b32_e32 v8, s42
	ds_load_b32 v8, v8
	s_waitcnt lgkmcnt(0)
	v_add_nc_u32_e32 v7, v8, v7
	s_or_b32 exec_lo, exec_lo, s43
	s_and_saveexec_b32 s43, s15
	s_cbranch_execz .LBB82_79
.LBB82_95:                              ;   in Loop: Header=BB82_63 Depth=1
	scratch_load_b128 v[8:11], off, off
	v_add3_u32 v12, v4, -1, v7
	s_delay_alu instid0(VALU_DEP_1) | instskip(SKIP_1) | instid1(VALU_DEP_2)
	v_lshlrev_b32_e32 v13, 4, v12
	v_lshl_add_u32 v12, v12, 2, 0
	v_add3_u32 v13, 0, v13, 0x10000
	ds_store_b32 v12, v6
	s_waitcnt vmcnt(0)
	ds_store_2addr_b64 v13, v[8:9], v[10:11] offset1:1
	s_or_b32 exec_lo, exec_lo, s43
	s_and_saveexec_b32 s15, vcc_lo
	s_cbranch_execz .LBB82_62
.LBB82_96:                              ;   in Loop: Header=BB82_63 Depth=1
	v_mov_b32_e32 v6, s38
	ds_store_b32 v6, v7
	s_branch .LBB82_62
.LBB82_97:
	s_or_b32 exec_lo, exec_lo, s16
	s_ashr_i32 s35, s34, 31
	s_mov_b32 s3, exec_lo
	s_lshl_b64 s[0:1], s[34:35], 2
	s_delay_alu instid0(SALU_CYCLE_1) | instskip(SKIP_4) | instid1(SALU_CYCLE_1)
	s_add_u32 s0, s22, s0
	s_addc_u32 s1, s23, s1
	s_load_b64 s[0:1], s[0:1], 0x0
	s_waitcnt lgkmcnt(0)
	s_sub_i32 s2, s1, s0
	v_cmpx_gt_i32_e64 s2, v0
	s_cbranch_execz .LBB82_107
; %bb.98:
	s_sub_i32 s3, s0, s26
	s_sub_i32 s0, s0, s1
	s_and_b32 s1, s2, 7
	s_cmp_lt_u32 s0, -7
	s_mov_b32 s7, 0
	s_cselect_b32 s4, -1, 0
	s_and_b32 s5, s2, -8
	s_cmp_lg_u32 s1, 0
	s_cselect_b32 s6, -1, 0
	s_branch .LBB82_100
.LBB82_99:                              ;   in Loop: Header=BB82_100 Depth=1
	v_lshlrev_b32_e32 v2, 4, v0
	v_add_nc_u32_e32 v0, 0x400, v0
	s_waitcnt lgkmcnt(0)
	v_add_nc_u32_e32 v3, s26, v3
	s_delay_alu instid0(VALU_DEP_3) | instskip(SKIP_4) | instid1(VALU_DEP_2)
	v_add3_u32 v4, 0, v2, 0x10000
	v_ashrrev_i32_e32 v2, 31, v1
	ds_load_2addr_b64 v[4:7], v4 offset1:1
	v_lshlrev_b64 v[8:9], 2, v[1:2]
	v_lshlrev_b64 v[1:2], 4, v[1:2]
	v_add_co_u32 v8, vcc_lo, s28, v8
	s_delay_alu instid0(VALU_DEP_3) | instskip(SKIP_1) | instid1(VALU_DEP_4)
	v_add_co_ci_u32_e32 v9, vcc_lo, s29, v9, vcc_lo
	v_cmp_le_i32_e32 vcc_lo, s2, v0
	v_add_co_u32 v1, s0, s30, v1
	s_delay_alu instid0(VALU_DEP_1)
	v_add_co_ci_u32_e64 v2, s0, s31, v2, s0
	s_or_b32 s7, vcc_lo, s7
	global_store_b32 v[8:9], v3, off
	s_waitcnt lgkmcnt(0)
	global_store_b128 v[1:2], v[4:7], off
	s_and_not1_b32 exec_lo, exec_lo, s7
	s_cbranch_execz .LBB82_107
.LBB82_100:                             ; =>This Loop Header: Depth=1
                                        ;     Child Loop BB82_102 Depth 2
                                        ;     Child Loop BB82_106 Depth 2
	v_lshl_add_u32 v1, v0, 2, 0
	s_and_not1_b32 vcc_lo, exec_lo, s4
	s_mov_b32 s0, 0
	ds_load_b32 v3, v1
	v_mov_b32_e32 v1, s3
	s_cbranch_vccnz .LBB82_104
; %bb.101:                              ;   in Loop: Header=BB82_100 Depth=1
	v_mov_b32_e32 v1, s3
	s_mov_b32 s8, 0
	s_set_inst_prefetch_distance 0x1
	.p2align	6
.LBB82_102:                             ;   Parent Loop BB82_100 Depth=1
                                        ; =>  This Inner Loop Header: Depth=2
	v_mov_b32_e32 v2, s8
	s_add_i32 s0, s0, 8
	s_add_i32 s8, s8, 32
	s_cmp_eq_u32 s5, s0
	ds_load_2addr_b32 v[4:5], v2 offset1:1
	ds_load_2addr_b32 v[6:7], v2 offset0:2 offset1:3
	ds_load_2addr_b32 v[8:9], v2 offset0:4 offset1:5
	;; [unrolled: 1-line block ×3, first 2 shown]
	s_waitcnt lgkmcnt(3)
	v_cmp_gt_i32_e32 vcc_lo, v3, v4
	v_cndmask_b32_e64 v2, 0, 1, vcc_lo
	s_waitcnt lgkmcnt(2)
	v_cmp_gt_i32_e32 vcc_lo, v3, v6
	v_cndmask_b32_e64 v4, 0, 1, vcc_lo
	v_cmp_gt_i32_e32 vcc_lo, v3, v5
	v_add_co_ci_u32_e32 v1, vcc_lo, v1, v2, vcc_lo
	s_waitcnt lgkmcnt(1)
	v_cmp_gt_i32_e32 vcc_lo, v3, v8
	v_cndmask_b32_e64 v2, 0, 1, vcc_lo
	v_cmp_gt_i32_e32 vcc_lo, v3, v7
	v_add_co_ci_u32_e32 v1, vcc_lo, v1, v4, vcc_lo
	;; [unrolled: 5-line block ×3, first 2 shown]
	v_cmp_gt_i32_e32 vcc_lo, v3, v11
	s_delay_alu instid0(VALU_DEP_2)
	v_add_co_ci_u32_e32 v1, vcc_lo, v1, v4, vcc_lo
	s_cbranch_scc0 .LBB82_102
; %bb.103:                              ;   in Loop: Header=BB82_100 Depth=1
	s_set_inst_prefetch_distance 0x2
	s_mov_b32 s0, s5
.LBB82_104:                             ;   in Loop: Header=BB82_100 Depth=1
	s_and_not1_b32 vcc_lo, exec_lo, s6
	s_cbranch_vccnz .LBB82_99
; %bb.105:                              ;   in Loop: Header=BB82_100 Depth=1
	s_lshl_b32 s0, s0, 2
	s_mov_b32 s8, s1
	s_add_i32 s0, s0, 0
.LBB82_106:                             ;   Parent Loop BB82_100 Depth=1
                                        ; =>  This Inner Loop Header: Depth=2
	s_delay_alu instid0(SALU_CYCLE_1)
	v_mov_b32_e32 v2, s0
	s_add_i32 s8, s8, -1
	s_add_i32 s0, s0, 4
	s_cmp_lg_u32 s8, 0
	ds_load_b32 v2, v2
	s_waitcnt lgkmcnt(0)
	v_cmp_gt_i32_e32 vcc_lo, v3, v2
	v_add_co_ci_u32_e32 v1, vcc_lo, 0, v1, vcc_lo
	s_cbranch_scc1 .LBB82_106
	s_branch .LBB82_99
.LBB82_107:
	s_nop 0
	s_sendmsg sendmsg(MSG_DEALLOC_VGPRS)
	s_endpgm
	.section	.rodata,"a",@progbits
	.p2align	6, 0x0
	.amdhsa_kernel _ZN9rocsparseL26csrgemm_fill_block_per_rowILj1024ELj64ELj16384ELj137ELj64Eii21rocsparse_complex_numIdEEEvT5_PKS3_S5_NS_24const_host_device_scalarIT6_EEPKT4_S5_PKS7_SB_S5_SD_S8_SB_S5_SD_SB_PS3_PS7_21rocsparse_index_base_SG_SG_SG_bbb
		.amdhsa_group_segment_fixed_size 0
		.amdhsa_private_segment_fixed_size 40
		.amdhsa_kernarg_size 172
		.amdhsa_user_sgpr_count 15
		.amdhsa_user_sgpr_dispatch_ptr 0
		.amdhsa_user_sgpr_queue_ptr 0
		.amdhsa_user_sgpr_kernarg_segment_ptr 1
		.amdhsa_user_sgpr_dispatch_id 0
		.amdhsa_user_sgpr_private_segment_size 0
		.amdhsa_wavefront_size32 1
		.amdhsa_uses_dynamic_stack 0
		.amdhsa_enable_private_segment 1
		.amdhsa_system_sgpr_workgroup_id_x 1
		.amdhsa_system_sgpr_workgroup_id_y 0
		.amdhsa_system_sgpr_workgroup_id_z 0
		.amdhsa_system_sgpr_workgroup_info 0
		.amdhsa_system_vgpr_workitem_id 0
		.amdhsa_next_free_vgpr 32
		.amdhsa_next_free_sgpr 48
		.amdhsa_reserve_vcc 1
		.amdhsa_float_round_mode_32 0
		.amdhsa_float_round_mode_16_64 0
		.amdhsa_float_denorm_mode_32 3
		.amdhsa_float_denorm_mode_16_64 3
		.amdhsa_dx10_clamp 1
		.amdhsa_ieee_mode 1
		.amdhsa_fp16_overflow 0
		.amdhsa_workgroup_processor_mode 1
		.amdhsa_memory_ordered 1
		.amdhsa_forward_progress 0
		.amdhsa_shared_vgpr_count 0
		.amdhsa_exception_fp_ieee_invalid_op 0
		.amdhsa_exception_fp_denorm_src 0
		.amdhsa_exception_fp_ieee_div_zero 0
		.amdhsa_exception_fp_ieee_overflow 0
		.amdhsa_exception_fp_ieee_underflow 0
		.amdhsa_exception_fp_ieee_inexact 0
		.amdhsa_exception_int_div_zero 0
	.end_amdhsa_kernel
	.section	.text._ZN9rocsparseL26csrgemm_fill_block_per_rowILj1024ELj64ELj16384ELj137ELj64Eii21rocsparse_complex_numIdEEEvT5_PKS3_S5_NS_24const_host_device_scalarIT6_EEPKT4_S5_PKS7_SB_S5_SD_S8_SB_S5_SD_SB_PS3_PS7_21rocsparse_index_base_SG_SG_SG_bbb,"axG",@progbits,_ZN9rocsparseL26csrgemm_fill_block_per_rowILj1024ELj64ELj16384ELj137ELj64Eii21rocsparse_complex_numIdEEEvT5_PKS3_S5_NS_24const_host_device_scalarIT6_EEPKT4_S5_PKS7_SB_S5_SD_S8_SB_S5_SD_SB_PS3_PS7_21rocsparse_index_base_SG_SG_SG_bbb,comdat
.Lfunc_end82:
	.size	_ZN9rocsparseL26csrgemm_fill_block_per_rowILj1024ELj64ELj16384ELj137ELj64Eii21rocsparse_complex_numIdEEEvT5_PKS3_S5_NS_24const_host_device_scalarIT6_EEPKT4_S5_PKS7_SB_S5_SD_S8_SB_S5_SD_SB_PS3_PS7_21rocsparse_index_base_SG_SG_SG_bbb, .Lfunc_end82-_ZN9rocsparseL26csrgemm_fill_block_per_rowILj1024ELj64ELj16384ELj137ELj64Eii21rocsparse_complex_numIdEEEvT5_PKS3_S5_NS_24const_host_device_scalarIT6_EEPKT4_S5_PKS7_SB_S5_SD_S8_SB_S5_SD_SB_PS3_PS7_21rocsparse_index_base_SG_SG_SG_bbb
                                        ; -- End function
	.section	.AMDGPU.csdata,"",@progbits
; Kernel info:
; codeLenInByte = 4316
; NumSgprs: 50
; NumVgprs: 32
; ScratchSize: 40
; MemoryBound: 0
; FloatMode: 240
; IeeeMode: 1
; LDSByteSize: 0 bytes/workgroup (compile time only)
; SGPRBlocks: 6
; VGPRBlocks: 3
; NumSGPRsForWavesPerEU: 50
; NumVGPRsForWavesPerEU: 32
; Occupancy: 16
; WaveLimiterHint : 1
; COMPUTE_PGM_RSRC2:SCRATCH_EN: 1
; COMPUTE_PGM_RSRC2:USER_SGPR: 15
; COMPUTE_PGM_RSRC2:TRAP_HANDLER: 0
; COMPUTE_PGM_RSRC2:TGID_X_EN: 1
; COMPUTE_PGM_RSRC2:TGID_Y_EN: 0
; COMPUTE_PGM_RSRC2:TGID_Z_EN: 0
; COMPUTE_PGM_RSRC2:TIDIG_COMP_CNT: 0
	.section	.text._ZN9rocsparseL26csrgemm_fill_block_per_rowILj1024ELj64ELj32768ELj137ELj32Eii21rocsparse_complex_numIdEEEvT5_PKS3_S5_NS_24const_host_device_scalarIT6_EEPKT4_S5_PKS7_SB_S5_SD_S8_SB_S5_SD_SB_PS3_PS7_21rocsparse_index_base_SG_SG_SG_bbb,"axG",@progbits,_ZN9rocsparseL26csrgemm_fill_block_per_rowILj1024ELj64ELj32768ELj137ELj32Eii21rocsparse_complex_numIdEEEvT5_PKS3_S5_NS_24const_host_device_scalarIT6_EEPKT4_S5_PKS7_SB_S5_SD_S8_SB_S5_SD_SB_PS3_PS7_21rocsparse_index_base_SG_SG_SG_bbb,comdat
	.globl	_ZN9rocsparseL26csrgemm_fill_block_per_rowILj1024ELj64ELj32768ELj137ELj32Eii21rocsparse_complex_numIdEEEvT5_PKS3_S5_NS_24const_host_device_scalarIT6_EEPKT4_S5_PKS7_SB_S5_SD_S8_SB_S5_SD_SB_PS3_PS7_21rocsparse_index_base_SG_SG_SG_bbb ; -- Begin function _ZN9rocsparseL26csrgemm_fill_block_per_rowILj1024ELj64ELj32768ELj137ELj32Eii21rocsparse_complex_numIdEEEvT5_PKS3_S5_NS_24const_host_device_scalarIT6_EEPKT4_S5_PKS7_SB_S5_SD_S8_SB_S5_SD_SB_PS3_PS7_21rocsparse_index_base_SG_SG_SG_bbb
	.p2align	8
	.type	_ZN9rocsparseL26csrgemm_fill_block_per_rowILj1024ELj64ELj32768ELj137ELj32Eii21rocsparse_complex_numIdEEEvT5_PKS3_S5_NS_24const_host_device_scalarIT6_EEPKT4_S5_PKS7_SB_S5_SD_S8_SB_S5_SD_SB_PS3_PS7_21rocsparse_index_base_SG_SG_SG_bbb,@function
_ZN9rocsparseL26csrgemm_fill_block_per_rowILj1024ELj64ELj32768ELj137ELj32Eii21rocsparse_complex_numIdEEEvT5_PKS3_S5_NS_24const_host_device_scalarIT6_EEPKT4_S5_PKS7_SB_S5_SD_S8_SB_S5_SD_SB_PS3_PS7_21rocsparse_index_base_SG_SG_SG_bbb: ; @_ZN9rocsparseL26csrgemm_fill_block_per_rowILj1024ELj64ELj32768ELj137ELj32Eii21rocsparse_complex_numIdEEEvT5_PKS3_S5_NS_24const_host_device_scalarIT6_EEPKT4_S5_PKS7_SB_S5_SD_S8_SB_S5_SD_SB_PS3_PS7_21rocsparse_index_base_SG_SG_SG_bbb
; %bb.0:
	s_clause 0x3
	s_load_b32 s14, s[0:1], 0xa8
	s_load_b128 s[4:7], s[0:1], 0x18
	s_load_b128 s[20:23], s[0:1], 0x58
	;; [unrolled: 1-line block ×3, first 2 shown]
	v_mov_b32_e32 v1, 0
	v_mov_b32_e32 v2, 0
	s_waitcnt lgkmcnt(0)
	s_bitcmp1_b32 s14, 0
	v_mov_b32_e32 v3, s4
	s_cselect_b32 s12, -1, 0
	s_bitcmp1_b32 s14, 16
	v_dual_mov_b32 v6, v2 :: v_dual_mov_b32 v5, v1
	s_cselect_b32 s2, -1, 0
	v_mov_b32_e32 v4, s5
	s_xor_b32 s13, s2, -1
	v_dual_mov_b32 v9, s20 :: v_dual_mov_b32 v10, s21
	v_cndmask_b32_e64 v7, 0, 1, s13
	s_bitcmp0_b32 s14, 0
	s_clause 0x1
	scratch_store_b64 off, v[3:4], off offset:16
	scratch_store_b64 off, v[9:10], off offset:24
	v_cmp_ne_u32_e32 vcc_lo, 1, v7
	v_dual_mov_b32 v8, v2 :: v_dual_mov_b32 v7, v1
	s_cbranch_scc1 .LBB83_3
; %bb.1:
	s_mov_b64 s[8:9], src_private_base
	s_and_b32 s3, s2, exec_lo
	s_cselect_b32 s3, s9, s5
	s_delay_alu instid0(SALU_CYCLE_1) | instskip(SKIP_2) | instid1(VALU_DEP_2)
	v_dual_mov_b32 v3, 16 :: v_dual_mov_b32 v4, s3
	v_dual_mov_b32 v8, s7 :: v_dual_mov_b32 v7, s6
	s_and_b32 vcc_lo, exec_lo, vcc_lo
	v_cndmask_b32_e64 v3, s4, v3, s2
	flat_load_b64 v[5:6], v[3:4]
	s_cbranch_vccnz .LBB83_3
; %bb.2:
	v_dual_mov_b32 v3, s4 :: v_dual_mov_b32 v4, s5
	flat_load_b64 v[7:8], v[3:4] offset:8
.LBB83_3:
	s_clause 0x4
	s_load_b128 s[48:51], s[0:1], 0x88
	s_load_b256 s[36:43], s[0:1], 0x68
	s_load_b128 s[16:19], s[0:1], 0x48
	s_load_b128 s[24:27], s[0:1], 0x8
	s_load_b256 s[4:11], s[0:1], 0x28
	s_bitcmp1_b32 s14, 8
	v_dual_mov_b32 v4, v2 :: v_dual_mov_b32 v3, v1
	s_cselect_b32 s3, -1, 0
	s_bfe_u32 s14, s14, 0x10008
	s_delay_alu instid0(SALU_CYCLE_1)
	s_cmp_eq_u32 s14, 0
	s_cbranch_scc1 .LBB83_6
; %bb.4:
	s_mov_b64 s[28:29], src_private_base
	s_and_b32 s14, s2, exec_lo
	s_cselect_b32 s14, s29, s21
	s_delay_alu instid0(SALU_CYCLE_1) | instskip(SKIP_1) | instid1(VALU_DEP_1)
	v_dual_mov_b32 v1, 24 :: v_dual_mov_b32 v2, s14
	s_and_not1_b32 vcc_lo, exec_lo, s13
	v_cndmask_b32_e64 v1, s20, v1, s2
	flat_load_b64 v[3:4], v[1:2]
	v_dual_mov_b32 v1, s22 :: v_dual_mov_b32 v2, s23
	s_cbranch_vccnz .LBB83_6
; %bb.5:
	v_dual_mov_b32 v1, s20 :: v_dual_mov_b32 v2, s21
	flat_load_b64 v[1:2], v[1:2] offset:8
.LBB83_6:
	s_load_b32 s33, s[0:1], 0x0
	s_mov_b32 s0, 0
	v_or_b32_e32 v23, 0xfffffc00, v0
	v_lshl_add_u32 v24, v0, 2, 0
	s_mov_b32 s1, s0
	s_delay_alu instid0(SALU_CYCLE_1)
	v_dual_mov_b32 v10, s1 :: v_dual_lshlrev_b32 v25, 4, v0
	s_mov_b32 s20, s0
	s_mov_b32 s21, s0
	v_dual_mov_b32 v11, s20 :: v_dual_mov_b32 v14, v24
	v_dual_mov_b32 v9, s0 :: v_dual_mov_b32 v12, s21
	v_add3_u32 v13, v25, 0, 0x20008
	s_waitcnt lgkmcnt(0)
	v_dual_mov_b32 v16, v23 :: v_dual_mov_b32 v15, s33
.LBB83_7:                               ; =>This Inner Loop Header: Depth=1
	s_delay_alu instid0(VALU_DEP_1)
	v_add_nc_u32_e32 v16, 0x400, v16
	ds_store_b32 v14, v15
	v_add_nc_u32_e32 v17, -8, v13
	v_add_nc_u32_e32 v13, 0x4000, v13
	v_add_nc_u32_e32 v14, 0x1000, v14
	v_cmp_lt_u32_e32 vcc_lo, 0x7bff, v16
	ds_store_2addr_b64 v17, v[9:10], v[11:12] offset1:1
	s_or_b32 s0, vcc_lo, s0
	s_delay_alu instid0(SALU_CYCLE_1)
	s_and_not1_b32 exec_lo, exec_lo, s0
	s_cbranch_execnz .LBB83_7
; %bb.8:
	s_or_b32 exec_lo, exec_lo, s0
	s_waitcnt vmcnt(0) lgkmcnt(0)
	s_waitcnt_vscnt null, 0x0
	s_barrier
	buffer_gl0_inv
	s_load_b32 s0, s[24:25], 0x0
	s_mov_b32 s1, 0
	s_waitcnt lgkmcnt(0)
	s_add_i32 s0, s0, s15
	s_delay_alu instid0(SALU_CYCLE_1) | instskip(NEXT) | instid1(SALU_CYCLE_1)
	s_lshl_b64 s[0:1], s[0:1], 2
	s_add_u32 s0, s26, s0
	s_addc_u32 s1, s27, s1
	s_and_b32 vcc_lo, exec_lo, s12
	s_load_b32 s34, s[0:1], 0x0
	s_cbranch_vccz .LBB83_36
; %bb.9:
	s_waitcnt lgkmcnt(0)
	s_ashr_i32 s35, s34, 31
	v_lshrrev_b32_e32 v9, 6, v0
	s_lshl_b64 s[0:1], s[34:35], 2
	s_delay_alu instid0(SALU_CYCLE_1) | instskip(SKIP_1) | instid1(VALU_DEP_1)
	s_add_u32 s0, s4, s0
	s_addc_u32 s1, s5, s1
	v_subrev_nc_u32_e32 v9, s44, v9
	s_load_b64 s[0:1], s[0:1], 0x0
	s_waitcnt lgkmcnt(0)
	s_delay_alu instid0(VALU_DEP_1) | instskip(SKIP_2) | instid1(VALU_DEP_1)
	v_add_nc_u32_e32 v9, s0, v9
	s_sub_i32 s0, s1, s44
	s_mov_b32 s1, exec_lo
	v_cmpx_gt_i32_e64 s0, v9
	s_cbranch_execz .LBB83_35
; %bb.10:
	v_and_b32_e32 v10, 63, v0
	s_mov_b32 s2, 0
	s_delay_alu instid0(VALU_DEP_1)
	v_subrev_nc_u32_e32 v26, s45, v10
	s_branch .LBB83_12
.LBB83_11:                              ;   in Loop: Header=BB83_12 Depth=1
	s_or_b32 exec_lo, exec_lo, s4
	v_add_nc_u32_e32 v9, 16, v9
	s_delay_alu instid0(VALU_DEP_1) | instskip(SKIP_1) | instid1(SALU_CYCLE_1)
	v_cmp_le_i32_e32 vcc_lo, s0, v9
	s_or_b32 s2, vcc_lo, s2
	s_and_not1_b32 exec_lo, exec_lo, s2
	s_cbranch_execz .LBB83_35
.LBB83_12:                              ; =>This Loop Header: Depth=1
                                        ;     Child Loop BB83_15 Depth 2
                                        ;       Child Loop BB83_17 Depth 3
                                        ;         Child Loop BB83_23 Depth 4
                                        ;         Child Loop BB83_25 Depth 4
	;; [unrolled: 1-line block ×4, first 2 shown]
	v_ashrrev_i32_e32 v10, 31, v9
	s_mov_b32 s4, exec_lo
	s_delay_alu instid0(VALU_DEP_1) | instskip(NEXT) | instid1(VALU_DEP_1)
	v_lshlrev_b64 v[11:12], 2, v[9:10]
	v_add_co_u32 v11, vcc_lo, s6, v11
	s_delay_alu instid0(VALU_DEP_2) | instskip(SKIP_3) | instid1(VALU_DEP_1)
	v_add_co_ci_u32_e32 v12, vcc_lo, s7, v12, vcc_lo
	global_load_b32 v11, v[11:12], off
	s_waitcnt vmcnt(0)
	v_subrev_nc_u32_e32 v11, s44, v11
	v_ashrrev_i32_e32 v12, 31, v11
	s_delay_alu instid0(VALU_DEP_1) | instskip(NEXT) | instid1(VALU_DEP_1)
	v_lshlrev_b64 v[11:12], 2, v[11:12]
	v_add_co_u32 v11, vcc_lo, s10, v11
	s_delay_alu instid0(VALU_DEP_2) | instskip(SKIP_4) | instid1(VALU_DEP_1)
	v_add_co_ci_u32_e32 v12, vcc_lo, s11, v12, vcc_lo
	global_load_b64 v[11:12], v[11:12], off
	s_waitcnt vmcnt(0)
	v_subrev_nc_u32_e32 v27, s45, v12
	v_add_nc_u32_e32 v11, v11, v26
	v_cmpx_lt_i32_e64 v11, v27
	s_cbranch_execz .LBB83_11
; %bb.13:                               ;   in Loop: Header=BB83_12 Depth=1
	v_lshlrev_b64 v[12:13], 4, v[9:10]
	s_mov_b32 s5, 0
	s_delay_alu instid0(VALU_DEP_1) | instskip(NEXT) | instid1(VALU_DEP_2)
	v_add_co_u32 v12, vcc_lo, s8, v12
	v_add_co_ci_u32_e32 v13, vcc_lo, s9, v13, vcc_lo
	global_load_b128 v[15:18], v[12:13], off
	s_waitcnt vmcnt(0)
	v_mul_f64 v[12:13], v[17:18], -v[7:8]
	v_mul_f64 v[17:18], v[5:6], v[17:18]
	s_delay_alu instid0(VALU_DEP_2) | instskip(NEXT) | instid1(VALU_DEP_2)
	v_fma_f64 v[13:14], v[5:6], v[15:16], v[12:13]
	v_fma_f64 v[15:16], v[7:8], v[15:16], v[17:18]
	s_branch .LBB83_15
.LBB83_14:                              ;   in Loop: Header=BB83_15 Depth=2
	s_or_b32 exec_lo, exec_lo, s12
	v_add_nc_u32_e32 v11, 64, v11
	s_delay_alu instid0(VALU_DEP_1) | instskip(SKIP_1) | instid1(SALU_CYCLE_1)
	v_cmp_ge_i32_e32 vcc_lo, v11, v27
	s_or_b32 s5, vcc_lo, s5
	s_and_not1_b32 exec_lo, exec_lo, s5
	s_cbranch_execz .LBB83_11
.LBB83_15:                              ;   Parent Loop BB83_12 Depth=1
                                        ; =>  This Loop Header: Depth=2
                                        ;       Child Loop BB83_17 Depth 3
                                        ;         Child Loop BB83_23 Depth 4
                                        ;         Child Loop BB83_25 Depth 4
                                        ;         Child Loop BB83_31 Depth 4
                                        ;         Child Loop BB83_33 Depth 4
	v_ashrrev_i32_e32 v12, 31, v11
	s_mov_b32 s12, 0
	s_delay_alu instid0(VALU_DEP_1) | instskip(NEXT) | instid1(VALU_DEP_1)
	v_lshlrev_b64 v[17:18], 4, v[11:12]
	v_add_co_u32 v17, vcc_lo, s18, v17
	s_delay_alu instid0(VALU_DEP_2) | instskip(SKIP_2) | instid1(VALU_DEP_1)
	v_add_co_ci_u32_e32 v18, vcc_lo, s19, v18, vcc_lo
	global_load_b128 v[19:22], v[17:18], off
	v_lshlrev_b64 v[17:18], 2, v[11:12]
	v_add_co_u32 v17, vcc_lo, s16, v17
	s_delay_alu instid0(VALU_DEP_2)
	v_add_co_ci_u32_e32 v18, vcc_lo, s17, v18, vcc_lo
	global_load_b32 v10, v[17:18], off
	s_waitcnt vmcnt(1)
	v_mul_f64 v[17:18], v[21:22], -v[15:16]
	v_mul_f64 v[21:22], v[13:14], v[21:22]
	s_waitcnt vmcnt(0)
	v_subrev_nc_u32_e32 v10, s45, v10
	s_delay_alu instid0(VALU_DEP_1) | instskip(NEXT) | instid1(VALU_DEP_1)
	v_mul_lo_u32 v12, 0x89, v10
	v_and_b32_e32 v12, 0x7fff, v12
	v_fma_f64 v[17:18], v[13:14], v[19:20], v[17:18]
	v_fma_f64 v[19:20], v[15:16], v[19:20], v[21:22]
	s_branch .LBB83_17
.LBB83_16:                              ;   in Loop: Header=BB83_17 Depth=3
	s_or_b32 exec_lo, exec_lo, s13
	s_xor_b32 s13, s14, -1
	s_delay_alu instid0(SALU_CYCLE_1) | instskip(NEXT) | instid1(SALU_CYCLE_1)
	s_and_b32 s13, exec_lo, s13
	s_or_b32 s12, s13, s12
	s_delay_alu instid0(SALU_CYCLE_1)
	s_and_not1_b32 exec_lo, exec_lo, s12
	s_cbranch_execz .LBB83_14
.LBB83_17:                              ;   Parent Loop BB83_12 Depth=1
                                        ;     Parent Loop BB83_15 Depth=2
                                        ; =>    This Loop Header: Depth=3
                                        ;         Child Loop BB83_23 Depth 4
                                        ;         Child Loop BB83_25 Depth 4
	;; [unrolled: 1-line block ×4, first 2 shown]
	s_delay_alu instid0(VALU_DEP_3)
	v_lshl_add_u32 v21, v12, 2, 0
	s_mov_b32 s13, exec_lo
                                        ; implicit-def: $sgpr14
	ds_load_b32 v22, v21
	s_waitcnt lgkmcnt(0)
	v_cmpx_ne_u32_e64 v22, v10
	s_xor_b32 s13, exec_lo, s13
	s_cbranch_execz .LBB83_29
; %bb.18:                               ;   in Loop: Header=BB83_17 Depth=3
	s_mov_b32 s15, exec_lo
                                        ; implicit-def: $sgpr14
	v_cmpx_ne_u32_e64 s33, v22
	s_xor_b32 s15, exec_lo, s15
; %bb.19:                               ;   in Loop: Header=BB83_17 Depth=3
	v_add_nc_u32_e32 v12, 1, v12
	s_mov_b32 s14, -1
                                        ; implicit-def: $vgpr21
	s_delay_alu instid0(VALU_DEP_1)
	v_and_b32_e32 v12, 0x7fff, v12
; %bb.20:                               ;   in Loop: Header=BB83_17 Depth=3
	s_and_not1_saveexec_b32 s15, s15
	s_cbranch_execz .LBB83_28
; %bb.21:                               ;   in Loop: Header=BB83_17 Depth=3
	v_mov_b32_e32 v22, s33
	s_mov_b32 s21, -1
	s_mov_b32 s20, exec_lo
	ds_cmpstore_rtn_b32 v21, v21, v10, v22
	s_waitcnt lgkmcnt(0)
	v_cmpx_eq_u32_e64 s33, v21
	s_cbranch_execz .LBB83_27
; %bb.22:                               ;   in Loop: Header=BB83_17 Depth=3
	v_lshlrev_b32_e32 v21, 4, v12
	s_mov_b32 s21, 0
	s_delay_alu instid0(VALU_DEP_1)
	v_add3_u32 v28, 0, v21, 0x20000
	ds_load_b64 v[21:22], v28
.LBB83_23:                              ;   Parent Loop BB83_12 Depth=1
                                        ;     Parent Loop BB83_15 Depth=2
                                        ;       Parent Loop BB83_17 Depth=3
                                        ; =>      This Inner Loop Header: Depth=4
	s_waitcnt lgkmcnt(0)
	v_add_f64 v[29:30], v[21:22], v[17:18]
	ds_cmpstore_rtn_b64 v[29:30], v28, v[29:30], v[21:22]
	s_waitcnt lgkmcnt(0)
	v_cmp_eq_u64_e32 vcc_lo, v[29:30], v[21:22]
	v_dual_mov_b32 v21, v29 :: v_dual_mov_b32 v22, v30
	s_or_b32 s21, vcc_lo, s21
	s_delay_alu instid0(SALU_CYCLE_1)
	s_and_not1_b32 exec_lo, exec_lo, s21
	s_cbranch_execnz .LBB83_23
; %bb.24:                               ;   in Loop: Header=BB83_17 Depth=3
	s_or_b32 exec_lo, exec_lo, s21
	ds_load_b64 v[21:22], v28 offset:8
	s_mov_b32 s21, 0
.LBB83_25:                              ;   Parent Loop BB83_12 Depth=1
                                        ;     Parent Loop BB83_15 Depth=2
                                        ;       Parent Loop BB83_17 Depth=3
                                        ; =>      This Inner Loop Header: Depth=4
	s_waitcnt lgkmcnt(0)
	v_add_f64 v[29:30], v[21:22], v[19:20]
	ds_cmpstore_rtn_b64 v[29:30], v28, v[29:30], v[21:22] offset:8
	s_waitcnt lgkmcnt(0)
	v_cmp_eq_u64_e32 vcc_lo, v[29:30], v[21:22]
	v_dual_mov_b32 v21, v29 :: v_dual_mov_b32 v22, v30
	s_or_b32 s21, vcc_lo, s21
	s_delay_alu instid0(SALU_CYCLE_1)
	s_and_not1_b32 exec_lo, exec_lo, s21
	s_cbranch_execnz .LBB83_25
; %bb.26:                               ;   in Loop: Header=BB83_17 Depth=3
	s_or_b32 exec_lo, exec_lo, s21
	s_delay_alu instid0(SALU_CYCLE_1)
	s_xor_b32 s21, exec_lo, -1
.LBB83_27:                              ;   in Loop: Header=BB83_17 Depth=3
	s_or_b32 exec_lo, exec_lo, s20
	s_delay_alu instid0(SALU_CYCLE_1) | instskip(SKIP_1) | instid1(SALU_CYCLE_1)
	s_and_not1_b32 s14, s14, exec_lo
	s_and_b32 s20, s21, exec_lo
	s_or_b32 s14, s14, s20
.LBB83_28:                              ;   in Loop: Header=BB83_17 Depth=3
	s_or_b32 exec_lo, exec_lo, s15
	s_delay_alu instid0(SALU_CYCLE_1)
	s_and_b32 s14, s14, exec_lo
.LBB83_29:                              ;   in Loop: Header=BB83_17 Depth=3
	s_and_not1_saveexec_b32 s13, s13
	s_cbranch_execz .LBB83_16
; %bb.30:                               ;   in Loop: Header=BB83_17 Depth=3
	v_lshlrev_b32_e32 v21, 4, v12
	s_mov_b32 s15, 0
	s_delay_alu instid0(VALU_DEP_1)
	v_add3_u32 v28, 0, v21, 0x20000
	ds_load_b64 v[21:22], v28
.LBB83_31:                              ;   Parent Loop BB83_12 Depth=1
                                        ;     Parent Loop BB83_15 Depth=2
                                        ;       Parent Loop BB83_17 Depth=3
                                        ; =>      This Inner Loop Header: Depth=4
	s_waitcnt lgkmcnt(0)
	v_add_f64 v[29:30], v[21:22], v[17:18]
	ds_cmpstore_rtn_b64 v[29:30], v28, v[29:30], v[21:22]
	s_waitcnt lgkmcnt(0)
	v_cmp_eq_u64_e32 vcc_lo, v[29:30], v[21:22]
	v_dual_mov_b32 v21, v29 :: v_dual_mov_b32 v22, v30
	s_or_b32 s15, vcc_lo, s15
	s_delay_alu instid0(SALU_CYCLE_1)
	s_and_not1_b32 exec_lo, exec_lo, s15
	s_cbranch_execnz .LBB83_31
; %bb.32:                               ;   in Loop: Header=BB83_17 Depth=3
	s_or_b32 exec_lo, exec_lo, s15
	ds_load_b64 v[21:22], v28 offset:8
	s_mov_b32 s15, 0
.LBB83_33:                              ;   Parent Loop BB83_12 Depth=1
                                        ;     Parent Loop BB83_15 Depth=2
                                        ;       Parent Loop BB83_17 Depth=3
                                        ; =>      This Inner Loop Header: Depth=4
	s_waitcnt lgkmcnt(0)
	v_add_f64 v[29:30], v[21:22], v[19:20]
	ds_cmpstore_rtn_b64 v[29:30], v28, v[29:30], v[21:22] offset:8
	s_waitcnt lgkmcnt(0)
	v_cmp_eq_u64_e32 vcc_lo, v[29:30], v[21:22]
	v_dual_mov_b32 v21, v29 :: v_dual_mov_b32 v22, v30
	s_or_b32 s15, vcc_lo, s15
	s_delay_alu instid0(SALU_CYCLE_1)
	s_and_not1_b32 exec_lo, exec_lo, s15
	s_cbranch_execnz .LBB83_33
; %bb.34:                               ;   in Loop: Header=BB83_17 Depth=3
	s_or_b32 exec_lo, exec_lo, s15
	s_delay_alu instid0(SALU_CYCLE_1)
	s_and_not1_b32 s14, s14, exec_lo
	s_branch .LBB83_16
.LBB83_35:
	s_or_b32 exec_lo, exec_lo, s1
.LBB83_36:
	s_delay_alu instid0(SALU_CYCLE_1)
	s_and_not1_b32 vcc_lo, exec_lo, s3
	s_cbranch_vccnz .LBB83_61
; %bb.37:
	s_waitcnt lgkmcnt(0)
	s_ashr_i32 s35, s34, 31
	v_subrev_nc_u32_e32 v5, s47, v0
	s_lshl_b64 s[0:1], s[34:35], 2
	s_delay_alu instid0(SALU_CYCLE_1)
	s_add_u32 s0, s36, s0
	s_addc_u32 s1, s37, s1
	s_load_b64 s[0:1], s[0:1], 0x0
	s_waitcnt lgkmcnt(0)
	v_add_nc_u32_e32 v5, s0, v5
	s_sub_i32 s0, s1, s47
	s_mov_b32 s1, exec_lo
	s_delay_alu instid0(VALU_DEP_1)
	v_cmpx_gt_i32_e64 s0, v5
	s_cbranch_execz .LBB83_60
; %bb.38:
	s_mov_b32 s2, 0
	s_branch .LBB83_40
.LBB83_39:                              ;   in Loop: Header=BB83_40 Depth=1
	s_or_b32 exec_lo, exec_lo, s3
	v_add_nc_u32_e32 v5, 0x400, v5
	s_delay_alu instid0(VALU_DEP_1) | instskip(SKIP_1) | instid1(SALU_CYCLE_1)
	v_cmp_le_i32_e32 vcc_lo, s0, v5
	s_or_b32 s2, vcc_lo, s2
	s_and_not1_b32 exec_lo, exec_lo, s2
	s_cbranch_execz .LBB83_60
.LBB83_40:                              ; =>This Loop Header: Depth=1
                                        ;     Child Loop BB83_42 Depth 2
                                        ;       Child Loop BB83_48 Depth 3
                                        ;       Child Loop BB83_50 Depth 3
	;; [unrolled: 1-line block ×4, first 2 shown]
	v_ashrrev_i32_e32 v6, 31, v5
	s_mov_b32 s3, 0
	s_delay_alu instid0(VALU_DEP_1) | instskip(NEXT) | instid1(VALU_DEP_1)
	v_lshlrev_b64 v[7:8], 4, v[5:6]
	v_add_co_u32 v7, vcc_lo, s40, v7
	s_delay_alu instid0(VALU_DEP_2) | instskip(SKIP_2) | instid1(VALU_DEP_1)
	v_add_co_ci_u32_e32 v8, vcc_lo, s41, v8, vcc_lo
	global_load_b128 v[8:11], v[7:8], off
	v_lshlrev_b64 v[6:7], 2, v[5:6]
	v_add_co_u32 v6, vcc_lo, s38, v6
	s_delay_alu instid0(VALU_DEP_2)
	v_add_co_ci_u32_e32 v7, vcc_lo, s39, v7, vcc_lo
	global_load_b32 v12, v[6:7], off
	s_waitcnt vmcnt(1)
	v_mul_f64 v[6:7], v[10:11], -v[1:2]
	v_mul_f64 v[10:11], v[3:4], v[10:11]
	s_waitcnt vmcnt(0)
	v_subrev_nc_u32_e32 v12, s47, v12
	s_delay_alu instid0(VALU_DEP_3) | instskip(NEXT) | instid1(VALU_DEP_3)
	v_fma_f64 v[6:7], v[3:4], v[8:9], v[6:7]
	v_fma_f64 v[8:9], v[1:2], v[8:9], v[10:11]
	s_delay_alu instid0(VALU_DEP_3) | instskip(NEXT) | instid1(VALU_DEP_1)
	v_mul_lo_u32 v10, 0x89, v12
	v_and_b32_e32 v13, 0x7fff, v10
	s_branch .LBB83_42
.LBB83_41:                              ;   in Loop: Header=BB83_42 Depth=2
	s_or_b32 exec_lo, exec_lo, s4
	s_xor_b32 s4, s5, -1
	s_delay_alu instid0(SALU_CYCLE_1) | instskip(NEXT) | instid1(SALU_CYCLE_1)
	s_and_b32 s4, exec_lo, s4
	s_or_b32 s3, s4, s3
	s_delay_alu instid0(SALU_CYCLE_1)
	s_and_not1_b32 exec_lo, exec_lo, s3
	s_cbranch_execz .LBB83_39
.LBB83_42:                              ;   Parent Loop BB83_40 Depth=1
                                        ; =>  This Loop Header: Depth=2
                                        ;       Child Loop BB83_48 Depth 3
                                        ;       Child Loop BB83_50 Depth 3
                                        ;       Child Loop BB83_56 Depth 3
                                        ;       Child Loop BB83_58 Depth 3
	s_delay_alu instid0(VALU_DEP_1)
	v_lshl_add_u32 v10, v13, 2, 0
	s_mov_b32 s4, exec_lo
                                        ; implicit-def: $sgpr5
	ds_load_b32 v11, v10
	s_waitcnt lgkmcnt(0)
	v_cmpx_ne_u32_e64 v11, v12
	s_xor_b32 s4, exec_lo, s4
	s_cbranch_execz .LBB83_54
; %bb.43:                               ;   in Loop: Header=BB83_42 Depth=2
	s_mov_b32 s6, exec_lo
                                        ; implicit-def: $sgpr5
	v_cmpx_ne_u32_e64 s33, v11
	s_xor_b32 s6, exec_lo, s6
; %bb.44:                               ;   in Loop: Header=BB83_42 Depth=2
	v_add_nc_u32_e32 v10, 1, v13
	s_mov_b32 s5, -1
	s_delay_alu instid0(VALU_DEP_1)
	v_and_b32_e32 v13, 0x7fff, v10
                                        ; implicit-def: $vgpr10
; %bb.45:                               ;   in Loop: Header=BB83_42 Depth=2
	s_and_not1_saveexec_b32 s6, s6
	s_cbranch_execz .LBB83_53
; %bb.46:                               ;   in Loop: Header=BB83_42 Depth=2
	v_mov_b32_e32 v11, s33
	s_mov_b32 s8, -1
	s_mov_b32 s7, exec_lo
	ds_cmpstore_rtn_b32 v10, v10, v12, v11
	s_waitcnt lgkmcnt(0)
	v_cmpx_eq_u32_e64 s33, v10
	s_cbranch_execz .LBB83_52
; %bb.47:                               ;   in Loop: Header=BB83_42 Depth=2
	v_lshlrev_b32_e32 v10, 4, v13
	s_mov_b32 s8, 0
	s_delay_alu instid0(VALU_DEP_1)
	v_add3_u32 v14, 0, v10, 0x20000
	ds_load_b64 v[10:11], v14
.LBB83_48:                              ;   Parent Loop BB83_40 Depth=1
                                        ;     Parent Loop BB83_42 Depth=2
                                        ; =>    This Inner Loop Header: Depth=3
	s_waitcnt lgkmcnt(0)
	v_add_f64 v[15:16], v[10:11], v[6:7]
	ds_cmpstore_rtn_b64 v[15:16], v14, v[15:16], v[10:11]
	s_waitcnt lgkmcnt(0)
	v_cmp_eq_u64_e32 vcc_lo, v[15:16], v[10:11]
	v_dual_mov_b32 v10, v15 :: v_dual_mov_b32 v11, v16
	s_or_b32 s8, vcc_lo, s8
	s_delay_alu instid0(SALU_CYCLE_1)
	s_and_not1_b32 exec_lo, exec_lo, s8
	s_cbranch_execnz .LBB83_48
; %bb.49:                               ;   in Loop: Header=BB83_42 Depth=2
	s_or_b32 exec_lo, exec_lo, s8
	ds_load_b64 v[10:11], v14 offset:8
	s_mov_b32 s8, 0
.LBB83_50:                              ;   Parent Loop BB83_40 Depth=1
                                        ;     Parent Loop BB83_42 Depth=2
                                        ; =>    This Inner Loop Header: Depth=3
	s_waitcnt lgkmcnt(0)
	v_add_f64 v[15:16], v[10:11], v[8:9]
	ds_cmpstore_rtn_b64 v[15:16], v14, v[15:16], v[10:11] offset:8
	s_waitcnt lgkmcnt(0)
	v_cmp_eq_u64_e32 vcc_lo, v[15:16], v[10:11]
	v_dual_mov_b32 v10, v15 :: v_dual_mov_b32 v11, v16
	s_or_b32 s8, vcc_lo, s8
	s_delay_alu instid0(SALU_CYCLE_1)
	s_and_not1_b32 exec_lo, exec_lo, s8
	s_cbranch_execnz .LBB83_50
; %bb.51:                               ;   in Loop: Header=BB83_42 Depth=2
	s_or_b32 exec_lo, exec_lo, s8
	s_delay_alu instid0(SALU_CYCLE_1)
	s_xor_b32 s8, exec_lo, -1
.LBB83_52:                              ;   in Loop: Header=BB83_42 Depth=2
	s_or_b32 exec_lo, exec_lo, s7
	s_delay_alu instid0(SALU_CYCLE_1) | instskip(SKIP_1) | instid1(SALU_CYCLE_1)
	s_and_not1_b32 s5, s5, exec_lo
	s_and_b32 s7, s8, exec_lo
	s_or_b32 s5, s5, s7
.LBB83_53:                              ;   in Loop: Header=BB83_42 Depth=2
	s_or_b32 exec_lo, exec_lo, s6
	s_delay_alu instid0(SALU_CYCLE_1)
	s_and_b32 s5, s5, exec_lo
.LBB83_54:                              ;   in Loop: Header=BB83_42 Depth=2
	s_and_not1_saveexec_b32 s4, s4
	s_cbranch_execz .LBB83_41
; %bb.55:                               ;   in Loop: Header=BB83_42 Depth=2
	v_lshlrev_b32_e32 v10, 4, v13
	s_mov_b32 s6, 0
	s_delay_alu instid0(VALU_DEP_1)
	v_add3_u32 v14, 0, v10, 0x20000
	ds_load_b64 v[10:11], v14
.LBB83_56:                              ;   Parent Loop BB83_40 Depth=1
                                        ;     Parent Loop BB83_42 Depth=2
                                        ; =>    This Inner Loop Header: Depth=3
	s_waitcnt lgkmcnt(0)
	v_add_f64 v[15:16], v[10:11], v[6:7]
	ds_cmpstore_rtn_b64 v[15:16], v14, v[15:16], v[10:11]
	s_waitcnt lgkmcnt(0)
	v_cmp_eq_u64_e32 vcc_lo, v[15:16], v[10:11]
	v_dual_mov_b32 v10, v15 :: v_dual_mov_b32 v11, v16
	s_or_b32 s6, vcc_lo, s6
	s_delay_alu instid0(SALU_CYCLE_1)
	s_and_not1_b32 exec_lo, exec_lo, s6
	s_cbranch_execnz .LBB83_56
; %bb.57:                               ;   in Loop: Header=BB83_42 Depth=2
	s_or_b32 exec_lo, exec_lo, s6
	ds_load_b64 v[10:11], v14 offset:8
	s_mov_b32 s6, 0
.LBB83_58:                              ;   Parent Loop BB83_40 Depth=1
                                        ;     Parent Loop BB83_42 Depth=2
                                        ; =>    This Inner Loop Header: Depth=3
	s_waitcnt lgkmcnt(0)
	v_add_f64 v[15:16], v[10:11], v[8:9]
	ds_cmpstore_rtn_b64 v[15:16], v14, v[15:16], v[10:11] offset:8
	s_waitcnt lgkmcnt(0)
	v_cmp_eq_u64_e32 vcc_lo, v[15:16], v[10:11]
	v_dual_mov_b32 v10, v15 :: v_dual_mov_b32 v11, v16
	s_or_b32 s6, vcc_lo, s6
	s_delay_alu instid0(SALU_CYCLE_1)
	s_and_not1_b32 exec_lo, exec_lo, s6
	s_cbranch_execnz .LBB83_58
; %bb.59:                               ;   in Loop: Header=BB83_42 Depth=2
	s_or_b32 exec_lo, exec_lo, s6
	s_delay_alu instid0(SALU_CYCLE_1)
	s_and_not1_b32 s5, s5, exec_lo
	s_branch .LBB83_41
.LBB83_60:
	s_or_b32 exec_lo, exec_lo, s1
.LBB83_61:
	v_mbcnt_lo_u32_b32 v1, -1, 0
	v_lshrrev_b32_e32 v2, 3, v0
	s_add_i32 s70, 0, 0xa007c
	v_cmp_eq_u32_e32 vcc_lo, 0x3ff, v0
	v_cmp_lt_u32_e64 s0, 31, v0
	v_xor_b32_e32 v1, 63, v1
	v_dual_mov_b32 v4, 0 :: v_dual_and_b32 v3, 0x7c, v2
	v_cmp_lt_u32_e64 s1, 63, v0
	v_cmp_lt_u32_e64 s2, 0x5f, v0
	s_delay_alu instid0(VALU_DEP_4) | instskip(NEXT) | instid1(VALU_DEP_4)
	v_lshrrev_b64 v[1:2], v1, -1
	v_add3_u32 v2, 0, 0xa0000, v3
	v_cmp_lt_u32_e64 s3, 0x7f, v0
	v_cmp_lt_u32_e64 s4, 0x9f, v0
	;; [unrolled: 1-line block ×28, first 2 shown]
	v_add3_u32 v3, v25, 0, 0x20000
	v_mov_b32_e32 v5, s70
	s_mov_b32 s35, 0
	s_add_i32 s36, 0, 0xa0000
	s_add_i32 s37, 0, 0xa0004
	;; [unrolled: 1-line block ×31, first 2 shown]
	s_waitcnt lgkmcnt(0)
	s_barrier
	buffer_gl0_inv
	s_branch .LBB83_63
.LBB83_62:                              ;   in Loop: Header=BB83_63 Depth=1
	s_or_b32 exec_lo, exec_lo, s31
	s_waitcnt lgkmcnt(0)
	s_barrier
	buffer_gl0_inv
	ds_load_b32 v6, v5
	v_add_nc_u32_e32 v23, 0x400, v23
	v_add_nc_u32_e32 v3, 0x4000, v3
	;; [unrolled: 1-line block ×3, first 2 shown]
	s_delay_alu instid0(VALU_DEP_3) | instskip(NEXT) | instid1(VALU_DEP_1)
	v_cmp_lt_u32_e64 s31, 0x7bff, v23
	s_or_b32 s35, s31, s35
	s_waitcnt lgkmcnt(0)
	v_add_nc_u32_e32 v4, v6, v4
	s_and_not1_b32 exec_lo, exec_lo, s35
	s_cbranch_execz .LBB83_129
.LBB83_63:                              ; =>This Inner Loop Header: Depth=1
	ds_load_b32 v6, v24
	ds_load_2addr_b64 v[7:10], v3 offset1:1
	s_waitcnt lgkmcnt(1)
	v_cmp_gt_i32_e64 s31, s33, v6
	s_waitcnt lgkmcnt(0)
	scratch_store_b128 off, v[7:10], off
	s_waitcnt_vscnt null, 0x0
	s_barrier
	buffer_gl0_inv
	s_bcnt1_i32_b32 s75, s31
	s_delay_alu instid0(SALU_CYCLE_1) | instskip(NEXT) | instid1(VALU_DEP_1)
	v_dual_mov_b32 v8, s75 :: v_dual_and_b32 v7, s31, v1
	v_bcnt_u32_b32 v7, v7, 0
	ds_store_b32 v2, v8
	s_waitcnt lgkmcnt(0)
	s_barrier
	buffer_gl0_inv
	s_and_saveexec_b32 s75, s0
	s_cbranch_execnz .LBB83_96
; %bb.64:                               ;   in Loop: Header=BB83_63 Depth=1
	s_or_b32 exec_lo, exec_lo, s75
	s_and_saveexec_b32 s75, s1
	s_cbranch_execnz .LBB83_97
.LBB83_65:                              ;   in Loop: Header=BB83_63 Depth=1
	s_or_b32 exec_lo, exec_lo, s75
	s_and_saveexec_b32 s75, s2
	s_cbranch_execnz .LBB83_98
.LBB83_66:                              ;   in Loop: Header=BB83_63 Depth=1
	s_or_b32 exec_lo, exec_lo, s75
	s_and_saveexec_b32 s75, s3
	s_cbranch_execnz .LBB83_99
.LBB83_67:                              ;   in Loop: Header=BB83_63 Depth=1
	s_or_b32 exec_lo, exec_lo, s75
	s_and_saveexec_b32 s75, s4
	s_cbranch_execnz .LBB83_100
.LBB83_68:                              ;   in Loop: Header=BB83_63 Depth=1
	s_or_b32 exec_lo, exec_lo, s75
	s_and_saveexec_b32 s75, s5
	s_cbranch_execnz .LBB83_101
.LBB83_69:                              ;   in Loop: Header=BB83_63 Depth=1
	s_or_b32 exec_lo, exec_lo, s75
	s_and_saveexec_b32 s75, s6
	s_cbranch_execnz .LBB83_102
.LBB83_70:                              ;   in Loop: Header=BB83_63 Depth=1
	s_or_b32 exec_lo, exec_lo, s75
	s_and_saveexec_b32 s75, s7
	s_cbranch_execnz .LBB83_103
.LBB83_71:                              ;   in Loop: Header=BB83_63 Depth=1
	s_or_b32 exec_lo, exec_lo, s75
	s_and_saveexec_b32 s75, s8
	s_cbranch_execnz .LBB83_104
.LBB83_72:                              ;   in Loop: Header=BB83_63 Depth=1
	s_or_b32 exec_lo, exec_lo, s75
	s_and_saveexec_b32 s75, s9
	s_cbranch_execnz .LBB83_105
.LBB83_73:                              ;   in Loop: Header=BB83_63 Depth=1
	s_or_b32 exec_lo, exec_lo, s75
	s_and_saveexec_b32 s75, s10
	s_cbranch_execnz .LBB83_106
.LBB83_74:                              ;   in Loop: Header=BB83_63 Depth=1
	s_or_b32 exec_lo, exec_lo, s75
	s_and_saveexec_b32 s75, s11
	s_cbranch_execnz .LBB83_107
.LBB83_75:                              ;   in Loop: Header=BB83_63 Depth=1
	s_or_b32 exec_lo, exec_lo, s75
	s_and_saveexec_b32 s75, s12
	s_cbranch_execnz .LBB83_108
.LBB83_76:                              ;   in Loop: Header=BB83_63 Depth=1
	s_or_b32 exec_lo, exec_lo, s75
	s_and_saveexec_b32 s75, s13
	s_cbranch_execnz .LBB83_109
.LBB83_77:                              ;   in Loop: Header=BB83_63 Depth=1
	s_or_b32 exec_lo, exec_lo, s75
	s_and_saveexec_b32 s75, s14
	s_cbranch_execnz .LBB83_110
.LBB83_78:                              ;   in Loop: Header=BB83_63 Depth=1
	s_or_b32 exec_lo, exec_lo, s75
	s_and_saveexec_b32 s75, s15
	s_cbranch_execnz .LBB83_111
.LBB83_79:                              ;   in Loop: Header=BB83_63 Depth=1
	s_or_b32 exec_lo, exec_lo, s75
	s_and_saveexec_b32 s75, s16
	s_cbranch_execnz .LBB83_112
.LBB83_80:                              ;   in Loop: Header=BB83_63 Depth=1
	s_or_b32 exec_lo, exec_lo, s75
	s_and_saveexec_b32 s75, s17
	s_cbranch_execnz .LBB83_113
.LBB83_81:                              ;   in Loop: Header=BB83_63 Depth=1
	s_or_b32 exec_lo, exec_lo, s75
	s_and_saveexec_b32 s75, s18
	s_cbranch_execnz .LBB83_114
.LBB83_82:                              ;   in Loop: Header=BB83_63 Depth=1
	s_or_b32 exec_lo, exec_lo, s75
	s_and_saveexec_b32 s75, s19
	s_cbranch_execnz .LBB83_115
.LBB83_83:                              ;   in Loop: Header=BB83_63 Depth=1
	s_or_b32 exec_lo, exec_lo, s75
	s_and_saveexec_b32 s75, s20
	s_cbranch_execnz .LBB83_116
.LBB83_84:                              ;   in Loop: Header=BB83_63 Depth=1
	s_or_b32 exec_lo, exec_lo, s75
	s_and_saveexec_b32 s75, s21
	s_cbranch_execnz .LBB83_117
.LBB83_85:                              ;   in Loop: Header=BB83_63 Depth=1
	s_or_b32 exec_lo, exec_lo, s75
	s_and_saveexec_b32 s75, s22
	s_cbranch_execnz .LBB83_118
.LBB83_86:                              ;   in Loop: Header=BB83_63 Depth=1
	s_or_b32 exec_lo, exec_lo, s75
	s_and_saveexec_b32 s75, s23
	s_cbranch_execnz .LBB83_119
.LBB83_87:                              ;   in Loop: Header=BB83_63 Depth=1
	s_or_b32 exec_lo, exec_lo, s75
	s_and_saveexec_b32 s75, s24
	s_cbranch_execnz .LBB83_120
.LBB83_88:                              ;   in Loop: Header=BB83_63 Depth=1
	s_or_b32 exec_lo, exec_lo, s75
	s_and_saveexec_b32 s75, s25
	s_cbranch_execnz .LBB83_121
.LBB83_89:                              ;   in Loop: Header=BB83_63 Depth=1
	s_or_b32 exec_lo, exec_lo, s75
	s_and_saveexec_b32 s75, s26
	s_cbranch_execnz .LBB83_122
.LBB83_90:                              ;   in Loop: Header=BB83_63 Depth=1
	s_or_b32 exec_lo, exec_lo, s75
	s_and_saveexec_b32 s75, s27
	s_cbranch_execnz .LBB83_123
.LBB83_91:                              ;   in Loop: Header=BB83_63 Depth=1
	s_or_b32 exec_lo, exec_lo, s75
	s_and_saveexec_b32 s75, s28
	s_cbranch_execnz .LBB83_124
.LBB83_92:                              ;   in Loop: Header=BB83_63 Depth=1
	s_or_b32 exec_lo, exec_lo, s75
	s_and_saveexec_b32 s75, s29
	s_cbranch_execnz .LBB83_125
.LBB83_93:                              ;   in Loop: Header=BB83_63 Depth=1
	s_or_b32 exec_lo, exec_lo, s75
	s_and_saveexec_b32 s75, s30
	s_cbranch_execnz .LBB83_126
.LBB83_94:                              ;   in Loop: Header=BB83_63 Depth=1
	s_or_b32 exec_lo, exec_lo, s75
	s_and_saveexec_b32 s75, s31
	s_cbranch_execnz .LBB83_127
.LBB83_95:                              ;   in Loop: Header=BB83_63 Depth=1
	s_or_b32 exec_lo, exec_lo, s75
	s_and_saveexec_b32 s31, vcc_lo
	s_cbranch_execz .LBB83_62
	s_branch .LBB83_128
.LBB83_96:                              ;   in Loop: Header=BB83_63 Depth=1
	v_mov_b32_e32 v8, s36
	ds_load_b32 v8, v8
	s_waitcnt lgkmcnt(0)
	v_add_nc_u32_e32 v7, v8, v7
	s_or_b32 exec_lo, exec_lo, s75
	s_and_saveexec_b32 s75, s1
	s_cbranch_execz .LBB83_65
.LBB83_97:                              ;   in Loop: Header=BB83_63 Depth=1
	v_mov_b32_e32 v8, s37
	ds_load_b32 v8, v8
	s_waitcnt lgkmcnt(0)
	v_add_nc_u32_e32 v7, v8, v7
	s_or_b32 exec_lo, exec_lo, s75
	s_and_saveexec_b32 s75, s2
	s_cbranch_execz .LBB83_66
.LBB83_98:                              ;   in Loop: Header=BB83_63 Depth=1
	v_mov_b32_e32 v8, s38
	ds_load_b32 v8, v8
	s_waitcnt lgkmcnt(0)
	v_add_nc_u32_e32 v7, v8, v7
	s_or_b32 exec_lo, exec_lo, s75
	s_and_saveexec_b32 s75, s3
	s_cbranch_execz .LBB83_67
.LBB83_99:                              ;   in Loop: Header=BB83_63 Depth=1
	v_mov_b32_e32 v8, s39
	ds_load_b32 v8, v8
	s_waitcnt lgkmcnt(0)
	v_add_nc_u32_e32 v7, v8, v7
	s_or_b32 exec_lo, exec_lo, s75
	s_and_saveexec_b32 s75, s4
	s_cbranch_execz .LBB83_68
.LBB83_100:                             ;   in Loop: Header=BB83_63 Depth=1
	v_mov_b32_e32 v8, s40
	ds_load_b32 v8, v8
	s_waitcnt lgkmcnt(0)
	v_add_nc_u32_e32 v7, v8, v7
	s_or_b32 exec_lo, exec_lo, s75
	s_and_saveexec_b32 s75, s5
	s_cbranch_execz .LBB83_69
.LBB83_101:                             ;   in Loop: Header=BB83_63 Depth=1
	v_mov_b32_e32 v8, s41
	ds_load_b32 v8, v8
	s_waitcnt lgkmcnt(0)
	v_add_nc_u32_e32 v7, v8, v7
	s_or_b32 exec_lo, exec_lo, s75
	s_and_saveexec_b32 s75, s6
	s_cbranch_execz .LBB83_70
.LBB83_102:                             ;   in Loop: Header=BB83_63 Depth=1
	v_mov_b32_e32 v8, s44
	ds_load_b32 v8, v8
	s_waitcnt lgkmcnt(0)
	v_add_nc_u32_e32 v7, v8, v7
	s_or_b32 exec_lo, exec_lo, s75
	s_and_saveexec_b32 s75, s7
	s_cbranch_execz .LBB83_71
.LBB83_103:                             ;   in Loop: Header=BB83_63 Depth=1
	v_mov_b32_e32 v8, s45
	ds_load_b32 v8, v8
	s_waitcnt lgkmcnt(0)
	v_add_nc_u32_e32 v7, v8, v7
	s_or_b32 exec_lo, exec_lo, s75
	s_and_saveexec_b32 s75, s8
	s_cbranch_execz .LBB83_72
.LBB83_104:                             ;   in Loop: Header=BB83_63 Depth=1
	v_mov_b32_e32 v8, s47
	ds_load_b32 v8, v8
	s_waitcnt lgkmcnt(0)
	v_add_nc_u32_e32 v7, v8, v7
	s_or_b32 exec_lo, exec_lo, s75
	s_and_saveexec_b32 s75, s9
	s_cbranch_execz .LBB83_73
.LBB83_105:                             ;   in Loop: Header=BB83_63 Depth=1
	v_mov_b32_e32 v8, s52
	ds_load_b32 v8, v8
	s_waitcnt lgkmcnt(0)
	v_add_nc_u32_e32 v7, v8, v7
	s_or_b32 exec_lo, exec_lo, s75
	s_and_saveexec_b32 s75, s10
	s_cbranch_execz .LBB83_74
.LBB83_106:                             ;   in Loop: Header=BB83_63 Depth=1
	v_mov_b32_e32 v8, s53
	ds_load_b32 v8, v8
	s_waitcnt lgkmcnt(0)
	v_add_nc_u32_e32 v7, v8, v7
	s_or_b32 exec_lo, exec_lo, s75
	s_and_saveexec_b32 s75, s11
	s_cbranch_execz .LBB83_75
.LBB83_107:                             ;   in Loop: Header=BB83_63 Depth=1
	v_mov_b32_e32 v8, s54
	ds_load_b32 v8, v8
	s_waitcnt lgkmcnt(0)
	v_add_nc_u32_e32 v7, v8, v7
	s_or_b32 exec_lo, exec_lo, s75
	s_and_saveexec_b32 s75, s12
	s_cbranch_execz .LBB83_76
.LBB83_108:                             ;   in Loop: Header=BB83_63 Depth=1
	v_mov_b32_e32 v8, s55
	ds_load_b32 v8, v8
	s_waitcnt lgkmcnt(0)
	v_add_nc_u32_e32 v7, v8, v7
	s_or_b32 exec_lo, exec_lo, s75
	s_and_saveexec_b32 s75, s13
	s_cbranch_execz .LBB83_77
.LBB83_109:                             ;   in Loop: Header=BB83_63 Depth=1
	v_mov_b32_e32 v8, s56
	ds_load_b32 v8, v8
	s_waitcnt lgkmcnt(0)
	v_add_nc_u32_e32 v7, v8, v7
	s_or_b32 exec_lo, exec_lo, s75
	s_and_saveexec_b32 s75, s14
	s_cbranch_execz .LBB83_78
.LBB83_110:                             ;   in Loop: Header=BB83_63 Depth=1
	v_mov_b32_e32 v8, s57
	ds_load_b32 v8, v8
	s_waitcnt lgkmcnt(0)
	v_add_nc_u32_e32 v7, v8, v7
	s_or_b32 exec_lo, exec_lo, s75
	s_and_saveexec_b32 s75, s15
	s_cbranch_execz .LBB83_79
.LBB83_111:                             ;   in Loop: Header=BB83_63 Depth=1
	v_mov_b32_e32 v8, s58
	ds_load_b32 v8, v8
	s_waitcnt lgkmcnt(0)
	v_add_nc_u32_e32 v7, v8, v7
	s_or_b32 exec_lo, exec_lo, s75
	s_and_saveexec_b32 s75, s16
	s_cbranch_execz .LBB83_80
.LBB83_112:                             ;   in Loop: Header=BB83_63 Depth=1
	v_mov_b32_e32 v8, s59
	ds_load_b32 v8, v8
	s_waitcnt lgkmcnt(0)
	v_add_nc_u32_e32 v7, v8, v7
	s_or_b32 exec_lo, exec_lo, s75
	s_and_saveexec_b32 s75, s17
	s_cbranch_execz .LBB83_81
.LBB83_113:                             ;   in Loop: Header=BB83_63 Depth=1
	v_mov_b32_e32 v8, s60
	ds_load_b32 v8, v8
	s_waitcnt lgkmcnt(0)
	v_add_nc_u32_e32 v7, v8, v7
	s_or_b32 exec_lo, exec_lo, s75
	s_and_saveexec_b32 s75, s18
	s_cbranch_execz .LBB83_82
.LBB83_114:                             ;   in Loop: Header=BB83_63 Depth=1
	v_mov_b32_e32 v8, s61
	ds_load_b32 v8, v8
	s_waitcnt lgkmcnt(0)
	v_add_nc_u32_e32 v7, v8, v7
	s_or_b32 exec_lo, exec_lo, s75
	s_and_saveexec_b32 s75, s19
	s_cbranch_execz .LBB83_83
.LBB83_115:                             ;   in Loop: Header=BB83_63 Depth=1
	v_mov_b32_e32 v8, s62
	ds_load_b32 v8, v8
	s_waitcnt lgkmcnt(0)
	v_add_nc_u32_e32 v7, v8, v7
	s_or_b32 exec_lo, exec_lo, s75
	s_and_saveexec_b32 s75, s20
	s_cbranch_execz .LBB83_84
.LBB83_116:                             ;   in Loop: Header=BB83_63 Depth=1
	v_mov_b32_e32 v8, s63
	ds_load_b32 v8, v8
	s_waitcnt lgkmcnt(0)
	v_add_nc_u32_e32 v7, v8, v7
	s_or_b32 exec_lo, exec_lo, s75
	s_and_saveexec_b32 s75, s21
	s_cbranch_execz .LBB83_85
.LBB83_117:                             ;   in Loop: Header=BB83_63 Depth=1
	v_mov_b32_e32 v8, s64
	ds_load_b32 v8, v8
	s_waitcnt lgkmcnt(0)
	v_add_nc_u32_e32 v7, v8, v7
	s_or_b32 exec_lo, exec_lo, s75
	s_and_saveexec_b32 s75, s22
	s_cbranch_execz .LBB83_86
.LBB83_118:                             ;   in Loop: Header=BB83_63 Depth=1
	v_mov_b32_e32 v8, s65
	ds_load_b32 v8, v8
	s_waitcnt lgkmcnt(0)
	v_add_nc_u32_e32 v7, v8, v7
	s_or_b32 exec_lo, exec_lo, s75
	s_and_saveexec_b32 s75, s23
	s_cbranch_execz .LBB83_87
.LBB83_119:                             ;   in Loop: Header=BB83_63 Depth=1
	v_mov_b32_e32 v8, s66
	ds_load_b32 v8, v8
	s_waitcnt lgkmcnt(0)
	v_add_nc_u32_e32 v7, v8, v7
	s_or_b32 exec_lo, exec_lo, s75
	s_and_saveexec_b32 s75, s24
	s_cbranch_execz .LBB83_88
.LBB83_120:                             ;   in Loop: Header=BB83_63 Depth=1
	v_mov_b32_e32 v8, s67
	ds_load_b32 v8, v8
	s_waitcnt lgkmcnt(0)
	v_add_nc_u32_e32 v7, v8, v7
	s_or_b32 exec_lo, exec_lo, s75
	s_and_saveexec_b32 s75, s25
	s_cbranch_execz .LBB83_89
.LBB83_121:                             ;   in Loop: Header=BB83_63 Depth=1
	v_mov_b32_e32 v8, s68
	ds_load_b32 v8, v8
	s_waitcnt lgkmcnt(0)
	v_add_nc_u32_e32 v7, v8, v7
	s_or_b32 exec_lo, exec_lo, s75
	s_and_saveexec_b32 s75, s26
	s_cbranch_execz .LBB83_90
.LBB83_122:                             ;   in Loop: Header=BB83_63 Depth=1
	v_mov_b32_e32 v8, s69
	ds_load_b32 v8, v8
	s_waitcnt lgkmcnt(0)
	v_add_nc_u32_e32 v7, v8, v7
	s_or_b32 exec_lo, exec_lo, s75
	s_and_saveexec_b32 s75, s27
	s_cbranch_execz .LBB83_91
.LBB83_123:                             ;   in Loop: Header=BB83_63 Depth=1
	v_mov_b32_e32 v8, s71
	ds_load_b32 v8, v8
	s_waitcnt lgkmcnt(0)
	v_add_nc_u32_e32 v7, v8, v7
	s_or_b32 exec_lo, exec_lo, s75
	s_and_saveexec_b32 s75, s28
	s_cbranch_execz .LBB83_92
.LBB83_124:                             ;   in Loop: Header=BB83_63 Depth=1
	v_mov_b32_e32 v8, s72
	ds_load_b32 v8, v8
	s_waitcnt lgkmcnt(0)
	v_add_nc_u32_e32 v7, v8, v7
	s_or_b32 exec_lo, exec_lo, s75
	s_and_saveexec_b32 s75, s29
	s_cbranch_execz .LBB83_93
.LBB83_125:                             ;   in Loop: Header=BB83_63 Depth=1
	v_mov_b32_e32 v8, s73
	ds_load_b32 v8, v8
	s_waitcnt lgkmcnt(0)
	v_add_nc_u32_e32 v7, v8, v7
	s_or_b32 exec_lo, exec_lo, s75
	s_and_saveexec_b32 s75, s30
	s_cbranch_execz .LBB83_94
.LBB83_126:                             ;   in Loop: Header=BB83_63 Depth=1
	v_mov_b32_e32 v8, s74
	ds_load_b32 v8, v8
	s_waitcnt lgkmcnt(0)
	v_add_nc_u32_e32 v7, v8, v7
	s_or_b32 exec_lo, exec_lo, s75
	s_and_saveexec_b32 s75, s31
	s_cbranch_execz .LBB83_95
.LBB83_127:                             ;   in Loop: Header=BB83_63 Depth=1
	scratch_load_b128 v[8:11], off, off
	v_add3_u32 v12, v4, -1, v7
	s_delay_alu instid0(VALU_DEP_1) | instskip(SKIP_1) | instid1(VALU_DEP_2)
	v_lshlrev_b32_e32 v13, 4, v12
	v_lshl_add_u32 v12, v12, 2, 0
	v_add3_u32 v13, 0, v13, 0x20000
	ds_store_b32 v12, v6
	s_waitcnt vmcnt(0)
	ds_store_2addr_b64 v13, v[8:9], v[10:11] offset1:1
	s_or_b32 exec_lo, exec_lo, s75
	s_and_saveexec_b32 s31, vcc_lo
	s_cbranch_execz .LBB83_62
.LBB83_128:                             ;   in Loop: Header=BB83_63 Depth=1
	v_mov_b32_e32 v6, s70
	ds_store_b32 v6, v7
	s_branch .LBB83_62
.LBB83_129:
	s_or_b32 exec_lo, exec_lo, s35
	s_ashr_i32 s35, s34, 31
	s_mov_b32 s3, exec_lo
	s_lshl_b64 s[0:1], s[34:35], 2
	s_delay_alu instid0(SALU_CYCLE_1) | instskip(SKIP_4) | instid1(SALU_CYCLE_1)
	s_add_u32 s0, s42, s0
	s_addc_u32 s1, s43, s1
	s_load_b64 s[0:1], s[0:1], 0x0
	s_waitcnt lgkmcnt(0)
	s_sub_i32 s2, s1, s0
	v_cmpx_gt_i32_e64 s2, v0
	s_cbranch_execz .LBB83_139
; %bb.130:
	s_sub_i32 s3, s0, s46
	s_sub_i32 s0, s0, s1
	s_and_b32 s1, s2, 7
	s_cmp_lt_u32 s0, -7
	s_mov_b32 s7, 0
	s_cselect_b32 s4, -1, 0
	s_and_b32 s5, s2, -8
	s_cmp_lg_u32 s1, 0
	s_cselect_b32 s6, -1, 0
	s_branch .LBB83_132
.LBB83_131:                             ;   in Loop: Header=BB83_132 Depth=1
	v_lshlrev_b32_e32 v2, 4, v0
	v_add_nc_u32_e32 v0, 0x400, v0
	s_waitcnt lgkmcnt(0)
	v_add_nc_u32_e32 v3, s46, v3
	s_delay_alu instid0(VALU_DEP_3) | instskip(SKIP_4) | instid1(VALU_DEP_2)
	v_add3_u32 v4, 0, v2, 0x20000
	v_ashrrev_i32_e32 v2, 31, v1
	ds_load_2addr_b64 v[4:7], v4 offset1:1
	v_lshlrev_b64 v[8:9], 2, v[1:2]
	v_lshlrev_b64 v[1:2], 4, v[1:2]
	v_add_co_u32 v8, vcc_lo, s48, v8
	s_delay_alu instid0(VALU_DEP_3) | instskip(SKIP_1) | instid1(VALU_DEP_4)
	v_add_co_ci_u32_e32 v9, vcc_lo, s49, v9, vcc_lo
	v_cmp_le_i32_e32 vcc_lo, s2, v0
	v_add_co_u32 v1, s0, s50, v1
	s_delay_alu instid0(VALU_DEP_1)
	v_add_co_ci_u32_e64 v2, s0, s51, v2, s0
	s_or_b32 s7, vcc_lo, s7
	global_store_b32 v[8:9], v3, off
	s_waitcnt lgkmcnt(0)
	global_store_b128 v[1:2], v[4:7], off
	s_and_not1_b32 exec_lo, exec_lo, s7
	s_cbranch_execz .LBB83_139
.LBB83_132:                             ; =>This Loop Header: Depth=1
                                        ;     Child Loop BB83_134 Depth 2
                                        ;     Child Loop BB83_138 Depth 2
	v_lshl_add_u32 v1, v0, 2, 0
	s_and_not1_b32 vcc_lo, exec_lo, s4
	s_mov_b32 s0, 0
	ds_load_b32 v3, v1
	v_mov_b32_e32 v1, s3
	s_cbranch_vccnz .LBB83_136
; %bb.133:                              ;   in Loop: Header=BB83_132 Depth=1
	v_mov_b32_e32 v1, s3
	s_mov_b32 s8, 0
	s_set_inst_prefetch_distance 0x1
	.p2align	6
.LBB83_134:                             ;   Parent Loop BB83_132 Depth=1
                                        ; =>  This Inner Loop Header: Depth=2
	v_mov_b32_e32 v2, s8
	s_add_i32 s0, s0, 8
	s_add_i32 s8, s8, 32
	s_cmp_eq_u32 s5, s0
	ds_load_2addr_b32 v[4:5], v2 offset1:1
	ds_load_2addr_b32 v[6:7], v2 offset0:2 offset1:3
	ds_load_2addr_b32 v[8:9], v2 offset0:4 offset1:5
	ds_load_2addr_b32 v[10:11], v2 offset0:6 offset1:7
	s_waitcnt lgkmcnt(3)
	v_cmp_gt_i32_e32 vcc_lo, v3, v4
	v_cndmask_b32_e64 v2, 0, 1, vcc_lo
	s_waitcnt lgkmcnt(2)
	v_cmp_gt_i32_e32 vcc_lo, v3, v6
	v_cndmask_b32_e64 v4, 0, 1, vcc_lo
	v_cmp_gt_i32_e32 vcc_lo, v3, v5
	v_add_co_ci_u32_e32 v1, vcc_lo, v1, v2, vcc_lo
	s_waitcnt lgkmcnt(1)
	v_cmp_gt_i32_e32 vcc_lo, v3, v8
	v_cndmask_b32_e64 v2, 0, 1, vcc_lo
	v_cmp_gt_i32_e32 vcc_lo, v3, v7
	v_add_co_ci_u32_e32 v1, vcc_lo, v1, v4, vcc_lo
	;; [unrolled: 5-line block ×3, first 2 shown]
	v_cmp_gt_i32_e32 vcc_lo, v3, v11
	s_delay_alu instid0(VALU_DEP_2)
	v_add_co_ci_u32_e32 v1, vcc_lo, v1, v4, vcc_lo
	s_cbranch_scc0 .LBB83_134
; %bb.135:                              ;   in Loop: Header=BB83_132 Depth=1
	s_set_inst_prefetch_distance 0x2
	s_mov_b32 s0, s5
.LBB83_136:                             ;   in Loop: Header=BB83_132 Depth=1
	s_and_not1_b32 vcc_lo, exec_lo, s6
	s_cbranch_vccnz .LBB83_131
; %bb.137:                              ;   in Loop: Header=BB83_132 Depth=1
	s_lshl_b32 s0, s0, 2
	s_mov_b32 s8, s1
	s_add_i32 s0, s0, 0
.LBB83_138:                             ;   Parent Loop BB83_132 Depth=1
                                        ; =>  This Inner Loop Header: Depth=2
	s_delay_alu instid0(SALU_CYCLE_1)
	v_mov_b32_e32 v2, s0
	s_add_i32 s8, s8, -1
	s_add_i32 s0, s0, 4
	s_cmp_lg_u32 s8, 0
	ds_load_b32 v2, v2
	s_waitcnt lgkmcnt(0)
	v_cmp_gt_i32_e32 vcc_lo, v3, v2
	v_add_co_ci_u32_e32 v1, vcc_lo, 0, v1, vcc_lo
	s_cbranch_scc1 .LBB83_138
	s_branch .LBB83_131
.LBB83_139:
	s_nop 0
	s_sendmsg sendmsg(MSG_DEALLOC_VGPRS)
	s_endpgm
	.section	.rodata,"a",@progbits
	.p2align	6, 0x0
	.amdhsa_kernel _ZN9rocsparseL26csrgemm_fill_block_per_rowILj1024ELj64ELj32768ELj137ELj32Eii21rocsparse_complex_numIdEEEvT5_PKS3_S5_NS_24const_host_device_scalarIT6_EEPKT4_S5_PKS7_SB_S5_SD_S8_SB_S5_SD_SB_PS3_PS7_21rocsparse_index_base_SG_SG_SG_bbb
		.amdhsa_group_segment_fixed_size 0
		.amdhsa_private_segment_fixed_size 40
		.amdhsa_kernarg_size 172
		.amdhsa_user_sgpr_count 15
		.amdhsa_user_sgpr_dispatch_ptr 0
		.amdhsa_user_sgpr_queue_ptr 0
		.amdhsa_user_sgpr_kernarg_segment_ptr 1
		.amdhsa_user_sgpr_dispatch_id 0
		.amdhsa_user_sgpr_private_segment_size 0
		.amdhsa_wavefront_size32 1
		.amdhsa_uses_dynamic_stack 0
		.amdhsa_enable_private_segment 1
		.amdhsa_system_sgpr_workgroup_id_x 1
		.amdhsa_system_sgpr_workgroup_id_y 0
		.amdhsa_system_sgpr_workgroup_id_z 0
		.amdhsa_system_sgpr_workgroup_info 0
		.amdhsa_system_vgpr_workitem_id 0
		.amdhsa_next_free_vgpr 31
		.amdhsa_next_free_sgpr 76
		.amdhsa_reserve_vcc 1
		.amdhsa_float_round_mode_32 0
		.amdhsa_float_round_mode_16_64 0
		.amdhsa_float_denorm_mode_32 3
		.amdhsa_float_denorm_mode_16_64 3
		.amdhsa_dx10_clamp 1
		.amdhsa_ieee_mode 1
		.amdhsa_fp16_overflow 0
		.amdhsa_workgroup_processor_mode 1
		.amdhsa_memory_ordered 1
		.amdhsa_forward_progress 0
		.amdhsa_shared_vgpr_count 0
		.amdhsa_exception_fp_ieee_invalid_op 0
		.amdhsa_exception_fp_denorm_src 0
		.amdhsa_exception_fp_ieee_div_zero 0
		.amdhsa_exception_fp_ieee_overflow 0
		.amdhsa_exception_fp_ieee_underflow 0
		.amdhsa_exception_fp_ieee_inexact 0
		.amdhsa_exception_int_div_zero 0
	.end_amdhsa_kernel
	.section	.text._ZN9rocsparseL26csrgemm_fill_block_per_rowILj1024ELj64ELj32768ELj137ELj32Eii21rocsparse_complex_numIdEEEvT5_PKS3_S5_NS_24const_host_device_scalarIT6_EEPKT4_S5_PKS7_SB_S5_SD_S8_SB_S5_SD_SB_PS3_PS7_21rocsparse_index_base_SG_SG_SG_bbb,"axG",@progbits,_ZN9rocsparseL26csrgemm_fill_block_per_rowILj1024ELj64ELj32768ELj137ELj32Eii21rocsparse_complex_numIdEEEvT5_PKS3_S5_NS_24const_host_device_scalarIT6_EEPKT4_S5_PKS7_SB_S5_SD_S8_SB_S5_SD_SB_PS3_PS7_21rocsparse_index_base_SG_SG_SG_bbb,comdat
.Lfunc_end83:
	.size	_ZN9rocsparseL26csrgemm_fill_block_per_rowILj1024ELj64ELj32768ELj137ELj32Eii21rocsparse_complex_numIdEEEvT5_PKS3_S5_NS_24const_host_device_scalarIT6_EEPKT4_S5_PKS7_SB_S5_SD_S8_SB_S5_SD_SB_PS3_PS7_21rocsparse_index_base_SG_SG_SG_bbb, .Lfunc_end83-_ZN9rocsparseL26csrgemm_fill_block_per_rowILj1024ELj64ELj32768ELj137ELj32Eii21rocsparse_complex_numIdEEEvT5_PKS3_S5_NS_24const_host_device_scalarIT6_EEPKT4_S5_PKS7_SB_S5_SD_S8_SB_S5_SD_SB_PS3_PS7_21rocsparse_index_base_SG_SG_SG_bbb
                                        ; -- End function
	.section	.AMDGPU.csdata,"",@progbits
; Kernel info:
; codeLenInByte = 5340
; NumSgprs: 78
; NumVgprs: 31
; ScratchSize: 40
; MemoryBound: 0
; FloatMode: 240
; IeeeMode: 1
; LDSByteSize: 0 bytes/workgroup (compile time only)
; SGPRBlocks: 9
; VGPRBlocks: 3
; NumSGPRsForWavesPerEU: 78
; NumVGPRsForWavesPerEU: 31
; Occupancy: 16
; WaveLimiterHint : 1
; COMPUTE_PGM_RSRC2:SCRATCH_EN: 1
; COMPUTE_PGM_RSRC2:USER_SGPR: 15
; COMPUTE_PGM_RSRC2:TRAP_HANDLER: 0
; COMPUTE_PGM_RSRC2:TGID_X_EN: 1
; COMPUTE_PGM_RSRC2:TGID_Y_EN: 0
; COMPUTE_PGM_RSRC2:TGID_Z_EN: 0
; COMPUTE_PGM_RSRC2:TIDIG_COMP_CNT: 0
	.section	.text._ZN9rocsparseL26csrgemm_fill_block_per_rowILj1024ELj64ELj32768ELj137ELj64Eii21rocsparse_complex_numIdEEEvT5_PKS3_S5_NS_24const_host_device_scalarIT6_EEPKT4_S5_PKS7_SB_S5_SD_S8_SB_S5_SD_SB_PS3_PS7_21rocsparse_index_base_SG_SG_SG_bbb,"axG",@progbits,_ZN9rocsparseL26csrgemm_fill_block_per_rowILj1024ELj64ELj32768ELj137ELj64Eii21rocsparse_complex_numIdEEEvT5_PKS3_S5_NS_24const_host_device_scalarIT6_EEPKT4_S5_PKS7_SB_S5_SD_S8_SB_S5_SD_SB_PS3_PS7_21rocsparse_index_base_SG_SG_SG_bbb,comdat
	.globl	_ZN9rocsparseL26csrgemm_fill_block_per_rowILj1024ELj64ELj32768ELj137ELj64Eii21rocsparse_complex_numIdEEEvT5_PKS3_S5_NS_24const_host_device_scalarIT6_EEPKT4_S5_PKS7_SB_S5_SD_S8_SB_S5_SD_SB_PS3_PS7_21rocsparse_index_base_SG_SG_SG_bbb ; -- Begin function _ZN9rocsparseL26csrgemm_fill_block_per_rowILj1024ELj64ELj32768ELj137ELj64Eii21rocsparse_complex_numIdEEEvT5_PKS3_S5_NS_24const_host_device_scalarIT6_EEPKT4_S5_PKS7_SB_S5_SD_S8_SB_S5_SD_SB_PS3_PS7_21rocsparse_index_base_SG_SG_SG_bbb
	.p2align	8
	.type	_ZN9rocsparseL26csrgemm_fill_block_per_rowILj1024ELj64ELj32768ELj137ELj64Eii21rocsparse_complex_numIdEEEvT5_PKS3_S5_NS_24const_host_device_scalarIT6_EEPKT4_S5_PKS7_SB_S5_SD_S8_SB_S5_SD_SB_PS3_PS7_21rocsparse_index_base_SG_SG_SG_bbb,@function
_ZN9rocsparseL26csrgemm_fill_block_per_rowILj1024ELj64ELj32768ELj137ELj64Eii21rocsparse_complex_numIdEEEvT5_PKS3_S5_NS_24const_host_device_scalarIT6_EEPKT4_S5_PKS7_SB_S5_SD_S8_SB_S5_SD_SB_PS3_PS7_21rocsparse_index_base_SG_SG_SG_bbb: ; @_ZN9rocsparseL26csrgemm_fill_block_per_rowILj1024ELj64ELj32768ELj137ELj64Eii21rocsparse_complex_numIdEEEvT5_PKS3_S5_NS_24const_host_device_scalarIT6_EEPKT4_S5_PKS7_SB_S5_SD_S8_SB_S5_SD_SB_PS3_PS7_21rocsparse_index_base_SG_SG_SG_bbb
; %bb.0:
	s_clause 0x3
	s_load_b32 s14, s[0:1], 0xa8
	s_load_b128 s[4:7], s[0:1], 0x18
	s_load_b128 s[40:43], s[0:1], 0x58
	;; [unrolled: 1-line block ×3, first 2 shown]
	v_mov_b32_e32 v1, 0
	v_mov_b32_e32 v2, 0
	s_waitcnt lgkmcnt(0)
	s_bitcmp1_b32 s14, 0
	v_mov_b32_e32 v3, s4
	s_cselect_b32 s12, -1, 0
	s_bitcmp1_b32 s14, 16
	v_dual_mov_b32 v6, v2 :: v_dual_mov_b32 v5, v1
	s_cselect_b32 s2, -1, 0
	v_mov_b32_e32 v4, s5
	s_xor_b32 s13, s2, -1
	v_dual_mov_b32 v9, s40 :: v_dual_mov_b32 v10, s41
	v_cndmask_b32_e64 v7, 0, 1, s13
	s_bitcmp0_b32 s14, 0
	s_clause 0x1
	scratch_store_b64 off, v[3:4], off offset:16
	scratch_store_b64 off, v[9:10], off offset:24
	v_cmp_ne_u32_e32 vcc_lo, 1, v7
	v_dual_mov_b32 v8, v2 :: v_dual_mov_b32 v7, v1
	s_cbranch_scc1 .LBB84_3
; %bb.1:
	s_mov_b64 s[8:9], src_private_base
	s_and_b32 s3, s2, exec_lo
	s_cselect_b32 s3, s9, s5
	s_delay_alu instid0(SALU_CYCLE_1) | instskip(SKIP_2) | instid1(VALU_DEP_2)
	v_dual_mov_b32 v3, 16 :: v_dual_mov_b32 v4, s3
	v_dual_mov_b32 v8, s7 :: v_dual_mov_b32 v7, s6
	s_and_b32 vcc_lo, exec_lo, vcc_lo
	v_cndmask_b32_e64 v3, s4, v3, s2
	flat_load_b64 v[5:6], v[3:4]
	s_cbranch_vccnz .LBB84_3
; %bb.2:
	v_dual_mov_b32 v3, s4 :: v_dual_mov_b32 v4, s5
	flat_load_b64 v[7:8], v[3:4] offset:8
.LBB84_3:
	s_clause 0x4
	s_load_b128 s[28:31], s[0:1], 0x88
	s_load_b256 s[16:23], s[0:1], 0x68
	s_load_b128 s[36:39], s[0:1], 0x48
	s_load_b128 s[44:47], s[0:1], 0x8
	s_load_b256 s[4:11], s[0:1], 0x28
	s_bitcmp1_b32 s14, 8
	v_dual_mov_b32 v4, v2 :: v_dual_mov_b32 v3, v1
	s_cselect_b32 s3, -1, 0
	s_bfe_u32 s14, s14, 0x10008
	s_delay_alu instid0(SALU_CYCLE_1)
	s_cmp_eq_u32 s14, 0
	s_cbranch_scc1 .LBB84_6
; %bb.4:
	s_mov_b64 s[34:35], src_private_base
	s_and_b32 s14, s2, exec_lo
	s_cselect_b32 s14, s35, s41
	s_delay_alu instid0(SALU_CYCLE_1) | instskip(SKIP_1) | instid1(VALU_DEP_1)
	v_dual_mov_b32 v1, 24 :: v_dual_mov_b32 v2, s14
	s_and_not1_b32 vcc_lo, exec_lo, s13
	v_cndmask_b32_e64 v1, s40, v1, s2
	flat_load_b64 v[3:4], v[1:2]
	v_dual_mov_b32 v1, s42 :: v_dual_mov_b32 v2, s43
	s_cbranch_vccnz .LBB84_6
; %bb.5:
	v_dual_mov_b32 v1, s40 :: v_dual_mov_b32 v2, s41
	flat_load_b64 v[1:2], v[1:2] offset:8
.LBB84_6:
	s_load_b32 s33, s[0:1], 0x0
	s_mov_b32 s0, 0
	v_or_b32_e32 v23, 0xfffffc00, v0
	v_lshl_add_u32 v24, v0, 2, 0
	s_mov_b32 s1, s0
	s_delay_alu instid0(SALU_CYCLE_1)
	v_dual_mov_b32 v10, s1 :: v_dual_lshlrev_b32 v25, 4, v0
	s_mov_b32 s34, s0
	s_mov_b32 s35, s0
	v_dual_mov_b32 v11, s34 :: v_dual_mov_b32 v14, v24
	v_dual_mov_b32 v9, s0 :: v_dual_mov_b32 v12, s35
	v_add3_u32 v13, v25, 0, 0x20008
	s_waitcnt lgkmcnt(0)
	v_dual_mov_b32 v16, v23 :: v_dual_mov_b32 v15, s33
.LBB84_7:                               ; =>This Inner Loop Header: Depth=1
	s_delay_alu instid0(VALU_DEP_1)
	v_add_nc_u32_e32 v16, 0x400, v16
	ds_store_b32 v14, v15
	v_add_nc_u32_e32 v17, -8, v13
	v_add_nc_u32_e32 v13, 0x4000, v13
	v_add_nc_u32_e32 v14, 0x1000, v14
	v_cmp_lt_u32_e32 vcc_lo, 0x7bff, v16
	ds_store_2addr_b64 v17, v[9:10], v[11:12] offset1:1
	s_or_b32 s0, vcc_lo, s0
	s_delay_alu instid0(SALU_CYCLE_1)
	s_and_not1_b32 exec_lo, exec_lo, s0
	s_cbranch_execnz .LBB84_7
; %bb.8:
	s_or_b32 exec_lo, exec_lo, s0
	s_waitcnt vmcnt(0) lgkmcnt(0)
	s_waitcnt_vscnt null, 0x0
	s_barrier
	buffer_gl0_inv
	s_load_b32 s0, s[44:45], 0x0
	s_mov_b32 s1, 0
	v_lshrrev_b32_e32 v26, 6, v0
	s_waitcnt lgkmcnt(0)
	s_add_i32 s0, s0, s15
	s_delay_alu instid0(SALU_CYCLE_1) | instskip(NEXT) | instid1(SALU_CYCLE_1)
	s_lshl_b64 s[0:1], s[0:1], 2
	s_add_u32 s0, s46, s0
	s_addc_u32 s1, s47, s1
	s_and_b32 vcc_lo, exec_lo, s12
	s_load_b32 s34, s[0:1], 0x0
	s_cbranch_vccz .LBB84_36
; %bb.9:
	s_waitcnt lgkmcnt(0)
	s_ashr_i32 s35, s34, 31
	v_subrev_nc_u32_e32 v9, s24, v26
	s_lshl_b64 s[0:1], s[34:35], 2
	s_delay_alu instid0(SALU_CYCLE_1)
	s_add_u32 s0, s4, s0
	s_addc_u32 s1, s5, s1
	s_load_b64 s[0:1], s[0:1], 0x0
	s_waitcnt lgkmcnt(0)
	v_add_nc_u32_e32 v9, s0, v9
	s_sub_i32 s0, s1, s24
	s_mov_b32 s1, exec_lo
	s_delay_alu instid0(VALU_DEP_1)
	v_cmpx_gt_i32_e64 s0, v9
	s_cbranch_execz .LBB84_35
; %bb.10:
	v_and_b32_e32 v10, 63, v0
	s_mov_b32 s2, 0
	s_delay_alu instid0(VALU_DEP_1)
	v_subrev_nc_u32_e32 v27, s25, v10
	s_branch .LBB84_12
.LBB84_11:                              ;   in Loop: Header=BB84_12 Depth=1
	s_or_b32 exec_lo, exec_lo, s4
	v_add_nc_u32_e32 v9, 16, v9
	s_delay_alu instid0(VALU_DEP_1) | instskip(SKIP_1) | instid1(SALU_CYCLE_1)
	v_cmp_le_i32_e32 vcc_lo, s0, v9
	s_or_b32 s2, vcc_lo, s2
	s_and_not1_b32 exec_lo, exec_lo, s2
	s_cbranch_execz .LBB84_35
.LBB84_12:                              ; =>This Loop Header: Depth=1
                                        ;     Child Loop BB84_15 Depth 2
                                        ;       Child Loop BB84_17 Depth 3
                                        ;         Child Loop BB84_23 Depth 4
                                        ;         Child Loop BB84_25 Depth 4
                                        ;         Child Loop BB84_31 Depth 4
                                        ;         Child Loop BB84_33 Depth 4
	v_ashrrev_i32_e32 v10, 31, v9
	s_mov_b32 s4, exec_lo
	s_delay_alu instid0(VALU_DEP_1) | instskip(NEXT) | instid1(VALU_DEP_1)
	v_lshlrev_b64 v[11:12], 2, v[9:10]
	v_add_co_u32 v11, vcc_lo, s6, v11
	s_delay_alu instid0(VALU_DEP_2) | instskip(SKIP_3) | instid1(VALU_DEP_1)
	v_add_co_ci_u32_e32 v12, vcc_lo, s7, v12, vcc_lo
	global_load_b32 v11, v[11:12], off
	s_waitcnt vmcnt(0)
	v_subrev_nc_u32_e32 v11, s24, v11
	v_ashrrev_i32_e32 v12, 31, v11
	s_delay_alu instid0(VALU_DEP_1) | instskip(NEXT) | instid1(VALU_DEP_1)
	v_lshlrev_b64 v[11:12], 2, v[11:12]
	v_add_co_u32 v11, vcc_lo, s10, v11
	s_delay_alu instid0(VALU_DEP_2) | instskip(SKIP_4) | instid1(VALU_DEP_1)
	v_add_co_ci_u32_e32 v12, vcc_lo, s11, v12, vcc_lo
	global_load_b64 v[11:12], v[11:12], off
	s_waitcnt vmcnt(0)
	v_subrev_nc_u32_e32 v28, s25, v12
	v_add_nc_u32_e32 v11, v11, v27
	v_cmpx_lt_i32_e64 v11, v28
	s_cbranch_execz .LBB84_11
; %bb.13:                               ;   in Loop: Header=BB84_12 Depth=1
	v_lshlrev_b64 v[12:13], 4, v[9:10]
	s_mov_b32 s5, 0
	s_delay_alu instid0(VALU_DEP_1) | instskip(NEXT) | instid1(VALU_DEP_2)
	v_add_co_u32 v12, vcc_lo, s8, v12
	v_add_co_ci_u32_e32 v13, vcc_lo, s9, v13, vcc_lo
	global_load_b128 v[15:18], v[12:13], off
	s_waitcnt vmcnt(0)
	v_mul_f64 v[12:13], v[17:18], -v[7:8]
	v_mul_f64 v[17:18], v[5:6], v[17:18]
	s_delay_alu instid0(VALU_DEP_2) | instskip(NEXT) | instid1(VALU_DEP_2)
	v_fma_f64 v[13:14], v[5:6], v[15:16], v[12:13]
	v_fma_f64 v[15:16], v[7:8], v[15:16], v[17:18]
	s_branch .LBB84_15
.LBB84_14:                              ;   in Loop: Header=BB84_15 Depth=2
	s_or_b32 exec_lo, exec_lo, s12
	v_add_nc_u32_e32 v11, 64, v11
	s_delay_alu instid0(VALU_DEP_1) | instskip(SKIP_1) | instid1(SALU_CYCLE_1)
	v_cmp_ge_i32_e32 vcc_lo, v11, v28
	s_or_b32 s5, vcc_lo, s5
	s_and_not1_b32 exec_lo, exec_lo, s5
	s_cbranch_execz .LBB84_11
.LBB84_15:                              ;   Parent Loop BB84_12 Depth=1
                                        ; =>  This Loop Header: Depth=2
                                        ;       Child Loop BB84_17 Depth 3
                                        ;         Child Loop BB84_23 Depth 4
                                        ;         Child Loop BB84_25 Depth 4
	;; [unrolled: 1-line block ×4, first 2 shown]
	v_ashrrev_i32_e32 v12, 31, v11
	s_mov_b32 s12, 0
	s_delay_alu instid0(VALU_DEP_1) | instskip(NEXT) | instid1(VALU_DEP_1)
	v_lshlrev_b64 v[17:18], 4, v[11:12]
	v_add_co_u32 v17, vcc_lo, s38, v17
	s_delay_alu instid0(VALU_DEP_2) | instskip(SKIP_2) | instid1(VALU_DEP_1)
	v_add_co_ci_u32_e32 v18, vcc_lo, s39, v18, vcc_lo
	global_load_b128 v[19:22], v[17:18], off
	v_lshlrev_b64 v[17:18], 2, v[11:12]
	v_add_co_u32 v17, vcc_lo, s36, v17
	s_delay_alu instid0(VALU_DEP_2)
	v_add_co_ci_u32_e32 v18, vcc_lo, s37, v18, vcc_lo
	global_load_b32 v10, v[17:18], off
	s_waitcnt vmcnt(1)
	v_mul_f64 v[17:18], v[21:22], -v[15:16]
	v_mul_f64 v[21:22], v[13:14], v[21:22]
	s_waitcnt vmcnt(0)
	v_subrev_nc_u32_e32 v10, s25, v10
	s_delay_alu instid0(VALU_DEP_1) | instskip(NEXT) | instid1(VALU_DEP_1)
	v_mul_lo_u32 v12, 0x89, v10
	v_and_b32_e32 v12, 0x7fff, v12
	v_fma_f64 v[17:18], v[13:14], v[19:20], v[17:18]
	v_fma_f64 v[19:20], v[15:16], v[19:20], v[21:22]
	s_branch .LBB84_17
.LBB84_16:                              ;   in Loop: Header=BB84_17 Depth=3
	s_or_b32 exec_lo, exec_lo, s13
	s_xor_b32 s13, s14, -1
	s_delay_alu instid0(SALU_CYCLE_1) | instskip(NEXT) | instid1(SALU_CYCLE_1)
	s_and_b32 s13, exec_lo, s13
	s_or_b32 s12, s13, s12
	s_delay_alu instid0(SALU_CYCLE_1)
	s_and_not1_b32 exec_lo, exec_lo, s12
	s_cbranch_execz .LBB84_14
.LBB84_17:                              ;   Parent Loop BB84_12 Depth=1
                                        ;     Parent Loop BB84_15 Depth=2
                                        ; =>    This Loop Header: Depth=3
                                        ;         Child Loop BB84_23 Depth 4
                                        ;         Child Loop BB84_25 Depth 4
	;; [unrolled: 1-line block ×4, first 2 shown]
	s_delay_alu instid0(VALU_DEP_3)
	v_lshl_add_u32 v21, v12, 2, 0
	s_mov_b32 s13, exec_lo
                                        ; implicit-def: $sgpr14
	ds_load_b32 v22, v21
	s_waitcnt lgkmcnt(0)
	v_cmpx_ne_u32_e64 v22, v10
	s_xor_b32 s13, exec_lo, s13
	s_cbranch_execz .LBB84_29
; %bb.18:                               ;   in Loop: Header=BB84_17 Depth=3
	s_mov_b32 s15, exec_lo
                                        ; implicit-def: $sgpr14
	v_cmpx_ne_u32_e64 s33, v22
	s_xor_b32 s15, exec_lo, s15
; %bb.19:                               ;   in Loop: Header=BB84_17 Depth=3
	v_add_nc_u32_e32 v12, 1, v12
	s_mov_b32 s14, -1
                                        ; implicit-def: $vgpr21
	s_delay_alu instid0(VALU_DEP_1)
	v_and_b32_e32 v12, 0x7fff, v12
; %bb.20:                               ;   in Loop: Header=BB84_17 Depth=3
	s_and_not1_saveexec_b32 s15, s15
	s_cbranch_execz .LBB84_28
; %bb.21:                               ;   in Loop: Header=BB84_17 Depth=3
	v_mov_b32_e32 v22, s33
	s_mov_b32 s40, -1
	s_mov_b32 s35, exec_lo
	ds_cmpstore_rtn_b32 v21, v21, v10, v22
	s_waitcnt lgkmcnt(0)
	v_cmpx_eq_u32_e64 s33, v21
	s_cbranch_execz .LBB84_27
; %bb.22:                               ;   in Loop: Header=BB84_17 Depth=3
	v_lshlrev_b32_e32 v21, 4, v12
	s_mov_b32 s40, 0
	s_delay_alu instid0(VALU_DEP_1)
	v_add3_u32 v29, 0, v21, 0x20000
	ds_load_b64 v[21:22], v29
.LBB84_23:                              ;   Parent Loop BB84_12 Depth=1
                                        ;     Parent Loop BB84_15 Depth=2
                                        ;       Parent Loop BB84_17 Depth=3
                                        ; =>      This Inner Loop Header: Depth=4
	s_waitcnt lgkmcnt(0)
	v_add_f64 v[30:31], v[21:22], v[17:18]
	ds_cmpstore_rtn_b64 v[30:31], v29, v[30:31], v[21:22]
	s_waitcnt lgkmcnt(0)
	v_cmp_eq_u64_e32 vcc_lo, v[30:31], v[21:22]
	v_dual_mov_b32 v21, v30 :: v_dual_mov_b32 v22, v31
	s_or_b32 s40, vcc_lo, s40
	s_delay_alu instid0(SALU_CYCLE_1)
	s_and_not1_b32 exec_lo, exec_lo, s40
	s_cbranch_execnz .LBB84_23
; %bb.24:                               ;   in Loop: Header=BB84_17 Depth=3
	s_or_b32 exec_lo, exec_lo, s40
	ds_load_b64 v[21:22], v29 offset:8
	s_mov_b32 s40, 0
.LBB84_25:                              ;   Parent Loop BB84_12 Depth=1
                                        ;     Parent Loop BB84_15 Depth=2
                                        ;       Parent Loop BB84_17 Depth=3
                                        ; =>      This Inner Loop Header: Depth=4
	s_waitcnt lgkmcnt(0)
	v_add_f64 v[30:31], v[21:22], v[19:20]
	ds_cmpstore_rtn_b64 v[30:31], v29, v[30:31], v[21:22] offset:8
	s_waitcnt lgkmcnt(0)
	v_cmp_eq_u64_e32 vcc_lo, v[30:31], v[21:22]
	v_dual_mov_b32 v21, v30 :: v_dual_mov_b32 v22, v31
	s_or_b32 s40, vcc_lo, s40
	s_delay_alu instid0(SALU_CYCLE_1)
	s_and_not1_b32 exec_lo, exec_lo, s40
	s_cbranch_execnz .LBB84_25
; %bb.26:                               ;   in Loop: Header=BB84_17 Depth=3
	s_or_b32 exec_lo, exec_lo, s40
	s_delay_alu instid0(SALU_CYCLE_1)
	s_xor_b32 s40, exec_lo, -1
.LBB84_27:                              ;   in Loop: Header=BB84_17 Depth=3
	s_or_b32 exec_lo, exec_lo, s35
	s_delay_alu instid0(SALU_CYCLE_1) | instskip(SKIP_1) | instid1(SALU_CYCLE_1)
	s_and_not1_b32 s14, s14, exec_lo
	s_and_b32 s35, s40, exec_lo
	s_or_b32 s14, s14, s35
.LBB84_28:                              ;   in Loop: Header=BB84_17 Depth=3
	s_or_b32 exec_lo, exec_lo, s15
	s_delay_alu instid0(SALU_CYCLE_1)
	s_and_b32 s14, s14, exec_lo
.LBB84_29:                              ;   in Loop: Header=BB84_17 Depth=3
	s_and_not1_saveexec_b32 s13, s13
	s_cbranch_execz .LBB84_16
; %bb.30:                               ;   in Loop: Header=BB84_17 Depth=3
	v_lshlrev_b32_e32 v21, 4, v12
	s_mov_b32 s15, 0
	s_delay_alu instid0(VALU_DEP_1)
	v_add3_u32 v29, 0, v21, 0x20000
	ds_load_b64 v[21:22], v29
.LBB84_31:                              ;   Parent Loop BB84_12 Depth=1
                                        ;     Parent Loop BB84_15 Depth=2
                                        ;       Parent Loop BB84_17 Depth=3
                                        ; =>      This Inner Loop Header: Depth=4
	s_waitcnt lgkmcnt(0)
	v_add_f64 v[30:31], v[21:22], v[17:18]
	ds_cmpstore_rtn_b64 v[30:31], v29, v[30:31], v[21:22]
	s_waitcnt lgkmcnt(0)
	v_cmp_eq_u64_e32 vcc_lo, v[30:31], v[21:22]
	v_dual_mov_b32 v21, v30 :: v_dual_mov_b32 v22, v31
	s_or_b32 s15, vcc_lo, s15
	s_delay_alu instid0(SALU_CYCLE_1)
	s_and_not1_b32 exec_lo, exec_lo, s15
	s_cbranch_execnz .LBB84_31
; %bb.32:                               ;   in Loop: Header=BB84_17 Depth=3
	s_or_b32 exec_lo, exec_lo, s15
	ds_load_b64 v[21:22], v29 offset:8
	s_mov_b32 s15, 0
.LBB84_33:                              ;   Parent Loop BB84_12 Depth=1
                                        ;     Parent Loop BB84_15 Depth=2
                                        ;       Parent Loop BB84_17 Depth=3
                                        ; =>      This Inner Loop Header: Depth=4
	s_waitcnt lgkmcnt(0)
	v_add_f64 v[30:31], v[21:22], v[19:20]
	ds_cmpstore_rtn_b64 v[30:31], v29, v[30:31], v[21:22] offset:8
	s_waitcnt lgkmcnt(0)
	v_cmp_eq_u64_e32 vcc_lo, v[30:31], v[21:22]
	v_dual_mov_b32 v21, v30 :: v_dual_mov_b32 v22, v31
	s_or_b32 s15, vcc_lo, s15
	s_delay_alu instid0(SALU_CYCLE_1)
	s_and_not1_b32 exec_lo, exec_lo, s15
	s_cbranch_execnz .LBB84_33
; %bb.34:                               ;   in Loop: Header=BB84_17 Depth=3
	s_or_b32 exec_lo, exec_lo, s15
	s_delay_alu instid0(SALU_CYCLE_1)
	s_and_not1_b32 s14, s14, exec_lo
	s_branch .LBB84_16
.LBB84_35:
	s_or_b32 exec_lo, exec_lo, s1
.LBB84_36:
	s_delay_alu instid0(SALU_CYCLE_1)
	s_and_not1_b32 vcc_lo, exec_lo, s3
	s_cbranch_vccnz .LBB84_61
; %bb.37:
	s_waitcnt lgkmcnt(0)
	s_ashr_i32 s35, s34, 31
	v_subrev_nc_u32_e32 v5, s27, v0
	s_lshl_b64 s[0:1], s[34:35], 2
	s_delay_alu instid0(SALU_CYCLE_1)
	s_add_u32 s0, s16, s0
	s_addc_u32 s1, s17, s1
	s_load_b64 s[0:1], s[0:1], 0x0
	s_waitcnt lgkmcnt(0)
	v_add_nc_u32_e32 v5, s0, v5
	s_sub_i32 s0, s1, s27
	s_mov_b32 s1, exec_lo
	s_delay_alu instid0(VALU_DEP_1)
	v_cmpx_gt_i32_e64 s0, v5
	s_cbranch_execz .LBB84_60
; %bb.38:
	s_mov_b32 s2, 0
	s_branch .LBB84_40
.LBB84_39:                              ;   in Loop: Header=BB84_40 Depth=1
	s_or_b32 exec_lo, exec_lo, s3
	v_add_nc_u32_e32 v5, 0x400, v5
	s_delay_alu instid0(VALU_DEP_1) | instskip(SKIP_1) | instid1(SALU_CYCLE_1)
	v_cmp_le_i32_e32 vcc_lo, s0, v5
	s_or_b32 s2, vcc_lo, s2
	s_and_not1_b32 exec_lo, exec_lo, s2
	s_cbranch_execz .LBB84_60
.LBB84_40:                              ; =>This Loop Header: Depth=1
                                        ;     Child Loop BB84_42 Depth 2
                                        ;       Child Loop BB84_48 Depth 3
                                        ;       Child Loop BB84_50 Depth 3
	;; [unrolled: 1-line block ×4, first 2 shown]
	v_ashrrev_i32_e32 v6, 31, v5
	s_mov_b32 s3, 0
	s_delay_alu instid0(VALU_DEP_1) | instskip(NEXT) | instid1(VALU_DEP_1)
	v_lshlrev_b64 v[7:8], 4, v[5:6]
	v_add_co_u32 v7, vcc_lo, s20, v7
	s_delay_alu instid0(VALU_DEP_2) | instskip(SKIP_2) | instid1(VALU_DEP_1)
	v_add_co_ci_u32_e32 v8, vcc_lo, s21, v8, vcc_lo
	global_load_b128 v[8:11], v[7:8], off
	v_lshlrev_b64 v[6:7], 2, v[5:6]
	v_add_co_u32 v6, vcc_lo, s18, v6
	s_delay_alu instid0(VALU_DEP_2)
	v_add_co_ci_u32_e32 v7, vcc_lo, s19, v7, vcc_lo
	global_load_b32 v12, v[6:7], off
	s_waitcnt vmcnt(1)
	v_mul_f64 v[6:7], v[10:11], -v[1:2]
	v_mul_f64 v[10:11], v[3:4], v[10:11]
	s_waitcnt vmcnt(0)
	v_subrev_nc_u32_e32 v12, s27, v12
	s_delay_alu instid0(VALU_DEP_3) | instskip(NEXT) | instid1(VALU_DEP_3)
	v_fma_f64 v[6:7], v[3:4], v[8:9], v[6:7]
	v_fma_f64 v[8:9], v[1:2], v[8:9], v[10:11]
	s_delay_alu instid0(VALU_DEP_3) | instskip(NEXT) | instid1(VALU_DEP_1)
	v_mul_lo_u32 v10, 0x89, v12
	v_and_b32_e32 v13, 0x7fff, v10
	s_branch .LBB84_42
.LBB84_41:                              ;   in Loop: Header=BB84_42 Depth=2
	s_or_b32 exec_lo, exec_lo, s4
	s_xor_b32 s4, s5, -1
	s_delay_alu instid0(SALU_CYCLE_1) | instskip(NEXT) | instid1(SALU_CYCLE_1)
	s_and_b32 s4, exec_lo, s4
	s_or_b32 s3, s4, s3
	s_delay_alu instid0(SALU_CYCLE_1)
	s_and_not1_b32 exec_lo, exec_lo, s3
	s_cbranch_execz .LBB84_39
.LBB84_42:                              ;   Parent Loop BB84_40 Depth=1
                                        ; =>  This Loop Header: Depth=2
                                        ;       Child Loop BB84_48 Depth 3
                                        ;       Child Loop BB84_50 Depth 3
	;; [unrolled: 1-line block ×4, first 2 shown]
	s_delay_alu instid0(VALU_DEP_1)
	v_lshl_add_u32 v10, v13, 2, 0
	s_mov_b32 s4, exec_lo
                                        ; implicit-def: $sgpr5
	ds_load_b32 v11, v10
	s_waitcnt lgkmcnt(0)
	v_cmpx_ne_u32_e64 v11, v12
	s_xor_b32 s4, exec_lo, s4
	s_cbranch_execz .LBB84_54
; %bb.43:                               ;   in Loop: Header=BB84_42 Depth=2
	s_mov_b32 s6, exec_lo
                                        ; implicit-def: $sgpr5
	v_cmpx_ne_u32_e64 s33, v11
	s_xor_b32 s6, exec_lo, s6
; %bb.44:                               ;   in Loop: Header=BB84_42 Depth=2
	v_add_nc_u32_e32 v10, 1, v13
	s_mov_b32 s5, -1
	s_delay_alu instid0(VALU_DEP_1)
	v_and_b32_e32 v13, 0x7fff, v10
                                        ; implicit-def: $vgpr10
; %bb.45:                               ;   in Loop: Header=BB84_42 Depth=2
	s_and_not1_saveexec_b32 s6, s6
	s_cbranch_execz .LBB84_53
; %bb.46:                               ;   in Loop: Header=BB84_42 Depth=2
	v_mov_b32_e32 v11, s33
	s_mov_b32 s8, -1
	s_mov_b32 s7, exec_lo
	ds_cmpstore_rtn_b32 v10, v10, v12, v11
	s_waitcnt lgkmcnt(0)
	v_cmpx_eq_u32_e64 s33, v10
	s_cbranch_execz .LBB84_52
; %bb.47:                               ;   in Loop: Header=BB84_42 Depth=2
	v_lshlrev_b32_e32 v10, 4, v13
	s_mov_b32 s8, 0
	s_delay_alu instid0(VALU_DEP_1)
	v_add3_u32 v14, 0, v10, 0x20000
	ds_load_b64 v[10:11], v14
.LBB84_48:                              ;   Parent Loop BB84_40 Depth=1
                                        ;     Parent Loop BB84_42 Depth=2
                                        ; =>    This Inner Loop Header: Depth=3
	s_waitcnt lgkmcnt(0)
	v_add_f64 v[15:16], v[10:11], v[6:7]
	ds_cmpstore_rtn_b64 v[15:16], v14, v[15:16], v[10:11]
	s_waitcnt lgkmcnt(0)
	v_cmp_eq_u64_e32 vcc_lo, v[15:16], v[10:11]
	v_dual_mov_b32 v10, v15 :: v_dual_mov_b32 v11, v16
	s_or_b32 s8, vcc_lo, s8
	s_delay_alu instid0(SALU_CYCLE_1)
	s_and_not1_b32 exec_lo, exec_lo, s8
	s_cbranch_execnz .LBB84_48
; %bb.49:                               ;   in Loop: Header=BB84_42 Depth=2
	s_or_b32 exec_lo, exec_lo, s8
	ds_load_b64 v[10:11], v14 offset:8
	s_mov_b32 s8, 0
.LBB84_50:                              ;   Parent Loop BB84_40 Depth=1
                                        ;     Parent Loop BB84_42 Depth=2
                                        ; =>    This Inner Loop Header: Depth=3
	s_waitcnt lgkmcnt(0)
	v_add_f64 v[15:16], v[10:11], v[8:9]
	ds_cmpstore_rtn_b64 v[15:16], v14, v[15:16], v[10:11] offset:8
	s_waitcnt lgkmcnt(0)
	v_cmp_eq_u64_e32 vcc_lo, v[15:16], v[10:11]
	v_dual_mov_b32 v10, v15 :: v_dual_mov_b32 v11, v16
	s_or_b32 s8, vcc_lo, s8
	s_delay_alu instid0(SALU_CYCLE_1)
	s_and_not1_b32 exec_lo, exec_lo, s8
	s_cbranch_execnz .LBB84_50
; %bb.51:                               ;   in Loop: Header=BB84_42 Depth=2
	s_or_b32 exec_lo, exec_lo, s8
	s_delay_alu instid0(SALU_CYCLE_1)
	s_xor_b32 s8, exec_lo, -1
.LBB84_52:                              ;   in Loop: Header=BB84_42 Depth=2
	s_or_b32 exec_lo, exec_lo, s7
	s_delay_alu instid0(SALU_CYCLE_1) | instskip(SKIP_1) | instid1(SALU_CYCLE_1)
	s_and_not1_b32 s5, s5, exec_lo
	s_and_b32 s7, s8, exec_lo
	s_or_b32 s5, s5, s7
.LBB84_53:                              ;   in Loop: Header=BB84_42 Depth=2
	s_or_b32 exec_lo, exec_lo, s6
	s_delay_alu instid0(SALU_CYCLE_1)
	s_and_b32 s5, s5, exec_lo
.LBB84_54:                              ;   in Loop: Header=BB84_42 Depth=2
	s_and_not1_saveexec_b32 s4, s4
	s_cbranch_execz .LBB84_41
; %bb.55:                               ;   in Loop: Header=BB84_42 Depth=2
	v_lshlrev_b32_e32 v10, 4, v13
	s_mov_b32 s6, 0
	s_delay_alu instid0(VALU_DEP_1)
	v_add3_u32 v14, 0, v10, 0x20000
	ds_load_b64 v[10:11], v14
.LBB84_56:                              ;   Parent Loop BB84_40 Depth=1
                                        ;     Parent Loop BB84_42 Depth=2
                                        ; =>    This Inner Loop Header: Depth=3
	s_waitcnt lgkmcnt(0)
	v_add_f64 v[15:16], v[10:11], v[6:7]
	ds_cmpstore_rtn_b64 v[15:16], v14, v[15:16], v[10:11]
	s_waitcnt lgkmcnt(0)
	v_cmp_eq_u64_e32 vcc_lo, v[15:16], v[10:11]
	v_dual_mov_b32 v10, v15 :: v_dual_mov_b32 v11, v16
	s_or_b32 s6, vcc_lo, s6
	s_delay_alu instid0(SALU_CYCLE_1)
	s_and_not1_b32 exec_lo, exec_lo, s6
	s_cbranch_execnz .LBB84_56
; %bb.57:                               ;   in Loop: Header=BB84_42 Depth=2
	s_or_b32 exec_lo, exec_lo, s6
	ds_load_b64 v[10:11], v14 offset:8
	s_mov_b32 s6, 0
.LBB84_58:                              ;   Parent Loop BB84_40 Depth=1
                                        ;     Parent Loop BB84_42 Depth=2
                                        ; =>    This Inner Loop Header: Depth=3
	s_waitcnt lgkmcnt(0)
	v_add_f64 v[15:16], v[10:11], v[8:9]
	ds_cmpstore_rtn_b64 v[15:16], v14, v[15:16], v[10:11] offset:8
	s_waitcnt lgkmcnt(0)
	v_cmp_eq_u64_e32 vcc_lo, v[15:16], v[10:11]
	v_dual_mov_b32 v10, v15 :: v_dual_mov_b32 v11, v16
	s_or_b32 s6, vcc_lo, s6
	s_delay_alu instid0(SALU_CYCLE_1)
	s_and_not1_b32 exec_lo, exec_lo, s6
	s_cbranch_execnz .LBB84_58
; %bb.59:                               ;   in Loop: Header=BB84_42 Depth=2
	s_or_b32 exec_lo, exec_lo, s6
	s_delay_alu instid0(SALU_CYCLE_1)
	s_and_not1_b32 s5, s5, exec_lo
	s_branch .LBB84_41
.LBB84_60:
	s_or_b32 exec_lo, exec_lo, s1
.LBB84_61:
	v_mbcnt_lo_u32_b32 v1, -1, 0
	s_add_i32 s38, 0, 0xa003c
	s_delay_alu instid0(SALU_CYCLE_1) | instskip(SKIP_1) | instid1(VALU_DEP_3)
	v_dual_mov_b32 v5, s38 :: v_dual_lshlrev_b32 v2, 2, v26
	v_cmp_eq_u32_e32 vcc_lo, 0x3ff, v0
	v_xor_b32_e32 v1, 63, v1
	v_cmp_lt_u32_e64 s0, 63, v0
	s_delay_alu instid0(VALU_DEP_4)
	v_add3_u32 v3, 0, 0xa0000, v2
	v_cmp_lt_u32_e64 s1, 0x7f, v0
	v_cmp_lt_u32_e64 s2, 0xbf, v0
	v_lshrrev_b64 v[1:2], v1, -1
	v_cmp_lt_u32_e64 s3, 0xff, v0
	v_cmp_lt_u32_e64 s4, 0x13f, v0
	;; [unrolled: 1-line block ×12, first 2 shown]
	v_add3_u32 v2, v25, 0, 0x20000
	v_mov_b32_e32 v4, 0
	s_mov_b32 s16, 0
	s_add_i32 s17, 0, 0xa0000
	s_add_i32 s18, 0, 0xa0004
	s_add_i32 s19, 0, 0xa0008
	s_add_i32 s20, 0, 0xa000c
	s_add_i32 s21, 0, 0xa0010
	s_add_i32 s24, 0, 0xa0014
	s_add_i32 s25, 0, 0xa0018
	s_add_i32 s27, 0, 0xa001c
	s_add_i32 s35, 0, 0xa0020
	s_add_i32 s36, 0, 0xa0024
	s_add_i32 s37, 0, 0xa0028
	s_add_i32 s39, 0, 0xa002c
	s_add_i32 s40, 0, 0xa0030
	s_add_i32 s41, 0, 0xa0034
	s_add_i32 s42, 0, 0xa0038
	s_waitcnt lgkmcnt(0)
	s_barrier
	buffer_gl0_inv
	s_branch .LBB84_63
.LBB84_62:                              ;   in Loop: Header=BB84_63 Depth=1
	s_or_b32 exec_lo, exec_lo, s15
	s_waitcnt lgkmcnt(0)
	s_barrier
	buffer_gl0_inv
	ds_load_b32 v6, v5
	v_add_nc_u32_e32 v23, 0x400, v23
	v_add_nc_u32_e32 v2, 0x4000, v2
	;; [unrolled: 1-line block ×3, first 2 shown]
	s_delay_alu instid0(VALU_DEP_3) | instskip(NEXT) | instid1(VALU_DEP_1)
	v_cmp_lt_u32_e64 s15, 0x7bff, v23
	s_or_b32 s16, s15, s16
	s_waitcnt lgkmcnt(0)
	v_add_nc_u32_e32 v4, v6, v4
	s_and_not1_b32 exec_lo, exec_lo, s16
	s_cbranch_execz .LBB84_97
.LBB84_63:                              ; =>This Inner Loop Header: Depth=1
	ds_load_b32 v6, v24
	ds_load_2addr_b64 v[7:10], v2 offset1:1
	s_waitcnt lgkmcnt(1)
	v_cmp_gt_i32_e64 s15, s33, v6
	s_waitcnt lgkmcnt(0)
	scratch_store_b128 off, v[7:10], off
	s_waitcnt_vscnt null, 0x0
	s_barrier
	buffer_gl0_inv
	s_bcnt1_i32_b32 s43, s15
	s_delay_alu instid0(SALU_CYCLE_1) | instskip(NEXT) | instid1(VALU_DEP_1)
	v_dual_mov_b32 v8, s43 :: v_dual_and_b32 v7, s15, v1
	v_bcnt_u32_b32 v7, v7, 0
	ds_store_b32 v3, v8
	s_waitcnt lgkmcnt(0)
	s_barrier
	buffer_gl0_inv
	s_and_saveexec_b32 s43, s0
	s_cbranch_execnz .LBB84_80
; %bb.64:                               ;   in Loop: Header=BB84_63 Depth=1
	s_or_b32 exec_lo, exec_lo, s43
	s_and_saveexec_b32 s43, s1
	s_cbranch_execnz .LBB84_81
.LBB84_65:                              ;   in Loop: Header=BB84_63 Depth=1
	s_or_b32 exec_lo, exec_lo, s43
	s_and_saveexec_b32 s43, s2
	s_cbranch_execnz .LBB84_82
.LBB84_66:                              ;   in Loop: Header=BB84_63 Depth=1
	s_or_b32 exec_lo, exec_lo, s43
	s_and_saveexec_b32 s43, s3
	s_cbranch_execnz .LBB84_83
.LBB84_67:                              ;   in Loop: Header=BB84_63 Depth=1
	s_or_b32 exec_lo, exec_lo, s43
	s_and_saveexec_b32 s43, s4
	s_cbranch_execnz .LBB84_84
.LBB84_68:                              ;   in Loop: Header=BB84_63 Depth=1
	s_or_b32 exec_lo, exec_lo, s43
	s_and_saveexec_b32 s43, s5
	s_cbranch_execnz .LBB84_85
.LBB84_69:                              ;   in Loop: Header=BB84_63 Depth=1
	s_or_b32 exec_lo, exec_lo, s43
	s_and_saveexec_b32 s43, s6
	s_cbranch_execnz .LBB84_86
.LBB84_70:                              ;   in Loop: Header=BB84_63 Depth=1
	s_or_b32 exec_lo, exec_lo, s43
	s_and_saveexec_b32 s43, s7
	s_cbranch_execnz .LBB84_87
.LBB84_71:                              ;   in Loop: Header=BB84_63 Depth=1
	s_or_b32 exec_lo, exec_lo, s43
	s_and_saveexec_b32 s43, s8
	s_cbranch_execnz .LBB84_88
.LBB84_72:                              ;   in Loop: Header=BB84_63 Depth=1
	s_or_b32 exec_lo, exec_lo, s43
	s_and_saveexec_b32 s43, s9
	s_cbranch_execnz .LBB84_89
.LBB84_73:                              ;   in Loop: Header=BB84_63 Depth=1
	s_or_b32 exec_lo, exec_lo, s43
	s_and_saveexec_b32 s43, s10
	s_cbranch_execnz .LBB84_90
.LBB84_74:                              ;   in Loop: Header=BB84_63 Depth=1
	s_or_b32 exec_lo, exec_lo, s43
	s_and_saveexec_b32 s43, s11
	s_cbranch_execnz .LBB84_91
.LBB84_75:                              ;   in Loop: Header=BB84_63 Depth=1
	s_or_b32 exec_lo, exec_lo, s43
	s_and_saveexec_b32 s43, s12
	s_cbranch_execnz .LBB84_92
.LBB84_76:                              ;   in Loop: Header=BB84_63 Depth=1
	s_or_b32 exec_lo, exec_lo, s43
	s_and_saveexec_b32 s43, s13
	s_cbranch_execnz .LBB84_93
.LBB84_77:                              ;   in Loop: Header=BB84_63 Depth=1
	s_or_b32 exec_lo, exec_lo, s43
	s_and_saveexec_b32 s43, s14
	s_cbranch_execnz .LBB84_94
.LBB84_78:                              ;   in Loop: Header=BB84_63 Depth=1
	s_or_b32 exec_lo, exec_lo, s43
	s_and_saveexec_b32 s43, s15
	s_cbranch_execnz .LBB84_95
.LBB84_79:                              ;   in Loop: Header=BB84_63 Depth=1
	s_or_b32 exec_lo, exec_lo, s43
	s_and_saveexec_b32 s15, vcc_lo
	s_cbranch_execz .LBB84_62
	s_branch .LBB84_96
.LBB84_80:                              ;   in Loop: Header=BB84_63 Depth=1
	v_mov_b32_e32 v8, s17
	ds_load_b32 v8, v8
	s_waitcnt lgkmcnt(0)
	v_add_nc_u32_e32 v7, v8, v7
	s_or_b32 exec_lo, exec_lo, s43
	s_and_saveexec_b32 s43, s1
	s_cbranch_execz .LBB84_65
.LBB84_81:                              ;   in Loop: Header=BB84_63 Depth=1
	v_mov_b32_e32 v8, s18
	ds_load_b32 v8, v8
	s_waitcnt lgkmcnt(0)
	v_add_nc_u32_e32 v7, v8, v7
	s_or_b32 exec_lo, exec_lo, s43
	s_and_saveexec_b32 s43, s2
	s_cbranch_execz .LBB84_66
.LBB84_82:                              ;   in Loop: Header=BB84_63 Depth=1
	v_mov_b32_e32 v8, s19
	ds_load_b32 v8, v8
	s_waitcnt lgkmcnt(0)
	v_add_nc_u32_e32 v7, v8, v7
	s_or_b32 exec_lo, exec_lo, s43
	s_and_saveexec_b32 s43, s3
	s_cbranch_execz .LBB84_67
.LBB84_83:                              ;   in Loop: Header=BB84_63 Depth=1
	v_mov_b32_e32 v8, s20
	ds_load_b32 v8, v8
	s_waitcnt lgkmcnt(0)
	v_add_nc_u32_e32 v7, v8, v7
	s_or_b32 exec_lo, exec_lo, s43
	s_and_saveexec_b32 s43, s4
	s_cbranch_execz .LBB84_68
.LBB84_84:                              ;   in Loop: Header=BB84_63 Depth=1
	v_mov_b32_e32 v8, s21
	ds_load_b32 v8, v8
	s_waitcnt lgkmcnt(0)
	v_add_nc_u32_e32 v7, v8, v7
	s_or_b32 exec_lo, exec_lo, s43
	s_and_saveexec_b32 s43, s5
	s_cbranch_execz .LBB84_69
.LBB84_85:                              ;   in Loop: Header=BB84_63 Depth=1
	v_mov_b32_e32 v8, s24
	ds_load_b32 v8, v8
	s_waitcnt lgkmcnt(0)
	v_add_nc_u32_e32 v7, v8, v7
	s_or_b32 exec_lo, exec_lo, s43
	s_and_saveexec_b32 s43, s6
	s_cbranch_execz .LBB84_70
.LBB84_86:                              ;   in Loop: Header=BB84_63 Depth=1
	v_mov_b32_e32 v8, s25
	ds_load_b32 v8, v8
	s_waitcnt lgkmcnt(0)
	v_add_nc_u32_e32 v7, v8, v7
	s_or_b32 exec_lo, exec_lo, s43
	s_and_saveexec_b32 s43, s7
	s_cbranch_execz .LBB84_71
.LBB84_87:                              ;   in Loop: Header=BB84_63 Depth=1
	v_mov_b32_e32 v8, s27
	ds_load_b32 v8, v8
	s_waitcnt lgkmcnt(0)
	v_add_nc_u32_e32 v7, v8, v7
	s_or_b32 exec_lo, exec_lo, s43
	s_and_saveexec_b32 s43, s8
	s_cbranch_execz .LBB84_72
.LBB84_88:                              ;   in Loop: Header=BB84_63 Depth=1
	v_mov_b32_e32 v8, s35
	ds_load_b32 v8, v8
	s_waitcnt lgkmcnt(0)
	v_add_nc_u32_e32 v7, v8, v7
	s_or_b32 exec_lo, exec_lo, s43
	s_and_saveexec_b32 s43, s9
	s_cbranch_execz .LBB84_73
.LBB84_89:                              ;   in Loop: Header=BB84_63 Depth=1
	v_mov_b32_e32 v8, s36
	ds_load_b32 v8, v8
	s_waitcnt lgkmcnt(0)
	v_add_nc_u32_e32 v7, v8, v7
	s_or_b32 exec_lo, exec_lo, s43
	s_and_saveexec_b32 s43, s10
	s_cbranch_execz .LBB84_74
.LBB84_90:                              ;   in Loop: Header=BB84_63 Depth=1
	v_mov_b32_e32 v8, s37
	ds_load_b32 v8, v8
	s_waitcnt lgkmcnt(0)
	v_add_nc_u32_e32 v7, v8, v7
	s_or_b32 exec_lo, exec_lo, s43
	s_and_saveexec_b32 s43, s11
	s_cbranch_execz .LBB84_75
.LBB84_91:                              ;   in Loop: Header=BB84_63 Depth=1
	v_mov_b32_e32 v8, s39
	ds_load_b32 v8, v8
	s_waitcnt lgkmcnt(0)
	v_add_nc_u32_e32 v7, v8, v7
	s_or_b32 exec_lo, exec_lo, s43
	s_and_saveexec_b32 s43, s12
	s_cbranch_execz .LBB84_76
.LBB84_92:                              ;   in Loop: Header=BB84_63 Depth=1
	v_mov_b32_e32 v8, s40
	ds_load_b32 v8, v8
	s_waitcnt lgkmcnt(0)
	v_add_nc_u32_e32 v7, v8, v7
	s_or_b32 exec_lo, exec_lo, s43
	s_and_saveexec_b32 s43, s13
	s_cbranch_execz .LBB84_77
.LBB84_93:                              ;   in Loop: Header=BB84_63 Depth=1
	v_mov_b32_e32 v8, s41
	ds_load_b32 v8, v8
	s_waitcnt lgkmcnt(0)
	v_add_nc_u32_e32 v7, v8, v7
	s_or_b32 exec_lo, exec_lo, s43
	s_and_saveexec_b32 s43, s14
	s_cbranch_execz .LBB84_78
.LBB84_94:                              ;   in Loop: Header=BB84_63 Depth=1
	v_mov_b32_e32 v8, s42
	ds_load_b32 v8, v8
	s_waitcnt lgkmcnt(0)
	v_add_nc_u32_e32 v7, v8, v7
	s_or_b32 exec_lo, exec_lo, s43
	s_and_saveexec_b32 s43, s15
	s_cbranch_execz .LBB84_79
.LBB84_95:                              ;   in Loop: Header=BB84_63 Depth=1
	scratch_load_b128 v[8:11], off, off
	v_add3_u32 v12, v4, -1, v7
	s_delay_alu instid0(VALU_DEP_1) | instskip(SKIP_1) | instid1(VALU_DEP_2)
	v_lshlrev_b32_e32 v13, 4, v12
	v_lshl_add_u32 v12, v12, 2, 0
	v_add3_u32 v13, 0, v13, 0x20000
	ds_store_b32 v12, v6
	s_waitcnt vmcnt(0)
	ds_store_2addr_b64 v13, v[8:9], v[10:11] offset1:1
	s_or_b32 exec_lo, exec_lo, s43
	s_and_saveexec_b32 s15, vcc_lo
	s_cbranch_execz .LBB84_62
.LBB84_96:                              ;   in Loop: Header=BB84_63 Depth=1
	v_mov_b32_e32 v6, s38
	ds_store_b32 v6, v7
	s_branch .LBB84_62
.LBB84_97:
	s_or_b32 exec_lo, exec_lo, s16
	s_ashr_i32 s35, s34, 31
	s_mov_b32 s3, exec_lo
	s_lshl_b64 s[0:1], s[34:35], 2
	s_delay_alu instid0(SALU_CYCLE_1) | instskip(SKIP_4) | instid1(SALU_CYCLE_1)
	s_add_u32 s0, s22, s0
	s_addc_u32 s1, s23, s1
	s_load_b64 s[0:1], s[0:1], 0x0
	s_waitcnt lgkmcnt(0)
	s_sub_i32 s2, s1, s0
	v_cmpx_gt_i32_e64 s2, v0
	s_cbranch_execz .LBB84_107
; %bb.98:
	s_sub_i32 s3, s0, s26
	s_sub_i32 s0, s0, s1
	s_and_b32 s1, s2, 7
	s_cmp_lt_u32 s0, -7
	s_mov_b32 s7, 0
	s_cselect_b32 s4, -1, 0
	s_and_b32 s5, s2, -8
	s_cmp_lg_u32 s1, 0
	s_cselect_b32 s6, -1, 0
	s_branch .LBB84_100
.LBB84_99:                              ;   in Loop: Header=BB84_100 Depth=1
	v_lshlrev_b32_e32 v2, 4, v0
	v_add_nc_u32_e32 v0, 0x400, v0
	s_waitcnt lgkmcnt(0)
	v_add_nc_u32_e32 v3, s26, v3
	s_delay_alu instid0(VALU_DEP_3) | instskip(SKIP_4) | instid1(VALU_DEP_2)
	v_add3_u32 v4, 0, v2, 0x20000
	v_ashrrev_i32_e32 v2, 31, v1
	ds_load_2addr_b64 v[4:7], v4 offset1:1
	v_lshlrev_b64 v[8:9], 2, v[1:2]
	v_lshlrev_b64 v[1:2], 4, v[1:2]
	v_add_co_u32 v8, vcc_lo, s28, v8
	s_delay_alu instid0(VALU_DEP_3) | instskip(SKIP_1) | instid1(VALU_DEP_4)
	v_add_co_ci_u32_e32 v9, vcc_lo, s29, v9, vcc_lo
	v_cmp_le_i32_e32 vcc_lo, s2, v0
	v_add_co_u32 v1, s0, s30, v1
	s_delay_alu instid0(VALU_DEP_1)
	v_add_co_ci_u32_e64 v2, s0, s31, v2, s0
	s_or_b32 s7, vcc_lo, s7
	global_store_b32 v[8:9], v3, off
	s_waitcnt lgkmcnt(0)
	global_store_b128 v[1:2], v[4:7], off
	s_and_not1_b32 exec_lo, exec_lo, s7
	s_cbranch_execz .LBB84_107
.LBB84_100:                             ; =>This Loop Header: Depth=1
                                        ;     Child Loop BB84_102 Depth 2
                                        ;     Child Loop BB84_106 Depth 2
	v_lshl_add_u32 v1, v0, 2, 0
	s_and_not1_b32 vcc_lo, exec_lo, s4
	s_mov_b32 s0, 0
	ds_load_b32 v3, v1
	v_mov_b32_e32 v1, s3
	s_cbranch_vccnz .LBB84_104
; %bb.101:                              ;   in Loop: Header=BB84_100 Depth=1
	v_mov_b32_e32 v1, s3
	s_mov_b32 s8, 0
	s_set_inst_prefetch_distance 0x1
	.p2align	6
.LBB84_102:                             ;   Parent Loop BB84_100 Depth=1
                                        ; =>  This Inner Loop Header: Depth=2
	v_mov_b32_e32 v2, s8
	s_add_i32 s0, s0, 8
	s_add_i32 s8, s8, 32
	s_cmp_eq_u32 s5, s0
	ds_load_2addr_b32 v[4:5], v2 offset1:1
	ds_load_2addr_b32 v[6:7], v2 offset0:2 offset1:3
	ds_load_2addr_b32 v[8:9], v2 offset0:4 offset1:5
	;; [unrolled: 1-line block ×3, first 2 shown]
	s_waitcnt lgkmcnt(3)
	v_cmp_gt_i32_e32 vcc_lo, v3, v4
	v_cndmask_b32_e64 v2, 0, 1, vcc_lo
	s_waitcnt lgkmcnt(2)
	v_cmp_gt_i32_e32 vcc_lo, v3, v6
	v_cndmask_b32_e64 v4, 0, 1, vcc_lo
	v_cmp_gt_i32_e32 vcc_lo, v3, v5
	v_add_co_ci_u32_e32 v1, vcc_lo, v1, v2, vcc_lo
	s_waitcnt lgkmcnt(1)
	v_cmp_gt_i32_e32 vcc_lo, v3, v8
	v_cndmask_b32_e64 v2, 0, 1, vcc_lo
	v_cmp_gt_i32_e32 vcc_lo, v3, v7
	v_add_co_ci_u32_e32 v1, vcc_lo, v1, v4, vcc_lo
	;; [unrolled: 5-line block ×3, first 2 shown]
	v_cmp_gt_i32_e32 vcc_lo, v3, v11
	s_delay_alu instid0(VALU_DEP_2)
	v_add_co_ci_u32_e32 v1, vcc_lo, v1, v4, vcc_lo
	s_cbranch_scc0 .LBB84_102
; %bb.103:                              ;   in Loop: Header=BB84_100 Depth=1
	s_set_inst_prefetch_distance 0x2
	s_mov_b32 s0, s5
.LBB84_104:                             ;   in Loop: Header=BB84_100 Depth=1
	s_and_not1_b32 vcc_lo, exec_lo, s6
	s_cbranch_vccnz .LBB84_99
; %bb.105:                              ;   in Loop: Header=BB84_100 Depth=1
	s_lshl_b32 s0, s0, 2
	s_mov_b32 s8, s1
	s_add_i32 s0, s0, 0
.LBB84_106:                             ;   Parent Loop BB84_100 Depth=1
                                        ; =>  This Inner Loop Header: Depth=2
	s_delay_alu instid0(SALU_CYCLE_1)
	v_mov_b32_e32 v2, s0
	s_add_i32 s8, s8, -1
	s_add_i32 s0, s0, 4
	s_cmp_lg_u32 s8, 0
	ds_load_b32 v2, v2
	s_waitcnt lgkmcnt(0)
	v_cmp_gt_i32_e32 vcc_lo, v3, v2
	v_add_co_ci_u32_e32 v1, vcc_lo, 0, v1, vcc_lo
	s_cbranch_scc1 .LBB84_106
	s_branch .LBB84_99
.LBB84_107:
	s_nop 0
	s_sendmsg sendmsg(MSG_DEALLOC_VGPRS)
	s_endpgm
	.section	.rodata,"a",@progbits
	.p2align	6, 0x0
	.amdhsa_kernel _ZN9rocsparseL26csrgemm_fill_block_per_rowILj1024ELj64ELj32768ELj137ELj64Eii21rocsparse_complex_numIdEEEvT5_PKS3_S5_NS_24const_host_device_scalarIT6_EEPKT4_S5_PKS7_SB_S5_SD_S8_SB_S5_SD_SB_PS3_PS7_21rocsparse_index_base_SG_SG_SG_bbb
		.amdhsa_group_segment_fixed_size 0
		.amdhsa_private_segment_fixed_size 40
		.amdhsa_kernarg_size 172
		.amdhsa_user_sgpr_count 15
		.amdhsa_user_sgpr_dispatch_ptr 0
		.amdhsa_user_sgpr_queue_ptr 0
		.amdhsa_user_sgpr_kernarg_segment_ptr 1
		.amdhsa_user_sgpr_dispatch_id 0
		.amdhsa_user_sgpr_private_segment_size 0
		.amdhsa_wavefront_size32 1
		.amdhsa_uses_dynamic_stack 0
		.amdhsa_enable_private_segment 1
		.amdhsa_system_sgpr_workgroup_id_x 1
		.amdhsa_system_sgpr_workgroup_id_y 0
		.amdhsa_system_sgpr_workgroup_id_z 0
		.amdhsa_system_sgpr_workgroup_info 0
		.amdhsa_system_vgpr_workitem_id 0
		.amdhsa_next_free_vgpr 32
		.amdhsa_next_free_sgpr 48
		.amdhsa_reserve_vcc 1
		.amdhsa_float_round_mode_32 0
		.amdhsa_float_round_mode_16_64 0
		.amdhsa_float_denorm_mode_32 3
		.amdhsa_float_denorm_mode_16_64 3
		.amdhsa_dx10_clamp 1
		.amdhsa_ieee_mode 1
		.amdhsa_fp16_overflow 0
		.amdhsa_workgroup_processor_mode 1
		.amdhsa_memory_ordered 1
		.amdhsa_forward_progress 0
		.amdhsa_shared_vgpr_count 0
		.amdhsa_exception_fp_ieee_invalid_op 0
		.amdhsa_exception_fp_denorm_src 0
		.amdhsa_exception_fp_ieee_div_zero 0
		.amdhsa_exception_fp_ieee_overflow 0
		.amdhsa_exception_fp_ieee_underflow 0
		.amdhsa_exception_fp_ieee_inexact 0
		.amdhsa_exception_int_div_zero 0
	.end_amdhsa_kernel
	.section	.text._ZN9rocsparseL26csrgemm_fill_block_per_rowILj1024ELj64ELj32768ELj137ELj64Eii21rocsparse_complex_numIdEEEvT5_PKS3_S5_NS_24const_host_device_scalarIT6_EEPKT4_S5_PKS7_SB_S5_SD_S8_SB_S5_SD_SB_PS3_PS7_21rocsparse_index_base_SG_SG_SG_bbb,"axG",@progbits,_ZN9rocsparseL26csrgemm_fill_block_per_rowILj1024ELj64ELj32768ELj137ELj64Eii21rocsparse_complex_numIdEEEvT5_PKS3_S5_NS_24const_host_device_scalarIT6_EEPKT4_S5_PKS7_SB_S5_SD_S8_SB_S5_SD_SB_PS3_PS7_21rocsparse_index_base_SG_SG_SG_bbb,comdat
.Lfunc_end84:
	.size	_ZN9rocsparseL26csrgemm_fill_block_per_rowILj1024ELj64ELj32768ELj137ELj64Eii21rocsparse_complex_numIdEEEvT5_PKS3_S5_NS_24const_host_device_scalarIT6_EEPKT4_S5_PKS7_SB_S5_SD_S8_SB_S5_SD_SB_PS3_PS7_21rocsparse_index_base_SG_SG_SG_bbb, .Lfunc_end84-_ZN9rocsparseL26csrgemm_fill_block_per_rowILj1024ELj64ELj32768ELj137ELj64Eii21rocsparse_complex_numIdEEEvT5_PKS3_S5_NS_24const_host_device_scalarIT6_EEPKT4_S5_PKS7_SB_S5_SD_S8_SB_S5_SD_SB_PS3_PS7_21rocsparse_index_base_SG_SG_SG_bbb
                                        ; -- End function
	.section	.AMDGPU.csdata,"",@progbits
; Kernel info:
; codeLenInByte = 4316
; NumSgprs: 50
; NumVgprs: 32
; ScratchSize: 40
; MemoryBound: 0
; FloatMode: 240
; IeeeMode: 1
; LDSByteSize: 0 bytes/workgroup (compile time only)
; SGPRBlocks: 6
; VGPRBlocks: 3
; NumSGPRsForWavesPerEU: 50
; NumVGPRsForWavesPerEU: 32
; Occupancy: 16
; WaveLimiterHint : 1
; COMPUTE_PGM_RSRC2:SCRATCH_EN: 1
; COMPUTE_PGM_RSRC2:USER_SGPR: 15
; COMPUTE_PGM_RSRC2:TRAP_HANDLER: 0
; COMPUTE_PGM_RSRC2:TGID_X_EN: 1
; COMPUTE_PGM_RSRC2:TGID_Y_EN: 0
; COMPUTE_PGM_RSRC2:TGID_Z_EN: 0
; COMPUTE_PGM_RSRC2:TIDIG_COMP_CNT: 0
	.section	.text._ZN9rocsparseL36csrgemm_fill_block_per_row_multipassILj512ELj16ELj2048ELj32Eii21rocsparse_complex_numIdEEEvT4_PKS3_S5_NS_24const_host_device_scalarIT5_EEPKT3_S5_PKS7_SB_S5_SD_S8_SB_S5_SD_SB_PS3_PS7_PS9_21rocsparse_index_base_SH_SH_SH_bbb,"axG",@progbits,_ZN9rocsparseL36csrgemm_fill_block_per_row_multipassILj512ELj16ELj2048ELj32Eii21rocsparse_complex_numIdEEEvT4_PKS3_S5_NS_24const_host_device_scalarIT5_EEPKT3_S5_PKS7_SB_S5_SD_S8_SB_S5_SD_SB_PS3_PS7_PS9_21rocsparse_index_base_SH_SH_SH_bbb,comdat
	.globl	_ZN9rocsparseL36csrgemm_fill_block_per_row_multipassILj512ELj16ELj2048ELj32Eii21rocsparse_complex_numIdEEEvT4_PKS3_S5_NS_24const_host_device_scalarIT5_EEPKT3_S5_PKS7_SB_S5_SD_S8_SB_S5_SD_SB_PS3_PS7_PS9_21rocsparse_index_base_SH_SH_SH_bbb ; -- Begin function _ZN9rocsparseL36csrgemm_fill_block_per_row_multipassILj512ELj16ELj2048ELj32Eii21rocsparse_complex_numIdEEEvT4_PKS3_S5_NS_24const_host_device_scalarIT5_EEPKT3_S5_PKS7_SB_S5_SD_S8_SB_S5_SD_SB_PS3_PS7_PS9_21rocsparse_index_base_SH_SH_SH_bbb
	.p2align	8
	.type	_ZN9rocsparseL36csrgemm_fill_block_per_row_multipassILj512ELj16ELj2048ELj32Eii21rocsparse_complex_numIdEEEvT4_PKS3_S5_NS_24const_host_device_scalarIT5_EEPKT3_S5_PKS7_SB_S5_SD_S8_SB_S5_SD_SB_PS3_PS7_PS9_21rocsparse_index_base_SH_SH_SH_bbb,@function
_ZN9rocsparseL36csrgemm_fill_block_per_row_multipassILj512ELj16ELj2048ELj32Eii21rocsparse_complex_numIdEEEvT4_PKS3_S5_NS_24const_host_device_scalarIT5_EEPKT3_S5_PKS7_SB_S5_SD_S8_SB_S5_SD_SB_PS3_PS7_PS9_21rocsparse_index_base_SH_SH_SH_bbb: ; @_ZN9rocsparseL36csrgemm_fill_block_per_row_multipassILj512ELj16ELj2048ELj32Eii21rocsparse_complex_numIdEEEvT4_PKS3_S5_NS_24const_host_device_scalarIT5_EEPKT3_S5_PKS7_SB_S5_SD_S8_SB_S5_SD_SB_PS3_PS7_PS9_21rocsparse_index_base_SH_SH_SH_bbb
; %bb.0:
	s_clause 0x3
	s_load_b32 s5, s[2:3], 0xb0
	s_load_b256 s[16:23], s[2:3], 0x8
	s_load_b128 s[8:11], s[2:3], 0x58
	s_load_b128 s[28:31], s[2:3], 0xa0
	v_mov_b32_e32 v8, 0
	v_mov_b32_e32 v9, 0
	s_waitcnt lgkmcnt(0)
	s_bitcmp1_b32 s5, 0
	v_dual_mov_b32 v1, s20 :: v_dual_mov_b32 v2, s21
	s_cselect_b32 s52, -1, 0
	s_bitcmp1_b32 s5, 16
	v_dual_mov_b32 v11, v9 :: v_dual_mov_b32 v10, v8
	s_cselect_b32 s4, -1, 0
	v_dual_mov_b32 v13, v9 :: v_dual_mov_b32 v12, v8
	v_dual_mov_b32 v3, s8 :: v_dual_mov_b32 v4, s9
	s_xor_b32 s12, s4, -1
	s_bitcmp0_b32 s5, 0
	s_clause 0x1
	scratch_store_b64 off, v[1:2], off
	scratch_store_b64 off, v[3:4], off offset:8
	s_cbranch_scc1 .LBB85_3
; %bb.1:
	s_mov_b64 s[6:7], src_private_base
	s_and_b32 s6, s4, exec_lo
	s_cselect_b32 s6, s7, s21
	s_delay_alu instid0(SALU_CYCLE_1) | instskip(SKIP_2) | instid1(VALU_DEP_2)
	v_dual_mov_b32 v1, 0 :: v_dual_mov_b32 v2, s6
	v_dual_mov_b32 v12, s22 :: v_dual_mov_b32 v13, s23
	s_and_not1_b32 vcc_lo, exec_lo, s12
	v_cndmask_b32_e64 v1, s20, v1, s4
	flat_load_b64 v[10:11], v[1:2]
	s_cbranch_vccnz .LBB85_3
; %bb.2:
	v_dual_mov_b32 v1, s20 :: v_dual_mov_b32 v2, s21
	flat_load_b64 v[12:13], v[1:2] offset:8
.LBB85_3:
	s_load_b64 s[6:7], s[2:3], 0x28
	s_bitcmp1_b32 s5, 8
	v_dual_mov_b32 v15, v9 :: v_dual_mov_b32 v14, v8
	s_cselect_b32 s33, -1, 0
	s_bfe_u32 s5, s5, 0x10008
	s_delay_alu instid0(SALU_CYCLE_1)
	s_cmp_eq_u32 s5, 0
	s_cbranch_scc1 .LBB85_6
; %bb.4:
	s_mov_b64 s[20:21], src_private_base
	s_and_b32 s5, s4, exec_lo
	s_cselect_b32 s5, s21, s9
	s_delay_alu instid0(SALU_CYCLE_1) | instskip(SKIP_2) | instid1(VALU_DEP_2)
	v_dual_mov_b32 v1, 8 :: v_dual_mov_b32 v2, s5
	v_dual_mov_b32 v8, s10 :: v_dual_mov_b32 v9, s11
	s_and_not1_b32 vcc_lo, exec_lo, s12
	v_cndmask_b32_e64 v1, s8, v1, s4
	flat_load_b64 v[14:15], v[1:2]
	s_cbranch_vccnz .LBB85_6
; %bb.5:
	v_dual_mov_b32 v1, s8 :: v_dual_mov_b32 v2, s9
	flat_load_b64 v[8:9], v[1:2] offset:8
.LBB85_6:
	s_load_b32 s4, s[16:17], 0x0
	s_mov_b32 s35, 0
	s_mov_b32 s8, 0
	s_waitcnt lgkmcnt(0)
	s_add_i32 s34, s4, s15
	s_delay_alu instid0(SALU_CYCLE_1) | instskip(NEXT) | instid1(SALU_CYCLE_1)
	s_lshl_b64 s[4:5], s[34:35], 2
	s_add_u32 s4, s18, s4
	s_addc_u32 s5, s19, s5
	s_and_not1_b32 vcc_lo, exec_lo, s52
	s_load_b32 s4, s[4:5], 0x0
	s_cbranch_vccz .LBB85_9
; %bb.7:
	s_and_not1_b32 vcc_lo, exec_lo, s52
	s_cbranch_vccz .LBB85_10
.LBB85_8:
	s_load_b32 s34, s[2:3], 0x0
	s_waitcnt lgkmcnt(0)
	s_cmp_lt_i32 s34, 1
	s_cbranch_scc0 .LBB85_11
	s_branch .LBB85_72
.LBB85_9:
	s_waitcnt lgkmcnt(0)
	s_ashr_i32 s5, s4, 31
	s_delay_alu instid0(SALU_CYCLE_1) | instskip(NEXT) | instid1(SALU_CYCLE_1)
	s_lshl_b64 s[8:9], s[4:5], 2
	s_add_u32 s8, s6, s8
	s_addc_u32 s9, s7, s9
	s_load_b32 s5, s[8:9], 0x0
	s_waitcnt lgkmcnt(0)
	s_sub_i32 s8, s5, s28
	s_and_not1_b32 vcc_lo, exec_lo, s52
	s_cbranch_vccnz .LBB85_8
.LBB85_10:
	s_waitcnt lgkmcnt(0)
	s_ashr_i32 s5, s4, 31
	s_delay_alu instid0(SALU_CYCLE_1) | instskip(NEXT) | instid1(SALU_CYCLE_1)
	s_lshl_b64 s[10:11], s[4:5], 2
	s_add_u32 s6, s6, s10
	s_addc_u32 s7, s7, s11
	s_load_b32 s5, s[6:7], 0x4
	s_waitcnt lgkmcnt(0)
	s_sub_i32 s35, s5, s28
	s_load_b32 s34, s[2:3], 0x0
	s_waitcnt lgkmcnt(0)
	s_cmp_lt_i32 s34, 1
	s_cbranch_scc1 .LBB85_72
.LBB85_11:
	v_mbcnt_lo_u32_b32 v2, -1, 0
	s_load_b64 s[6:7], s[0:1], 0x4
	s_clause 0x4
	s_load_b256 s[20:27], s[2:3], 0x68
	s_load_b64 s[48:49], s[2:3], 0x98
	s_load_b128 s[44:47], s[2:3], 0x88
	s_load_b64 s[50:51], s[2:3], 0x50
	s_load_b256 s[36:43], s[2:3], 0x30
	s_ashr_i32 s5, s4, 31
	v_bfe_u32 v1, v0, 10, 10
	s_lshl_b64 s[2:3], s[4:5], 2
	v_xor_b32_e32 v4, 8, v2
	v_xor_b32_e32 v5, 4, v2
	;; [unrolled: 1-line block ×5, first 2 shown]
	v_cmp_gt_i32_e32 vcc_lo, 32, v4
	v_mov_b32_e32 v43, 1
	v_mov_b32_e32 v45, 0x800
	s_delay_alu instid0(VALU_DEP_4)
	v_lshrrev_b64 v[16:17], v16, -1
	v_cndmask_b32_e32 v4, v2, v4, vcc_lo
	v_cmp_gt_i32_e32 vcc_lo, 32, v5
	v_and_b32_e32 v30, 0x3ff, v0
	s_waitcnt lgkmcnt(0)
	s_lshr_b32 s1, s6, 16
	s_add_u32 s4, s26, s2
	s_addc_u32 s5, s27, s3
	v_cndmask_b32_e32 v5, v2, v5, vcc_lo
	v_lshrrev_b32_e32 v3, 4, v30
	s_load_b32 s4, s[4:5], 0x0
	s_mul_i32 s5, s1, s7
	v_cmp_gt_i32_e32 vcc_lo, 32, v6
	v_bfe_u32 v0, v0, 20, 10
	v_add_nc_u32_e32 v33, s8, v3
	v_mul_lo_u32 v3, s5, v30
	v_mul_u32_u24_e32 v1, s7, v1
	v_cndmask_b32_e32 v6, v2, v6, vcc_lo
	v_cmp_gt_i32_e32 vcc_lo, 32, v7
	v_and_b32_e32 v31, 15, v30
	v_lshrrev_b32_e32 v18, 3, v30
	v_lshlrev_b32_e32 v35, 2, v5
	v_cmp_eq_u32_e64 s0, 0, v30
	v_add3_u32 v0, v3, v1, v0
	v_dual_cndmask_b32 v1, v2, v7 :: v_dual_lshlrev_b32 v34, 2, v4
	v_cmp_gt_i32_e32 vcc_lo, s35, v33
	v_subrev_nc_u32_e32 v32, s31, v30
	s_delay_alu instid0(VALU_DEP_4)
	v_lshl_add_u32 v36, v0, 4, 0x8808
	v_mov_b32_e32 v0, 0
	s_waitcnt lgkmcnt(0)
	s_sub_i32 s18, s4, s30
	s_add_u32 s26, s20, s2
	v_cmp_eq_u32_e64 s1, 15, v31
	s_addc_u32 s27, s21, s3
	v_dual_mov_b32 v42, s18 :: v_dual_lshlrev_b32 v37, 2, v6
	v_lshlrev_b32_e32 v38, 2, v1
	v_dual_mov_b32 v2, v0 :: v_dual_and_b32 v39, 60, v18
	v_cmp_eq_u32_e64 s2, 0x1ff, v30
	v_cmp_gt_u32_e64 s3, 32, v30
	v_cmp_gt_u32_e64 s4, 64, v30
	v_cmp_gt_u32_e64 s5, 0x60, v30
	v_cmp_gt_u32_e64 s6, 0x80, v30
	v_cmp_gt_u32_e64 s7, 0xa0, v30
	v_cmp_gt_u32_e64 s8, 0xc0, v30
	v_cmp_gt_u32_e64 s9, 0xe0, v30
	v_cmp_gt_u32_e64 s10, 0x100, v30
	v_cmp_gt_u32_e64 s11, 0x120, v30
	v_cmp_gt_u32_e64 s12, 0x140, v30
	v_cmp_gt_u32_e64 s13, 0x160, v30
	v_cmp_gt_u32_e64 s14, 0x180, v30
	v_cmp_gt_u32_e64 s15, 0x1a0, v30
	v_cmp_gt_u32_e64 s16, 0x1c0, v30
	v_cmp_gt_u32_e64 s17, 0x1e0, v30
	v_or_b32_e32 v40, 0xfffffe00, v30
	v_dual_mov_b32 v44, v0 :: v_dual_lshlrev_b32 v41, 4, v30
	v_mov_b32_e32 v1, v0
	v_mov_b32_e32 v3, v0
	s_and_b32 s21, s52, vcc_lo
	s_add_u32 s52, s40, 4
	s_addc_u32 s53, s41, 0
	s_branch .LBB85_13
.LBB85_12:                              ;   in Loop: Header=BB85_13 Depth=1
	s_or_b32 exec_lo, exec_lo, s18
	ds_load_b32 v44, v0 offset:34816
	s_waitcnt lgkmcnt(0)
	s_barrier
	buffer_gl0_inv
	v_cmp_le_i32_e32 vcc_lo, s34, v44
	v_add_nc_u32_e32 v45, 0x800, v44
	s_cbranch_vccnz .LBB85_72
.LBB85_13:                              ; =>This Loop Header: Depth=1
                                        ;     Child Loop BB85_14 Depth 2
                                        ;     Child Loop BB85_20 Depth 2
                                        ;       Child Loop BB85_26 Depth 3
                                        ;         Child Loop BB85_30 Depth 4
                                        ;         Child Loop BB85_32 Depth 4
                                        ;     Child Loop BB85_47 Depth 2
                                        ;       Child Loop BB85_51 Depth 3
                                        ;       Child Loop BB85_53 Depth 3
                                        ;     Child Loop BB85_63 Depth 2
                                        ;     Child Loop BB85_68 Depth 2
	v_dual_mov_b32 v4, v41 :: v_dual_mov_b32 v5, v40
	s_mov_b32 s18, 0
.LBB85_14:                              ;   Parent Loop BB85_13 Depth=1
                                        ; =>  This Inner Loop Header: Depth=2
	ds_store_b8 v5, v0 offset:33280
	v_add_nc_u32_e32 v5, 0x200, v5
	ds_store_b128 v4, v[0:3]
	v_add_nc_u32_e32 v4, 0x2000, v4
	v_cmp_lt_u32_e32 vcc_lo, 0x5ff, v5
	s_or_b32 s18, vcc_lo, s18
	s_delay_alu instid0(SALU_CYCLE_1)
	s_and_not1_b32 exec_lo, exec_lo, s18
	s_cbranch_execnz .LBB85_14
; %bb.15:                               ;   in Loop: Header=BB85_13 Depth=1
	s_or_b32 exec_lo, exec_lo, s18
	s_and_saveexec_b32 s18, s0
	s_cbranch_execz .LBB85_17
; %bb.16:                               ;   in Loop: Header=BB85_13 Depth=1
	v_mov_b32_e32 v4, s34
	ds_store_b32 v0, v4 offset:34816
.LBB85_17:                              ;   in Loop: Header=BB85_13 Depth=1
	s_or_b32 exec_lo, exec_lo, s18
	v_mov_b32_e32 v46, s34
	s_waitcnt vmcnt(0) lgkmcnt(0)
	s_waitcnt_vscnt null, 0x0
	s_barrier
	buffer_gl0_inv
	s_and_saveexec_b32 s54, s21
	s_cbranch_execz .LBB85_43
; %bb.18:                               ;   in Loop: Header=BB85_13 Depth=1
	v_cmp_ne_u32_e64 s18, 0, v44
	v_dual_mov_b32 v46, s34 :: v_dual_mov_b32 v17, v33
	s_mov_b32 s55, 0
	s_branch .LBB85_20
.LBB85_19:                              ;   in Loop: Header=BB85_20 Depth=2
	s_or_b32 exec_lo, exec_lo, s19
	v_add_nc_u32_e32 v17, 32, v17
	s_delay_alu instid0(VALU_DEP_1) | instskip(SKIP_1) | instid1(SALU_CYCLE_1)
	v_cmp_le_i32_e32 vcc_lo, s35, v17
	s_or_b32 s55, vcc_lo, s55
	s_and_not1_b32 exec_lo, exec_lo, s55
	s_cbranch_execz .LBB85_42
.LBB85_20:                              ;   Parent Loop BB85_13 Depth=1
                                        ; =>  This Loop Header: Depth=2
                                        ;       Child Loop BB85_26 Depth 3
                                        ;         Child Loop BB85_30 Depth 4
                                        ;         Child Loop BB85_32 Depth 4
	s_delay_alu instid0(VALU_DEP_1) | instskip(NEXT) | instid1(VALU_DEP_1)
	v_ashrrev_i32_e32 v18, 31, v17
	v_lshlrev_b64 v[19:20], 2, v[17:18]
	v_lshlrev_b64 v[6:7], 4, v[17:18]
	s_delay_alu instid0(VALU_DEP_2) | instskip(SKIP_1) | instid1(VALU_DEP_3)
	v_add_co_u32 v4, vcc_lo, s36, v19
	s_waitcnt lgkmcnt(0)
	v_add_co_ci_u32_e32 v5, vcc_lo, s37, v20, vcc_lo
	global_load_b32 v18, v[4:5], off
	v_add_co_u32 v4, vcc_lo, s38, v6
	v_add_co_ci_u32_e32 v5, vcc_lo, s39, v7, vcc_lo
	s_and_b32 vcc_lo, exec_lo, s18
	global_load_b128 v[4:7], v[4:5], off
	s_waitcnt vmcnt(1)
	v_subrev_nc_u32_e32 v21, s28, v18
	s_delay_alu instid0(VALU_DEP_1)
	v_ashrrev_i32_e32 v22, 31, v21
	s_cbranch_vccz .LBB85_41
; %bb.21:                               ;   in Loop: Header=BB85_20 Depth=2
	v_add_co_u32 v23, vcc_lo, s48, v19
	v_add_co_ci_u32_e32 v24, vcc_lo, s49, v20, vcc_lo
	global_load_b32 v18, v[23:24], off
	s_cbranch_execnz .LBB85_23
.LBB85_22:                              ;   in Loop: Header=BB85_20 Depth=2
	s_delay_alu instid0(VALU_DEP_1) | instskip(NEXT) | instid1(VALU_DEP_1)
	v_lshlrev_b64 v[23:24], 2, v[21:22]
	v_add_co_u32 v23, vcc_lo, s40, v23
	s_delay_alu instid0(VALU_DEP_2)
	v_add_co_ci_u32_e32 v24, vcc_lo, s41, v24, vcc_lo
	global_load_b32 v18, v[23:24], off
	s_waitcnt vmcnt(0)
	v_subrev_nc_u32_e32 v18, s29, v18
.LBB85_23:                              ;   in Loop: Header=BB85_20 Depth=2
	v_lshlrev_b64 v[21:22], 2, v[21:22]
	s_waitcnt vmcnt(0)
	s_delay_alu instid0(VALU_DEP_2) | instskip(SKIP_1) | instid1(VALU_DEP_2)
	v_add_nc_u32_e32 v18, v18, v31
	s_mov_b32 s56, exec_lo
	v_add_co_u32 v21, vcc_lo, s52, v21
	s_delay_alu instid0(VALU_DEP_3) | instskip(SKIP_3) | instid1(VALU_DEP_1)
	v_add_co_ci_u32_e32 v22, vcc_lo, s53, v22, vcc_lo
	global_load_b32 v21, v[21:22], off
	s_waitcnt vmcnt(0)
	v_subrev_nc_u32_e32 v47, s29, v21
	v_cmpx_lt_i32_e64 v18, v47
	s_cbranch_execz .LBB85_39
; %bb.24:                               ;   in Loop: Header=BB85_20 Depth=2
	v_mul_f64 v[21:22], v[6:7], -v[12:13]
	v_mul_f64 v[6:7], v[10:11], v[6:7]
	v_mov_b32_e32 v25, v18
	s_mov_b32 s58, 0
                                        ; implicit-def: $sgpr57
                                        ; implicit-def: $sgpr59
	s_delay_alu instid0(VALU_DEP_3) | instskip(NEXT) | instid1(VALU_DEP_3)
	v_fma_f64 v[21:22], v[10:11], v[4:5], v[21:22]
	v_fma_f64 v[23:24], v[12:13], v[4:5], v[6:7]
	s_branch .LBB85_26
.LBB85_25:                              ;   in Loop: Header=BB85_26 Depth=3
	s_or_b32 exec_lo, exec_lo, s20
	s_delay_alu instid0(SALU_CYCLE_1) | instskip(SKIP_4) | instid1(SALU_CYCLE_1)
	s_and_b32 s19, exec_lo, s60
	v_mov_b32_e32 v25, v5
	s_or_b32 s58, s19, s58
	s_and_not1_b32 s19, s57, exec_lo
	s_and_b32 s20, s59, exec_lo
	s_or_b32 s57, s19, s20
	s_and_not1_b32 exec_lo, exec_lo, s58
	s_cbranch_execz .LBB85_36
.LBB85_26:                              ;   Parent Loop BB85_13 Depth=1
                                        ;     Parent Loop BB85_20 Depth=2
                                        ; =>    This Loop Header: Depth=3
                                        ;         Child Loop BB85_30 Depth 4
                                        ;         Child Loop BB85_32 Depth 4
	v_ashrrev_i32_e32 v26, 31, v25
	s_delay_alu instid0(VALU_DEP_1) | instskip(NEXT) | instid1(VALU_DEP_1)
	v_lshlrev_b64 v[4:5], 2, v[25:26]
	v_add_co_u32 v4, vcc_lo, s42, v4
	s_delay_alu instid0(VALU_DEP_2) | instskip(SKIP_3) | instid1(VALU_DEP_1)
	v_add_co_ci_u32_e32 v5, vcc_lo, s43, v5, vcc_lo
	global_load_b32 v4, v[4:5], off
	s_waitcnt vmcnt(0)
	v_subrev_nc_u32_e32 v48, s29, v4
	v_cmp_lt_i32_e64 s19, v48, v44
	v_cmp_ge_i32_e64 s20, v48, v45
	v_cmp_lt_i32_e32 vcc_lo, v48, v45
	s_delay_alu instid0(VALU_DEP_2) | instskip(SKIP_2) | instid1(SALU_CYCLE_1)
	s_or_b32 s60, s19, s20
	s_mov_b32 s19, 0
                                        ; implicit-def: $sgpr20
	s_and_saveexec_b32 s61, s60
	s_xor_b32 s60, exec_lo, s61
; %bb.27:                               ;   in Loop: Header=BB85_26 Depth=3
	s_mov_b32 s20, -1
	s_and_b32 s19, vcc_lo, exec_lo
; %bb.28:                               ;   in Loop: Header=BB85_26 Depth=3
	s_and_not1_saveexec_b32 s60, s60
	s_cbranch_execz .LBB85_34
; %bb.29:                               ;   in Loop: Header=BB85_26 Depth=3
	v_lshlrev_b64 v[4:5], 4, v[25:26]
	v_sub_nc_u32_e32 v28, v48, v44
	s_mov_b32 s61, 0
	s_delay_alu instid0(VALU_DEP_1) | instskip(NEXT) | instid1(VALU_DEP_3)
	v_lshlrev_b32_e32 v49, 4, v28
	v_add_co_u32 v4, vcc_lo, s50, v4
	s_delay_alu instid0(VALU_DEP_4)
	v_add_co_ci_u32_e32 v5, vcc_lo, s51, v5, vcc_lo
	ds_store_b8 v28, v43 offset:32768
	ds_load_b64 v[28:29], v49
	global_load_b128 v[4:7], v[4:5], off
	s_waitcnt vmcnt(0)
	v_mul_f64 v[26:27], v[6:7], -v[23:24]
	s_delay_alu instid0(VALU_DEP_1)
	v_fma_f64 v[26:27], v[21:22], v[4:5], v[26:27]
.LBB85_30:                              ;   Parent Loop BB85_13 Depth=1
                                        ;     Parent Loop BB85_20 Depth=2
                                        ;       Parent Loop BB85_26 Depth=3
                                        ; =>      This Inner Loop Header: Depth=4
	s_waitcnt lgkmcnt(0)
	s_delay_alu instid0(VALU_DEP_1)
	v_add_f64 v[50:51], v[28:29], v[26:27]
	ds_cmpstore_rtn_b64 v[50:51], v49, v[50:51], v[28:29]
	s_waitcnt lgkmcnt(0)
	v_cmp_eq_u64_e32 vcc_lo, v[50:51], v[28:29]
	v_dual_mov_b32 v28, v50 :: v_dual_mov_b32 v29, v51
	s_or_b32 s61, vcc_lo, s61
	s_delay_alu instid0(SALU_CYCLE_1)
	s_and_not1_b32 exec_lo, exec_lo, s61
	s_cbranch_execnz .LBB85_30
; %bb.31:                               ;   in Loop: Header=BB85_26 Depth=3
	s_or_b32 exec_lo, exec_lo, s61
	v_mul_f64 v[6:7], v[21:22], v[6:7]
	s_mov_b32 s61, 0
	s_delay_alu instid0(VALU_DEP_1)
	v_fma_f64 v[4:5], v[23:24], v[4:5], v[6:7]
	ds_load_b64 v[6:7], v49 offset:8
.LBB85_32:                              ;   Parent Loop BB85_13 Depth=1
                                        ;     Parent Loop BB85_20 Depth=2
                                        ;       Parent Loop BB85_26 Depth=3
                                        ; =>      This Inner Loop Header: Depth=4
	s_waitcnt lgkmcnt(0)
	v_add_f64 v[26:27], v[6:7], v[4:5]
	ds_cmpstore_rtn_b64 v[26:27], v49, v[26:27], v[6:7] offset:8
	s_waitcnt lgkmcnt(0)
	v_cmp_eq_u64_e32 vcc_lo, v[26:27], v[6:7]
	v_dual_mov_b32 v6, v26 :: v_dual_mov_b32 v7, v27
	s_or_b32 s61, vcc_lo, s61
	s_delay_alu instid0(SALU_CYCLE_1)
	s_and_not1_b32 exec_lo, exec_lo, s61
	s_cbranch_execnz .LBB85_32
; %bb.33:                               ;   in Loop: Header=BB85_26 Depth=3
	s_or_b32 exec_lo, exec_lo, s61
	s_delay_alu instid0(SALU_CYCLE_1)
	s_or_b32 s19, s19, exec_lo
.LBB85_34:                              ;   in Loop: Header=BB85_26 Depth=3
	s_or_b32 exec_lo, exec_lo, s60
	v_mov_b32_e32 v4, v25
	s_and_not1_b32 s59, s59, exec_lo
	s_and_b32 s20, s20, exec_lo
	s_mov_b32 s60, -1
	s_or_b32 s59, s59, s20
                                        ; implicit-def: $vgpr5
	s_and_saveexec_b32 s20, s19
	s_cbranch_execz .LBB85_25
; %bb.35:                               ;   in Loop: Header=BB85_26 Depth=3
	v_dual_mov_b32 v4, v25 :: v_dual_add_nc_u32 v5, 16, v25
	s_and_not1_b32 s59, s59, exec_lo
	s_delay_alu instid0(VALU_DEP_1)
	v_cmp_ge_i32_e32 vcc_lo, v5, v47
	s_or_not1_b32 s60, vcc_lo, exec_lo
	s_branch .LBB85_25
.LBB85_36:                              ;   in Loop: Header=BB85_20 Depth=2
	s_or_b32 exec_lo, exec_lo, s58
	s_and_saveexec_b32 s19, s57
	s_delay_alu instid0(SALU_CYCLE_1)
	s_xor_b32 s19, exec_lo, s19
; %bb.37:                               ;   in Loop: Header=BB85_20 Depth=2
	v_min_i32_e32 v46, v48, v46
	v_mov_b32_e32 v18, v4
; %bb.38:                               ;   in Loop: Header=BB85_20 Depth=2
	s_or_b32 exec_lo, exec_lo, s19
.LBB85_39:                              ;   in Loop: Header=BB85_20 Depth=2
	s_delay_alu instid0(SALU_CYCLE_1)
	s_or_b32 exec_lo, exec_lo, s56
	ds_bpermute_b32 v4, v34, v18
	s_waitcnt lgkmcnt(0)
	v_min_i32_e32 v4, v4, v18
	ds_bpermute_b32 v5, v35, v4
	s_waitcnt lgkmcnt(0)
	v_min_i32_e32 v4, v5, v4
	;; [unrolled: 3-line block ×3, first 2 shown]
	ds_bpermute_b32 v5, v38, v4
	s_and_saveexec_b32 s19, s1
	s_cbranch_execz .LBB85_19
; %bb.40:                               ;   in Loop: Header=BB85_20 Depth=2
	s_waitcnt lgkmcnt(0)
	v_min_i32_e32 v6, v5, v4
	v_add_co_u32 v4, vcc_lo, s48, v19
	v_add_co_ci_u32_e32 v5, vcc_lo, s49, v20, vcc_lo
	global_store_b32 v[4:5], v6, off
	s_branch .LBB85_19
.LBB85_41:                              ;   in Loop: Header=BB85_20 Depth=2
                                        ; implicit-def: $vgpr18
	s_branch .LBB85_22
.LBB85_42:                              ;   in Loop: Header=BB85_13 Depth=1
	s_or_b32 exec_lo, exec_lo, s55
.LBB85_43:                              ;   in Loop: Header=BB85_13 Depth=1
	s_delay_alu instid0(SALU_CYCLE_1) | instskip(NEXT) | instid1(SALU_CYCLE_1)
	s_or_b32 exec_lo, exec_lo, s54
	s_and_not1_b32 vcc_lo, exec_lo, s33
	s_cbranch_vccnz .LBB85_61
; %bb.44:                               ;   in Loop: Header=BB85_13 Depth=1
	s_load_b64 s[18:19], s[26:27], 0x0
	s_mov_b32 s20, exec_lo
	s_waitcnt lgkmcnt(0)
	v_add_nc_u32_e32 v17, s18, v32
	s_sub_i32 s54, s19, s31
	s_delay_alu instid0(VALU_DEP_1) | instid1(SALU_CYCLE_1)
	v_cmpx_gt_i32_e64 s54, v17
	s_cbranch_execz .LBB85_60
; %bb.45:                               ;   in Loop: Header=BB85_13 Depth=1
	s_mov_b32 s55, 0
                                        ; implicit-def: $sgpr56
                                        ; implicit-def: $sgpr57
	s_branch .LBB85_47
.LBB85_46:                              ;   in Loop: Header=BB85_47 Depth=2
	s_or_b32 exec_lo, exec_lo, s58
	s_delay_alu instid0(SALU_CYCLE_1) | instskip(NEXT) | instid1(SALU_CYCLE_1)
	s_and_b32 s18, exec_lo, s19
	s_or_b32 s55, s18, s55
	s_and_not1_b32 s18, s56, exec_lo
	s_and_b32 s19, s57, exec_lo
	s_delay_alu instid0(SALU_CYCLE_1)
	s_or_b32 s56, s18, s19
	s_and_not1_b32 exec_lo, exec_lo, s55
	s_cbranch_execz .LBB85_57
.LBB85_47:                              ;   Parent Loop BB85_13 Depth=1
                                        ; =>  This Loop Header: Depth=2
                                        ;       Child Loop BB85_51 Depth 3
                                        ;       Child Loop BB85_53 Depth 3
	v_ashrrev_i32_e32 v18, 31, v17
	s_delay_alu instid0(VALU_DEP_1) | instskip(NEXT) | instid1(VALU_DEP_1)
	v_lshlrev_b64 v[4:5], 2, v[17:18]
	v_add_co_u32 v4, vcc_lo, s22, v4
	s_delay_alu instid0(VALU_DEP_2) | instskip(SKIP_3) | instid1(VALU_DEP_1)
	v_add_co_ci_u32_e32 v5, vcc_lo, s23, v5, vcc_lo
	global_load_b32 v4, v[4:5], off
	s_waitcnt vmcnt(0)
	v_subrev_nc_u32_e32 v22, s31, v4
	v_cmp_lt_i32_e64 s18, v22, v44
	v_cmp_ge_i32_e64 s19, v22, v45
	v_cmp_lt_i32_e32 vcc_lo, v22, v45
	s_delay_alu instid0(VALU_DEP_2) | instskip(SKIP_2) | instid1(SALU_CYCLE_1)
	s_or_b32 s58, s18, s19
	s_mov_b32 s18, 0
                                        ; implicit-def: $sgpr19
	s_and_saveexec_b32 s59, s58
	s_xor_b32 s58, exec_lo, s59
; %bb.48:                               ;   in Loop: Header=BB85_47 Depth=2
	s_mov_b32 s19, -1
	s_and_b32 s18, vcc_lo, exec_lo
; %bb.49:                               ;   in Loop: Header=BB85_47 Depth=2
	s_and_not1_saveexec_b32 s58, s58
	s_cbranch_execz .LBB85_55
; %bb.50:                               ;   in Loop: Header=BB85_47 Depth=2
	v_lshlrev_b64 v[4:5], 4, v[17:18]
	v_sub_nc_u32_e32 v20, v22, v44
	s_mov_b32 s59, 0
	s_delay_alu instid0(VALU_DEP_1) | instskip(NEXT) | instid1(VALU_DEP_3)
	v_lshlrev_b32_e32 v23, 4, v20
	v_add_co_u32 v4, vcc_lo, s24, v4
	s_delay_alu instid0(VALU_DEP_4)
	v_add_co_ci_u32_e32 v5, vcc_lo, s25, v5, vcc_lo
	ds_store_b8 v20, v43 offset:32768
	ds_load_b64 v[20:21], v23
	global_load_b128 v[4:7], v[4:5], off
	s_waitcnt vmcnt(0)
	v_mul_f64 v[18:19], v[6:7], -v[8:9]
	s_delay_alu instid0(VALU_DEP_1)
	v_fma_f64 v[18:19], v[14:15], v[4:5], v[18:19]
.LBB85_51:                              ;   Parent Loop BB85_13 Depth=1
                                        ;     Parent Loop BB85_47 Depth=2
                                        ; =>    This Inner Loop Header: Depth=3
	s_waitcnt lgkmcnt(0)
	s_delay_alu instid0(VALU_DEP_1)
	v_add_f64 v[24:25], v[20:21], v[18:19]
	ds_cmpstore_rtn_b64 v[24:25], v23, v[24:25], v[20:21]
	s_waitcnt lgkmcnt(0)
	v_cmp_eq_u64_e32 vcc_lo, v[24:25], v[20:21]
	v_dual_mov_b32 v20, v24 :: v_dual_mov_b32 v21, v25
	s_or_b32 s59, vcc_lo, s59
	s_delay_alu instid0(SALU_CYCLE_1)
	s_and_not1_b32 exec_lo, exec_lo, s59
	s_cbranch_execnz .LBB85_51
; %bb.52:                               ;   in Loop: Header=BB85_47 Depth=2
	s_or_b32 exec_lo, exec_lo, s59
	v_mul_f64 v[6:7], v[14:15], v[6:7]
	s_mov_b32 s59, 0
	s_delay_alu instid0(VALU_DEP_1)
	v_fma_f64 v[4:5], v[8:9], v[4:5], v[6:7]
	ds_load_b64 v[6:7], v23 offset:8
.LBB85_53:                              ;   Parent Loop BB85_13 Depth=1
                                        ;     Parent Loop BB85_47 Depth=2
                                        ; =>    This Inner Loop Header: Depth=3
	s_waitcnt lgkmcnt(0)
	v_add_f64 v[18:19], v[6:7], v[4:5]
	ds_cmpstore_rtn_b64 v[18:19], v23, v[18:19], v[6:7] offset:8
	s_waitcnt lgkmcnt(0)
	v_cmp_eq_u64_e32 vcc_lo, v[18:19], v[6:7]
	v_dual_mov_b32 v6, v18 :: v_dual_mov_b32 v7, v19
	s_or_b32 s59, vcc_lo, s59
	s_delay_alu instid0(SALU_CYCLE_1)
	s_and_not1_b32 exec_lo, exec_lo, s59
	s_cbranch_execnz .LBB85_53
; %bb.54:                               ;   in Loop: Header=BB85_47 Depth=2
	s_or_b32 exec_lo, exec_lo, s59
	s_delay_alu instid0(SALU_CYCLE_1)
	s_or_b32 s18, s18, exec_lo
.LBB85_55:                              ;   in Loop: Header=BB85_47 Depth=2
	s_or_b32 exec_lo, exec_lo, s58
	s_delay_alu instid0(SALU_CYCLE_1)
	s_and_not1_b32 s57, s57, exec_lo
	s_and_b32 s58, s19, exec_lo
	s_mov_b32 s19, -1
	s_or_b32 s57, s57, s58
	s_and_saveexec_b32 s58, s18
	s_cbranch_execz .LBB85_46
; %bb.56:                               ;   in Loop: Header=BB85_47 Depth=2
	v_add_nc_u32_e32 v17, 0x200, v17
	s_and_not1_b32 s57, s57, exec_lo
	s_delay_alu instid0(VALU_DEP_1)
	v_cmp_le_i32_e32 vcc_lo, s54, v17
	s_or_not1_b32 s19, vcc_lo, exec_lo
	s_branch .LBB85_46
.LBB85_57:                              ;   in Loop: Header=BB85_13 Depth=1
	s_or_b32 exec_lo, exec_lo, s55
	s_and_saveexec_b32 s18, s56
	s_delay_alu instid0(SALU_CYCLE_1)
	s_xor_b32 s18, exec_lo, s18
; %bb.58:                               ;   in Loop: Header=BB85_13 Depth=1
	v_min_i32_e32 v46, v22, v46
; %bb.59:                               ;   in Loop: Header=BB85_13 Depth=1
	s_or_b32 exec_lo, exec_lo, s18
.LBB85_60:                              ;   in Loop: Header=BB85_13 Depth=1
	s_delay_alu instid0(SALU_CYCLE_1)
	s_or_b32 exec_lo, exec_lo, s20
.LBB85_61:                              ;   in Loop: Header=BB85_13 Depth=1
	ds_bpermute_b32 v4, v34, v46
	s_waitcnt lgkmcnt(0)
	v_min_i32_e32 v4, v4, v46
	ds_bpermute_b32 v5, v35, v4
	s_waitcnt lgkmcnt(0)
	v_min_i32_e32 v4, v5, v4
	;; [unrolled: 3-line block ×3, first 2 shown]
	ds_bpermute_b32 v5, v38, v4
	s_and_saveexec_b32 s18, s1
	s_cbranch_execz .LBB85_66
; %bb.62:                               ;   in Loop: Header=BB85_13 Depth=1
	s_waitcnt lgkmcnt(0)
	v_min_i32_e32 v4, v5, v4
	s_mov_b32 s20, exec_lo
	s_brev_b32 s19, -2
.LBB85_63:                              ;   Parent Loop BB85_13 Depth=1
                                        ; =>  This Inner Loop Header: Depth=2
	s_ctz_i32_b32 s54, s20
	s_delay_alu instid0(VALU_DEP_1) | instid1(SALU_CYCLE_1)
	v_readlane_b32 s55, v4, s54
	s_lshl_b32 s54, 1, s54
	s_delay_alu instid0(SALU_CYCLE_1) | instskip(NEXT) | instid1(VALU_DEP_1)
	s_and_not1_b32 s20, s20, s54
	s_min_i32 s19, s19, s55
	s_cmp_lg_u32 s20, 0
	s_cbranch_scc1 .LBB85_63
; %bb.64:                               ;   in Loop: Header=BB85_13 Depth=1
	v_mbcnt_lo_u32_b32 v4, exec_lo, 0
	s_mov_b32 s20, exec_lo
	s_delay_alu instid0(VALU_DEP_1)
	v_cmpx_eq_u32_e32 0, v4
	s_xor_b32 s20, exec_lo, s20
	s_cbranch_execz .LBB85_66
; %bb.65:                               ;   in Loop: Header=BB85_13 Depth=1
	v_mov_b32_e32 v4, s19
	ds_min_i32 v0, v4 offset:34816
.LBB85_66:                              ;   in Loop: Header=BB85_13 Depth=1
	s_or_b32 exec_lo, exec_lo, s18
	s_waitcnt lgkmcnt(0)
	v_dual_mov_b32 v5, v41 :: v_dual_add_nc_u32 v4, s30, v44
	v_mov_b32_e32 v6, v30
	s_mov_b32 s18, 0
	s_waitcnt_vscnt null, 0x0
	s_barrier
	buffer_gl0_inv
	s_branch .LBB85_68
.LBB85_67:                              ;   in Loop: Header=BB85_68 Depth=2
	s_or_b32 exec_lo, exec_lo, s19
	s_waitcnt lgkmcnt(0)
	s_waitcnt_vscnt null, 0x0
	s_barrier
	buffer_gl0_inv
	ds_load_b32 v7, v0 offset:60
	v_add_nc_u32_e32 v17, 0x200, v6
	v_cmp_lt_u32_e32 vcc_lo, 0x5ff, v6
	s_delay_alu instid0(VALU_DEP_2)
	v_dual_mov_b32 v6, v17 :: v_dual_add_nc_u32 v5, 0x2000, v5
	s_or_b32 s18, vcc_lo, s18
	s_waitcnt lgkmcnt(0)
	v_add_nc_u32_e32 v42, v7, v42
	s_and_not1_b32 exec_lo, exec_lo, s18
	s_cbranch_execz .LBB85_12
.LBB85_68:                              ;   Parent Loop BB85_13 Depth=1
                                        ; =>  This Inner Loop Header: Depth=2
	ds_load_u8 v7, v6 offset:32768
	ds_load_2addr_b64 v[17:20], v5 offset1:1
	s_waitcnt lgkmcnt(1)
	v_cmp_ne_u16_e32 vcc_lo, 0, v7
	s_waitcnt lgkmcnt(0)
	ds_store_2addr_b64 v36, v[17:18], v[19:20] offset1:1
	s_waitcnt lgkmcnt(0)
	s_barrier
	buffer_gl0_inv
	s_bcnt1_i32_b32 s19, vcc_lo
	v_and_b32_e32 v29, vcc_lo, v16
	v_mov_b32_e32 v21, s19
	s_mov_b32 s19, exec_lo
	ds_store_b32 v39, v21
	s_waitcnt lgkmcnt(0)
	s_barrier
	buffer_gl0_inv
	ds_load_b128 v[17:20], v0
	ds_load_b128 v[21:24], v0 offset:16
	ds_load_b128 v[25:28], v0 offset:32
	s_waitcnt lgkmcnt(2)
	v_cndmask_b32_e64 v17, v17, 0, s3
	v_cndmask_b32_e64 v44, v18, 0, s4
	;; [unrolled: 1-line block ×4, first 2 shown]
	s_waitcnt lgkmcnt(1)
	v_cndmask_b32_e64 v21, v21, 0, s7
	v_bcnt_u32_b32 v29, v29, v17
	ds_load_b96 v[17:19], v0 offset:48
	v_cndmask_b32_e64 v22, v22, 0, s8
	v_cndmask_b32_e64 v23, v23, 0, s9
	v_add3_u32 v29, v29, v44, v45
	s_delay_alu instid0(VALU_DEP_1) | instskip(SKIP_3) | instid1(VALU_DEP_3)
	v_add3_u32 v20, v29, v20, v21
	v_cndmask_b32_e64 v21, v24, 0, s10
	s_waitcnt lgkmcnt(1)
	v_cndmask_b32_e64 v24, v25, 0, s11
	v_add3_u32 v20, v20, v22, v23
	v_cndmask_b32_e64 v22, v26, 0, s12
	v_cndmask_b32_e64 v23, v27, 0, s13
	s_delay_alu instid0(VALU_DEP_3)
	v_add3_u32 v20, v20, v21, v24
	v_cndmask_b32_e64 v21, v28, 0, s14
	s_waitcnt lgkmcnt(0)
	v_cndmask_b32_e64 v17, v17, 0, s15
	v_cndmask_b32_e64 v18, v18, 0, s16
	v_cndmask_b32_e64 v19, v19, 0, s17
	v_add3_u32 v20, v20, v22, v23
	s_delay_alu instid0(VALU_DEP_1) | instskip(SKIP_1) | instid1(VALU_DEP_2)
	v_add3_u32 v17, v20, v21, v17
	v_and_b32_e32 v20, 1, v7
	v_add3_u32 v7, v17, v18, v19
	s_delay_alu instid0(VALU_DEP_2)
	v_cmpx_eq_u32_e32 1, v20
	s_cbranch_execz .LBB85_70
; %bb.69:                               ;   in Loop: Header=BB85_68 Depth=2
	s_delay_alu instid0(VALU_DEP_2) | instskip(SKIP_3) | instid1(VALU_DEP_1)
	v_add3_u32 v21, v42, v7, -1
	ds_load_2addr_b64 v[17:20], v36 offset1:1
	v_add_nc_u32_e32 v25, v4, v6
	v_ashrrev_i32_e32 v22, 31, v21
	v_lshlrev_b64 v[23:24], 2, v[21:22]
	v_lshlrev_b64 v[21:22], 4, v[21:22]
	s_delay_alu instid0(VALU_DEP_2) | instskip(NEXT) | instid1(VALU_DEP_3)
	v_add_co_u32 v23, vcc_lo, s44, v23
	v_add_co_ci_u32_e32 v24, vcc_lo, s45, v24, vcc_lo
	s_delay_alu instid0(VALU_DEP_3) | instskip(NEXT) | instid1(VALU_DEP_4)
	v_add_co_u32 v21, vcc_lo, s46, v21
	v_add_co_ci_u32_e32 v22, vcc_lo, s47, v22, vcc_lo
	global_store_b32 v[23:24], v25, off
	s_waitcnt lgkmcnt(0)
	global_store_b128 v[21:22], v[17:20], off
.LBB85_70:                              ;   in Loop: Header=BB85_68 Depth=2
	s_or_b32 exec_lo, exec_lo, s19
	s_and_saveexec_b32 s19, s2
	s_cbranch_execz .LBB85_67
; %bb.71:                               ;   in Loop: Header=BB85_68 Depth=2
	ds_store_b32 v0, v7 offset:60
	s_branch .LBB85_67
.LBB85_72:
	s_endpgm
	.section	.rodata,"a",@progbits
	.p2align	6, 0x0
	.amdhsa_kernel _ZN9rocsparseL36csrgemm_fill_block_per_row_multipassILj512ELj16ELj2048ELj32Eii21rocsparse_complex_numIdEEEvT4_PKS3_S5_NS_24const_host_device_scalarIT5_EEPKT3_S5_PKS7_SB_S5_SD_S8_SB_S5_SD_SB_PS3_PS7_PS9_21rocsparse_index_base_SH_SH_SH_bbb
		.amdhsa_group_segment_fixed_size 43016
		.amdhsa_private_segment_fixed_size 24
		.amdhsa_kernarg_size 180
		.amdhsa_user_sgpr_count 15
		.amdhsa_user_sgpr_dispatch_ptr 1
		.amdhsa_user_sgpr_queue_ptr 0
		.amdhsa_user_sgpr_kernarg_segment_ptr 1
		.amdhsa_user_sgpr_dispatch_id 0
		.amdhsa_user_sgpr_private_segment_size 0
		.amdhsa_wavefront_size32 1
		.amdhsa_uses_dynamic_stack 0
		.amdhsa_enable_private_segment 1
		.amdhsa_system_sgpr_workgroup_id_x 1
		.amdhsa_system_sgpr_workgroup_id_y 0
		.amdhsa_system_sgpr_workgroup_id_z 0
		.amdhsa_system_sgpr_workgroup_info 0
		.amdhsa_system_vgpr_workitem_id 2
		.amdhsa_next_free_vgpr 52
		.amdhsa_next_free_sgpr 62
		.amdhsa_reserve_vcc 1
		.amdhsa_float_round_mode_32 0
		.amdhsa_float_round_mode_16_64 0
		.amdhsa_float_denorm_mode_32 3
		.amdhsa_float_denorm_mode_16_64 3
		.amdhsa_dx10_clamp 1
		.amdhsa_ieee_mode 1
		.amdhsa_fp16_overflow 0
		.amdhsa_workgroup_processor_mode 1
		.amdhsa_memory_ordered 1
		.amdhsa_forward_progress 0
		.amdhsa_shared_vgpr_count 0
		.amdhsa_exception_fp_ieee_invalid_op 0
		.amdhsa_exception_fp_denorm_src 0
		.amdhsa_exception_fp_ieee_div_zero 0
		.amdhsa_exception_fp_ieee_overflow 0
		.amdhsa_exception_fp_ieee_underflow 0
		.amdhsa_exception_fp_ieee_inexact 0
		.amdhsa_exception_int_div_zero 0
	.end_amdhsa_kernel
	.section	.text._ZN9rocsparseL36csrgemm_fill_block_per_row_multipassILj512ELj16ELj2048ELj32Eii21rocsparse_complex_numIdEEEvT4_PKS3_S5_NS_24const_host_device_scalarIT5_EEPKT3_S5_PKS7_SB_S5_SD_S8_SB_S5_SD_SB_PS3_PS7_PS9_21rocsparse_index_base_SH_SH_SH_bbb,"axG",@progbits,_ZN9rocsparseL36csrgemm_fill_block_per_row_multipassILj512ELj16ELj2048ELj32Eii21rocsparse_complex_numIdEEEvT4_PKS3_S5_NS_24const_host_device_scalarIT5_EEPKT3_S5_PKS7_SB_S5_SD_S8_SB_S5_SD_SB_PS3_PS7_PS9_21rocsparse_index_base_SH_SH_SH_bbb,comdat
.Lfunc_end85:
	.size	_ZN9rocsparseL36csrgemm_fill_block_per_row_multipassILj512ELj16ELj2048ELj32Eii21rocsparse_complex_numIdEEEvT4_PKS3_S5_NS_24const_host_device_scalarIT5_EEPKT3_S5_PKS7_SB_S5_SD_S8_SB_S5_SD_SB_PS3_PS7_PS9_21rocsparse_index_base_SH_SH_SH_bbb, .Lfunc_end85-_ZN9rocsparseL36csrgemm_fill_block_per_row_multipassILj512ELj16ELj2048ELj32Eii21rocsparse_complex_numIdEEEvT4_PKS3_S5_NS_24const_host_device_scalarIT5_EEPKT3_S5_PKS7_SB_S5_SD_S8_SB_S5_SD_SB_PS3_PS7_PS9_21rocsparse_index_base_SH_SH_SH_bbb
                                        ; -- End function
	.section	.AMDGPU.csdata,"",@progbits
; Kernel info:
; codeLenInByte = 3456
; NumSgprs: 64
; NumVgprs: 52
; ScratchSize: 24
; MemoryBound: 0
; FloatMode: 240
; IeeeMode: 1
; LDSByteSize: 43016 bytes/workgroup (compile time only)
; SGPRBlocks: 7
; VGPRBlocks: 6
; NumSGPRsForWavesPerEU: 64
; NumVGPRsForWavesPerEU: 52
; Occupancy: 12
; WaveLimiterHint : 1
; COMPUTE_PGM_RSRC2:SCRATCH_EN: 1
; COMPUTE_PGM_RSRC2:USER_SGPR: 15
; COMPUTE_PGM_RSRC2:TRAP_HANDLER: 0
; COMPUTE_PGM_RSRC2:TGID_X_EN: 1
; COMPUTE_PGM_RSRC2:TGID_Y_EN: 0
; COMPUTE_PGM_RSRC2:TGID_Z_EN: 0
; COMPUTE_PGM_RSRC2:TIDIG_COMP_CNT: 2
	.section	.text._ZN9rocsparseL36csrgemm_fill_block_per_row_multipassILj512ELj16ELj2048ELj64Eii21rocsparse_complex_numIdEEEvT4_PKS3_S5_NS_24const_host_device_scalarIT5_EEPKT3_S5_PKS7_SB_S5_SD_S8_SB_S5_SD_SB_PS3_PS7_PS9_21rocsparse_index_base_SH_SH_SH_bbb,"axG",@progbits,_ZN9rocsparseL36csrgemm_fill_block_per_row_multipassILj512ELj16ELj2048ELj64Eii21rocsparse_complex_numIdEEEvT4_PKS3_S5_NS_24const_host_device_scalarIT5_EEPKT3_S5_PKS7_SB_S5_SD_S8_SB_S5_SD_SB_PS3_PS7_PS9_21rocsparse_index_base_SH_SH_SH_bbb,comdat
	.globl	_ZN9rocsparseL36csrgemm_fill_block_per_row_multipassILj512ELj16ELj2048ELj64Eii21rocsparse_complex_numIdEEEvT4_PKS3_S5_NS_24const_host_device_scalarIT5_EEPKT3_S5_PKS7_SB_S5_SD_S8_SB_S5_SD_SB_PS3_PS7_PS9_21rocsparse_index_base_SH_SH_SH_bbb ; -- Begin function _ZN9rocsparseL36csrgemm_fill_block_per_row_multipassILj512ELj16ELj2048ELj64Eii21rocsparse_complex_numIdEEEvT4_PKS3_S5_NS_24const_host_device_scalarIT5_EEPKT3_S5_PKS7_SB_S5_SD_S8_SB_S5_SD_SB_PS3_PS7_PS9_21rocsparse_index_base_SH_SH_SH_bbb
	.p2align	8
	.type	_ZN9rocsparseL36csrgemm_fill_block_per_row_multipassILj512ELj16ELj2048ELj64Eii21rocsparse_complex_numIdEEEvT4_PKS3_S5_NS_24const_host_device_scalarIT5_EEPKT3_S5_PKS7_SB_S5_SD_S8_SB_S5_SD_SB_PS3_PS7_PS9_21rocsparse_index_base_SH_SH_SH_bbb,@function
_ZN9rocsparseL36csrgemm_fill_block_per_row_multipassILj512ELj16ELj2048ELj64Eii21rocsparse_complex_numIdEEEvT4_PKS3_S5_NS_24const_host_device_scalarIT5_EEPKT3_S5_PKS7_SB_S5_SD_S8_SB_S5_SD_SB_PS3_PS7_PS9_21rocsparse_index_base_SH_SH_SH_bbb: ; @_ZN9rocsparseL36csrgemm_fill_block_per_row_multipassILj512ELj16ELj2048ELj64Eii21rocsparse_complex_numIdEEEvT4_PKS3_S5_NS_24const_host_device_scalarIT5_EEPKT3_S5_PKS7_SB_S5_SD_S8_SB_S5_SD_SB_PS3_PS7_PS9_21rocsparse_index_base_SH_SH_SH_bbb
; %bb.0:
	s_clause 0x3
	s_load_b32 s5, s[2:3], 0xb0
	s_load_b256 s[16:23], s[2:3], 0x8
	s_load_b128 s[8:11], s[2:3], 0x58
	s_load_b128 s[28:31], s[2:3], 0xa0
	v_mov_b32_e32 v8, 0
	v_mov_b32_e32 v9, 0
	s_waitcnt lgkmcnt(0)
	s_bitcmp1_b32 s5, 0
	v_dual_mov_b32 v1, s20 :: v_dual_mov_b32 v2, s21
	s_cselect_b32 s44, -1, 0
	s_bitcmp1_b32 s5, 16
	v_dual_mov_b32 v11, v9 :: v_dual_mov_b32 v10, v8
	s_cselect_b32 s4, -1, 0
	v_dual_mov_b32 v13, v9 :: v_dual_mov_b32 v12, v8
	v_dual_mov_b32 v3, s8 :: v_dual_mov_b32 v4, s9
	s_xor_b32 s12, s4, -1
	s_bitcmp0_b32 s5, 0
	s_clause 0x1
	scratch_store_b64 off, v[1:2], off
	scratch_store_b64 off, v[3:4], off offset:8
	s_cbranch_scc1 .LBB86_3
; %bb.1:
	s_mov_b64 s[6:7], src_private_base
	s_and_b32 s6, s4, exec_lo
	s_cselect_b32 s6, s7, s21
	s_delay_alu instid0(SALU_CYCLE_1) | instskip(SKIP_2) | instid1(VALU_DEP_2)
	v_dual_mov_b32 v1, 0 :: v_dual_mov_b32 v2, s6
	v_dual_mov_b32 v12, s22 :: v_dual_mov_b32 v13, s23
	s_and_not1_b32 vcc_lo, exec_lo, s12
	v_cndmask_b32_e64 v1, s20, v1, s4
	flat_load_b64 v[10:11], v[1:2]
	s_cbranch_vccnz .LBB86_3
; %bb.2:
	v_dual_mov_b32 v1, s20 :: v_dual_mov_b32 v2, s21
	flat_load_b64 v[12:13], v[1:2] offset:8
.LBB86_3:
	s_load_b64 s[6:7], s[2:3], 0x28
	s_bitcmp1_b32 s5, 8
	v_dual_mov_b32 v15, v9 :: v_dual_mov_b32 v14, v8
	s_cselect_b32 s33, -1, 0
	s_bfe_u32 s5, s5, 0x10008
	s_delay_alu instid0(SALU_CYCLE_1)
	s_cmp_eq_u32 s5, 0
	s_cbranch_scc1 .LBB86_6
; %bb.4:
	s_mov_b64 s[20:21], src_private_base
	s_and_b32 s5, s4, exec_lo
	s_cselect_b32 s5, s21, s9
	s_delay_alu instid0(SALU_CYCLE_1) | instskip(SKIP_2) | instid1(VALU_DEP_2)
	v_dual_mov_b32 v1, 8 :: v_dual_mov_b32 v2, s5
	v_dual_mov_b32 v8, s10 :: v_dual_mov_b32 v9, s11
	s_and_not1_b32 vcc_lo, exec_lo, s12
	v_cndmask_b32_e64 v1, s8, v1, s4
	flat_load_b64 v[14:15], v[1:2]
	s_cbranch_vccnz .LBB86_6
; %bb.5:
	v_dual_mov_b32 v1, s8 :: v_dual_mov_b32 v2, s9
	flat_load_b64 v[8:9], v[1:2] offset:8
.LBB86_6:
	s_load_b32 s4, s[16:17], 0x0
	s_mov_b32 s35, 0
	s_mov_b32 s8, 0
	s_waitcnt lgkmcnt(0)
	s_add_i32 s34, s4, s15
	s_delay_alu instid0(SALU_CYCLE_1) | instskip(NEXT) | instid1(SALU_CYCLE_1)
	s_lshl_b64 s[4:5], s[34:35], 2
	s_add_u32 s4, s18, s4
	s_addc_u32 s5, s19, s5
	s_and_not1_b32 vcc_lo, exec_lo, s44
	s_load_b32 s4, s[4:5], 0x0
	s_cbranch_vccz .LBB86_9
; %bb.7:
	s_and_not1_b32 vcc_lo, exec_lo, s44
	s_cbranch_vccz .LBB86_10
.LBB86_8:
	s_load_b32 s34, s[2:3], 0x0
	s_waitcnt lgkmcnt(0)
	s_cmp_lt_i32 s34, 1
	s_cbranch_scc0 .LBB86_11
	s_branch .LBB86_72
.LBB86_9:
	s_waitcnt lgkmcnt(0)
	s_ashr_i32 s5, s4, 31
	s_delay_alu instid0(SALU_CYCLE_1) | instskip(NEXT) | instid1(SALU_CYCLE_1)
	s_lshl_b64 s[8:9], s[4:5], 2
	s_add_u32 s8, s6, s8
	s_addc_u32 s9, s7, s9
	s_load_b32 s5, s[8:9], 0x0
	s_waitcnt lgkmcnt(0)
	s_sub_i32 s8, s5, s28
	s_and_not1_b32 vcc_lo, exec_lo, s44
	s_cbranch_vccnz .LBB86_8
.LBB86_10:
	s_waitcnt lgkmcnt(0)
	s_ashr_i32 s5, s4, 31
	s_delay_alu instid0(SALU_CYCLE_1) | instskip(NEXT) | instid1(SALU_CYCLE_1)
	s_lshl_b64 s[10:11], s[4:5], 2
	s_add_u32 s6, s6, s10
	s_addc_u32 s7, s7, s11
	s_load_b32 s5, s[6:7], 0x4
	s_waitcnt lgkmcnt(0)
	s_sub_i32 s35, s5, s28
	s_load_b32 s34, s[2:3], 0x0
	s_waitcnt lgkmcnt(0)
	s_cmp_lt_i32 s34, 1
	s_cbranch_scc1 .LBB86_72
.LBB86_11:
	s_load_b64 s[6:7], s[0:1], 0x4
	s_clause 0x4
	s_load_b256 s[12:19], s[2:3], 0x68
	s_load_b64 s[40:41], s[2:3], 0x98
	s_load_b128 s[36:39], s[2:3], 0x88
	s_load_b64 s[42:43], s[2:3], 0x50
	s_load_b256 s[20:27], s[2:3], 0x30
	v_mbcnt_lo_u32_b32 v2, -1, 0
	s_ashr_i32 s5, s4, 31
	v_bfe_u32 v1, v0, 10, 10
	s_lshl_b64 s[2:3], s[4:5], 2
	v_mov_b32_e32 v45, 0x800
	v_xor_b32_e32 v4, 8, v2
	v_xor_b32_e32 v5, 4, v2
	v_xor_b32_e32 v6, 2, v2
	v_xor_b32_e32 v7, 1, v2
	v_xor_b32_e32 v16, 63, v2
	v_cmp_gt_i32_e32 vcc_lo, 32, v4
	v_mov_b32_e32 v43, 1
	s_waitcnt lgkmcnt(0)
	s_lshr_b32 s6, s6, 16
	s_add_u32 s4, s18, s2
	s_addc_u32 s5, s19, s3
	v_cndmask_b32_e32 v4, v2, v4, vcc_lo
	v_cmp_gt_i32_e32 vcc_lo, 32, v5
	v_and_b32_e32 v30, 0x3ff, v0
	s_load_b32 s4, s[4:5], 0x0
	s_mul_i32 s6, s6, s7
	v_bfe_u32 v0, v0, 20, 10
	v_cndmask_b32_e32 v5, v2, v5, vcc_lo
	v_mul_lo_u32 v17, s6, v30
	v_lshrrev_b32_e32 v3, 4, v30
	v_mul_u32_u24_e32 v1, s7, v1
	v_cmp_gt_i32_e32 vcc_lo, 32, v6
	v_cmp_eq_u32_e64 s0, 0, v30
	v_subrev_nc_u32_e32 v32, s31, v30
	v_add_nc_u32_e32 v33, s8, v3
	v_dual_cndmask_b32 v6, v2, v6 :: v_dual_and_b32 v39, 28, v3
	v_cmp_gt_i32_e32 vcc_lo, 32, v7
	v_add3_u32 v0, v17, v1, v0
	v_and_b32_e32 v31, 15, v30
	v_lshrrev_b64 v[16:17], v16, -1
	v_dual_cndmask_b32 v2, v2, v7 :: v_dual_lshlrev_b32 v35, 2, v5
	s_delay_alu instid0(VALU_DEP_4)
	v_lshl_add_u32 v37, v0, 4, 0x8808
	v_mov_b32_e32 v0, 0
	v_cmp_gt_i32_e32 vcc_lo, s35, v33
	s_waitcnt lgkmcnt(0)
	s_sub_i32 s10, s4, s30
	s_add_u32 s18, s12, s2
	v_cmp_eq_u32_e64 s1, 15, v31
	v_lshlrev_b32_e32 v34, 2, v4
	v_dual_mov_b32 v1, v0 :: v_dual_lshlrev_b32 v36, 2, v6
	s_addc_u32 s19, s13, s3
	v_dual_mov_b32 v3, v0 :: v_dual_lshlrev_b32 v38, 2, v2
	v_cmp_eq_u32_e64 s2, 0x1ff, v30
	v_cmp_gt_u32_e64 s3, 64, v30
	v_cmp_gt_u32_e64 s4, 0x80, v30
	;; [unrolled: 1-line block ×7, first 2 shown]
	v_or_b32_e32 v40, 0xfffffe00, v30
	v_dual_mov_b32 v42, s10 :: v_dual_lshlrev_b32 v41, 4, v30
	v_mov_b32_e32 v2, v0
	v_mov_b32_e32 v44, v0
	s_and_b32 s13, s44, vcc_lo
	s_add_u32 s44, s24, 4
	s_addc_u32 s45, s25, 0
	s_branch .LBB86_13
.LBB86_12:                              ;   in Loop: Header=BB86_13 Depth=1
	s_or_b32 exec_lo, exec_lo, s10
	ds_load_b32 v44, v0 offset:34816
	s_waitcnt lgkmcnt(0)
	s_barrier
	buffer_gl0_inv
	v_cmp_le_i32_e32 vcc_lo, s34, v44
	v_add_nc_u32_e32 v45, 0x800, v44
	s_cbranch_vccnz .LBB86_72
.LBB86_13:                              ; =>This Loop Header: Depth=1
                                        ;     Child Loop BB86_14 Depth 2
                                        ;     Child Loop BB86_20 Depth 2
                                        ;       Child Loop BB86_26 Depth 3
                                        ;         Child Loop BB86_30 Depth 4
                                        ;         Child Loop BB86_32 Depth 4
                                        ;     Child Loop BB86_47 Depth 2
                                        ;       Child Loop BB86_51 Depth 3
                                        ;       Child Loop BB86_53 Depth 3
                                        ;     Child Loop BB86_63 Depth 2
                                        ;     Child Loop BB86_68 Depth 2
	v_dual_mov_b32 v4, v41 :: v_dual_mov_b32 v5, v40
	s_mov_b32 s10, 0
.LBB86_14:                              ;   Parent Loop BB86_13 Depth=1
                                        ; =>  This Inner Loop Header: Depth=2
	ds_store_b8 v5, v0 offset:33280
	v_add_nc_u32_e32 v5, 0x200, v5
	ds_store_b128 v4, v[0:3]
	v_add_nc_u32_e32 v4, 0x2000, v4
	v_cmp_lt_u32_e32 vcc_lo, 0x5ff, v5
	s_or_b32 s10, vcc_lo, s10
	s_delay_alu instid0(SALU_CYCLE_1)
	s_and_not1_b32 exec_lo, exec_lo, s10
	s_cbranch_execnz .LBB86_14
; %bb.15:                               ;   in Loop: Header=BB86_13 Depth=1
	s_or_b32 exec_lo, exec_lo, s10
	s_and_saveexec_b32 s10, s0
	s_cbranch_execz .LBB86_17
; %bb.16:                               ;   in Loop: Header=BB86_13 Depth=1
	v_mov_b32_e32 v4, s34
	ds_store_b32 v0, v4 offset:34816
.LBB86_17:                              ;   in Loop: Header=BB86_13 Depth=1
	s_or_b32 exec_lo, exec_lo, s10
	v_mov_b32_e32 v46, s34
	s_waitcnt vmcnt(0) lgkmcnt(0)
	s_waitcnt_vscnt null, 0x0
	s_barrier
	buffer_gl0_inv
	s_and_saveexec_b32 s46, s13
	s_cbranch_execz .LBB86_43
; %bb.18:                               ;   in Loop: Header=BB86_13 Depth=1
	v_cmp_ne_u32_e64 s10, 0, v44
	v_dual_mov_b32 v46, s34 :: v_dual_mov_b32 v17, v33
	s_mov_b32 s47, 0
	s_branch .LBB86_20
.LBB86_19:                              ;   in Loop: Header=BB86_20 Depth=2
	s_or_b32 exec_lo, exec_lo, s11
	v_add_nc_u32_e32 v17, 32, v17
	s_delay_alu instid0(VALU_DEP_1) | instskip(SKIP_1) | instid1(SALU_CYCLE_1)
	v_cmp_le_i32_e32 vcc_lo, s35, v17
	s_or_b32 s47, vcc_lo, s47
	s_and_not1_b32 exec_lo, exec_lo, s47
	s_cbranch_execz .LBB86_42
.LBB86_20:                              ;   Parent Loop BB86_13 Depth=1
                                        ; =>  This Loop Header: Depth=2
                                        ;       Child Loop BB86_26 Depth 3
                                        ;         Child Loop BB86_30 Depth 4
                                        ;         Child Loop BB86_32 Depth 4
	s_delay_alu instid0(VALU_DEP_1) | instskip(NEXT) | instid1(VALU_DEP_1)
	v_ashrrev_i32_e32 v18, 31, v17
	v_lshlrev_b64 v[19:20], 2, v[17:18]
	v_lshlrev_b64 v[6:7], 4, v[17:18]
	s_delay_alu instid0(VALU_DEP_2) | instskip(SKIP_1) | instid1(VALU_DEP_3)
	v_add_co_u32 v4, vcc_lo, s20, v19
	s_waitcnt lgkmcnt(0)
	v_add_co_ci_u32_e32 v5, vcc_lo, s21, v20, vcc_lo
	global_load_b32 v18, v[4:5], off
	v_add_co_u32 v4, vcc_lo, s22, v6
	v_add_co_ci_u32_e32 v5, vcc_lo, s23, v7, vcc_lo
	s_and_b32 vcc_lo, exec_lo, s10
	global_load_b128 v[4:7], v[4:5], off
	s_waitcnt vmcnt(1)
	v_subrev_nc_u32_e32 v21, s28, v18
	s_delay_alu instid0(VALU_DEP_1)
	v_ashrrev_i32_e32 v22, 31, v21
	s_cbranch_vccz .LBB86_41
; %bb.21:                               ;   in Loop: Header=BB86_20 Depth=2
	v_add_co_u32 v23, vcc_lo, s40, v19
	v_add_co_ci_u32_e32 v24, vcc_lo, s41, v20, vcc_lo
	global_load_b32 v18, v[23:24], off
	s_cbranch_execnz .LBB86_23
.LBB86_22:                              ;   in Loop: Header=BB86_20 Depth=2
	s_delay_alu instid0(VALU_DEP_1) | instskip(NEXT) | instid1(VALU_DEP_1)
	v_lshlrev_b64 v[23:24], 2, v[21:22]
	v_add_co_u32 v23, vcc_lo, s24, v23
	s_delay_alu instid0(VALU_DEP_2)
	v_add_co_ci_u32_e32 v24, vcc_lo, s25, v24, vcc_lo
	global_load_b32 v18, v[23:24], off
	s_waitcnt vmcnt(0)
	v_subrev_nc_u32_e32 v18, s29, v18
.LBB86_23:                              ;   in Loop: Header=BB86_20 Depth=2
	v_lshlrev_b64 v[21:22], 2, v[21:22]
	s_waitcnt vmcnt(0)
	s_delay_alu instid0(VALU_DEP_2) | instskip(SKIP_1) | instid1(VALU_DEP_2)
	v_add_nc_u32_e32 v18, v18, v31
	s_mov_b32 s48, exec_lo
	v_add_co_u32 v21, vcc_lo, s44, v21
	s_delay_alu instid0(VALU_DEP_3) | instskip(SKIP_3) | instid1(VALU_DEP_1)
	v_add_co_ci_u32_e32 v22, vcc_lo, s45, v22, vcc_lo
	global_load_b32 v21, v[21:22], off
	s_waitcnt vmcnt(0)
	v_subrev_nc_u32_e32 v47, s29, v21
	v_cmpx_lt_i32_e64 v18, v47
	s_cbranch_execz .LBB86_39
; %bb.24:                               ;   in Loop: Header=BB86_20 Depth=2
	v_mul_f64 v[21:22], v[6:7], -v[12:13]
	v_mul_f64 v[6:7], v[10:11], v[6:7]
	v_mov_b32_e32 v25, v18
	s_mov_b32 s50, 0
                                        ; implicit-def: $sgpr49
                                        ; implicit-def: $sgpr51
	s_delay_alu instid0(VALU_DEP_3) | instskip(NEXT) | instid1(VALU_DEP_3)
	v_fma_f64 v[21:22], v[10:11], v[4:5], v[21:22]
	v_fma_f64 v[23:24], v[12:13], v[4:5], v[6:7]
	s_branch .LBB86_26
.LBB86_25:                              ;   in Loop: Header=BB86_26 Depth=3
	s_or_b32 exec_lo, exec_lo, s12
	s_delay_alu instid0(SALU_CYCLE_1) | instskip(SKIP_4) | instid1(SALU_CYCLE_1)
	s_and_b32 s11, exec_lo, s52
	v_mov_b32_e32 v25, v5
	s_or_b32 s50, s11, s50
	s_and_not1_b32 s11, s49, exec_lo
	s_and_b32 s12, s51, exec_lo
	s_or_b32 s49, s11, s12
	s_and_not1_b32 exec_lo, exec_lo, s50
	s_cbranch_execz .LBB86_36
.LBB86_26:                              ;   Parent Loop BB86_13 Depth=1
                                        ;     Parent Loop BB86_20 Depth=2
                                        ; =>    This Loop Header: Depth=3
                                        ;         Child Loop BB86_30 Depth 4
                                        ;         Child Loop BB86_32 Depth 4
	v_ashrrev_i32_e32 v26, 31, v25
	s_delay_alu instid0(VALU_DEP_1) | instskip(NEXT) | instid1(VALU_DEP_1)
	v_lshlrev_b64 v[4:5], 2, v[25:26]
	v_add_co_u32 v4, vcc_lo, s26, v4
	s_delay_alu instid0(VALU_DEP_2) | instskip(SKIP_3) | instid1(VALU_DEP_1)
	v_add_co_ci_u32_e32 v5, vcc_lo, s27, v5, vcc_lo
	global_load_b32 v4, v[4:5], off
	s_waitcnt vmcnt(0)
	v_subrev_nc_u32_e32 v48, s29, v4
	v_cmp_lt_i32_e64 s11, v48, v44
	v_cmp_ge_i32_e64 s12, v48, v45
	v_cmp_lt_i32_e32 vcc_lo, v48, v45
	s_delay_alu instid0(VALU_DEP_2) | instskip(SKIP_2) | instid1(SALU_CYCLE_1)
	s_or_b32 s52, s11, s12
	s_mov_b32 s11, 0
                                        ; implicit-def: $sgpr12
	s_and_saveexec_b32 s53, s52
	s_xor_b32 s52, exec_lo, s53
; %bb.27:                               ;   in Loop: Header=BB86_26 Depth=3
	s_mov_b32 s12, -1
	s_and_b32 s11, vcc_lo, exec_lo
; %bb.28:                               ;   in Loop: Header=BB86_26 Depth=3
	s_and_not1_saveexec_b32 s52, s52
	s_cbranch_execz .LBB86_34
; %bb.29:                               ;   in Loop: Header=BB86_26 Depth=3
	v_lshlrev_b64 v[4:5], 4, v[25:26]
	v_sub_nc_u32_e32 v28, v48, v44
	s_mov_b32 s53, 0
	s_delay_alu instid0(VALU_DEP_1) | instskip(NEXT) | instid1(VALU_DEP_3)
	v_lshlrev_b32_e32 v49, 4, v28
	v_add_co_u32 v4, vcc_lo, s42, v4
	s_delay_alu instid0(VALU_DEP_4)
	v_add_co_ci_u32_e32 v5, vcc_lo, s43, v5, vcc_lo
	ds_store_b8 v28, v43 offset:32768
	ds_load_b64 v[28:29], v49
	global_load_b128 v[4:7], v[4:5], off
	s_waitcnt vmcnt(0)
	v_mul_f64 v[26:27], v[6:7], -v[23:24]
	s_delay_alu instid0(VALU_DEP_1)
	v_fma_f64 v[26:27], v[21:22], v[4:5], v[26:27]
.LBB86_30:                              ;   Parent Loop BB86_13 Depth=1
                                        ;     Parent Loop BB86_20 Depth=2
                                        ;       Parent Loop BB86_26 Depth=3
                                        ; =>      This Inner Loop Header: Depth=4
	s_waitcnt lgkmcnt(0)
	s_delay_alu instid0(VALU_DEP_1)
	v_add_f64 v[50:51], v[28:29], v[26:27]
	ds_cmpstore_rtn_b64 v[50:51], v49, v[50:51], v[28:29]
	s_waitcnt lgkmcnt(0)
	v_cmp_eq_u64_e32 vcc_lo, v[50:51], v[28:29]
	v_dual_mov_b32 v28, v50 :: v_dual_mov_b32 v29, v51
	s_or_b32 s53, vcc_lo, s53
	s_delay_alu instid0(SALU_CYCLE_1)
	s_and_not1_b32 exec_lo, exec_lo, s53
	s_cbranch_execnz .LBB86_30
; %bb.31:                               ;   in Loop: Header=BB86_26 Depth=3
	s_or_b32 exec_lo, exec_lo, s53
	v_mul_f64 v[6:7], v[21:22], v[6:7]
	s_mov_b32 s53, 0
	s_delay_alu instid0(VALU_DEP_1)
	v_fma_f64 v[4:5], v[23:24], v[4:5], v[6:7]
	ds_load_b64 v[6:7], v49 offset:8
.LBB86_32:                              ;   Parent Loop BB86_13 Depth=1
                                        ;     Parent Loop BB86_20 Depth=2
                                        ;       Parent Loop BB86_26 Depth=3
                                        ; =>      This Inner Loop Header: Depth=4
	s_waitcnt lgkmcnt(0)
	v_add_f64 v[26:27], v[6:7], v[4:5]
	ds_cmpstore_rtn_b64 v[26:27], v49, v[26:27], v[6:7] offset:8
	s_waitcnt lgkmcnt(0)
	v_cmp_eq_u64_e32 vcc_lo, v[26:27], v[6:7]
	v_dual_mov_b32 v6, v26 :: v_dual_mov_b32 v7, v27
	s_or_b32 s53, vcc_lo, s53
	s_delay_alu instid0(SALU_CYCLE_1)
	s_and_not1_b32 exec_lo, exec_lo, s53
	s_cbranch_execnz .LBB86_32
; %bb.33:                               ;   in Loop: Header=BB86_26 Depth=3
	s_or_b32 exec_lo, exec_lo, s53
	s_delay_alu instid0(SALU_CYCLE_1)
	s_or_b32 s11, s11, exec_lo
.LBB86_34:                              ;   in Loop: Header=BB86_26 Depth=3
	s_or_b32 exec_lo, exec_lo, s52
	v_mov_b32_e32 v4, v25
	s_and_not1_b32 s51, s51, exec_lo
	s_and_b32 s12, s12, exec_lo
	s_mov_b32 s52, -1
	s_or_b32 s51, s51, s12
                                        ; implicit-def: $vgpr5
	s_and_saveexec_b32 s12, s11
	s_cbranch_execz .LBB86_25
; %bb.35:                               ;   in Loop: Header=BB86_26 Depth=3
	v_dual_mov_b32 v4, v25 :: v_dual_add_nc_u32 v5, 16, v25
	s_and_not1_b32 s51, s51, exec_lo
	s_delay_alu instid0(VALU_DEP_1)
	v_cmp_ge_i32_e32 vcc_lo, v5, v47
	s_or_not1_b32 s52, vcc_lo, exec_lo
	s_branch .LBB86_25
.LBB86_36:                              ;   in Loop: Header=BB86_20 Depth=2
	s_or_b32 exec_lo, exec_lo, s50
	s_and_saveexec_b32 s11, s49
	s_delay_alu instid0(SALU_CYCLE_1)
	s_xor_b32 s11, exec_lo, s11
; %bb.37:                               ;   in Loop: Header=BB86_20 Depth=2
	v_min_i32_e32 v46, v48, v46
	v_mov_b32_e32 v18, v4
; %bb.38:                               ;   in Loop: Header=BB86_20 Depth=2
	s_or_b32 exec_lo, exec_lo, s11
.LBB86_39:                              ;   in Loop: Header=BB86_20 Depth=2
	s_delay_alu instid0(SALU_CYCLE_1)
	s_or_b32 exec_lo, exec_lo, s48
	ds_bpermute_b32 v4, v34, v18
	s_waitcnt lgkmcnt(0)
	v_min_i32_e32 v4, v4, v18
	ds_bpermute_b32 v5, v35, v4
	s_waitcnt lgkmcnt(0)
	v_min_i32_e32 v4, v5, v4
	;; [unrolled: 3-line block ×3, first 2 shown]
	ds_bpermute_b32 v5, v38, v4
	s_and_saveexec_b32 s11, s1
	s_cbranch_execz .LBB86_19
; %bb.40:                               ;   in Loop: Header=BB86_20 Depth=2
	s_waitcnt lgkmcnt(0)
	v_min_i32_e32 v6, v5, v4
	v_add_co_u32 v4, vcc_lo, s40, v19
	v_add_co_ci_u32_e32 v5, vcc_lo, s41, v20, vcc_lo
	global_store_b32 v[4:5], v6, off
	s_branch .LBB86_19
.LBB86_41:                              ;   in Loop: Header=BB86_20 Depth=2
                                        ; implicit-def: $vgpr18
	s_branch .LBB86_22
.LBB86_42:                              ;   in Loop: Header=BB86_13 Depth=1
	s_or_b32 exec_lo, exec_lo, s47
.LBB86_43:                              ;   in Loop: Header=BB86_13 Depth=1
	s_delay_alu instid0(SALU_CYCLE_1) | instskip(NEXT) | instid1(SALU_CYCLE_1)
	s_or_b32 exec_lo, exec_lo, s46
	s_and_not1_b32 vcc_lo, exec_lo, s33
	s_cbranch_vccnz .LBB86_61
; %bb.44:                               ;   in Loop: Header=BB86_13 Depth=1
	s_load_b64 s[10:11], s[18:19], 0x0
	s_mov_b32 s12, exec_lo
	s_waitcnt lgkmcnt(0)
	v_add_nc_u32_e32 v17, s10, v32
	s_sub_i32 s46, s11, s31
	s_delay_alu instid0(VALU_DEP_1) | instid1(SALU_CYCLE_1)
	v_cmpx_gt_i32_e64 s46, v17
	s_cbranch_execz .LBB86_60
; %bb.45:                               ;   in Loop: Header=BB86_13 Depth=1
	s_mov_b32 s47, 0
                                        ; implicit-def: $sgpr48
                                        ; implicit-def: $sgpr49
	s_branch .LBB86_47
.LBB86_46:                              ;   in Loop: Header=BB86_47 Depth=2
	s_or_b32 exec_lo, exec_lo, s50
	s_delay_alu instid0(SALU_CYCLE_1) | instskip(NEXT) | instid1(SALU_CYCLE_1)
	s_and_b32 s10, exec_lo, s11
	s_or_b32 s47, s10, s47
	s_and_not1_b32 s10, s48, exec_lo
	s_and_b32 s11, s49, exec_lo
	s_delay_alu instid0(SALU_CYCLE_1)
	s_or_b32 s48, s10, s11
	s_and_not1_b32 exec_lo, exec_lo, s47
	s_cbranch_execz .LBB86_57
.LBB86_47:                              ;   Parent Loop BB86_13 Depth=1
                                        ; =>  This Loop Header: Depth=2
                                        ;       Child Loop BB86_51 Depth 3
                                        ;       Child Loop BB86_53 Depth 3
	v_ashrrev_i32_e32 v18, 31, v17
	s_delay_alu instid0(VALU_DEP_1) | instskip(NEXT) | instid1(VALU_DEP_1)
	v_lshlrev_b64 v[4:5], 2, v[17:18]
	v_add_co_u32 v4, vcc_lo, s14, v4
	s_delay_alu instid0(VALU_DEP_2) | instskip(SKIP_3) | instid1(VALU_DEP_1)
	v_add_co_ci_u32_e32 v5, vcc_lo, s15, v5, vcc_lo
	global_load_b32 v4, v[4:5], off
	s_waitcnt vmcnt(0)
	v_subrev_nc_u32_e32 v22, s31, v4
	v_cmp_lt_i32_e64 s10, v22, v44
	v_cmp_ge_i32_e64 s11, v22, v45
	v_cmp_lt_i32_e32 vcc_lo, v22, v45
	s_delay_alu instid0(VALU_DEP_2) | instskip(SKIP_2) | instid1(SALU_CYCLE_1)
	s_or_b32 s50, s10, s11
	s_mov_b32 s10, 0
                                        ; implicit-def: $sgpr11
	s_and_saveexec_b32 s51, s50
	s_xor_b32 s50, exec_lo, s51
; %bb.48:                               ;   in Loop: Header=BB86_47 Depth=2
	s_mov_b32 s11, -1
	s_and_b32 s10, vcc_lo, exec_lo
; %bb.49:                               ;   in Loop: Header=BB86_47 Depth=2
	s_and_not1_saveexec_b32 s50, s50
	s_cbranch_execz .LBB86_55
; %bb.50:                               ;   in Loop: Header=BB86_47 Depth=2
	v_lshlrev_b64 v[4:5], 4, v[17:18]
	v_sub_nc_u32_e32 v20, v22, v44
	s_mov_b32 s51, 0
	s_delay_alu instid0(VALU_DEP_1) | instskip(NEXT) | instid1(VALU_DEP_3)
	v_lshlrev_b32_e32 v23, 4, v20
	v_add_co_u32 v4, vcc_lo, s16, v4
	s_delay_alu instid0(VALU_DEP_4)
	v_add_co_ci_u32_e32 v5, vcc_lo, s17, v5, vcc_lo
	ds_store_b8 v20, v43 offset:32768
	ds_load_b64 v[20:21], v23
	global_load_b128 v[4:7], v[4:5], off
	s_waitcnt vmcnt(0)
	v_mul_f64 v[18:19], v[6:7], -v[8:9]
	s_delay_alu instid0(VALU_DEP_1)
	v_fma_f64 v[18:19], v[14:15], v[4:5], v[18:19]
.LBB86_51:                              ;   Parent Loop BB86_13 Depth=1
                                        ;     Parent Loop BB86_47 Depth=2
                                        ; =>    This Inner Loop Header: Depth=3
	s_waitcnt lgkmcnt(0)
	s_delay_alu instid0(VALU_DEP_1)
	v_add_f64 v[24:25], v[20:21], v[18:19]
	ds_cmpstore_rtn_b64 v[24:25], v23, v[24:25], v[20:21]
	s_waitcnt lgkmcnt(0)
	v_cmp_eq_u64_e32 vcc_lo, v[24:25], v[20:21]
	v_dual_mov_b32 v20, v24 :: v_dual_mov_b32 v21, v25
	s_or_b32 s51, vcc_lo, s51
	s_delay_alu instid0(SALU_CYCLE_1)
	s_and_not1_b32 exec_lo, exec_lo, s51
	s_cbranch_execnz .LBB86_51
; %bb.52:                               ;   in Loop: Header=BB86_47 Depth=2
	s_or_b32 exec_lo, exec_lo, s51
	v_mul_f64 v[6:7], v[14:15], v[6:7]
	s_mov_b32 s51, 0
	s_delay_alu instid0(VALU_DEP_1)
	v_fma_f64 v[4:5], v[8:9], v[4:5], v[6:7]
	ds_load_b64 v[6:7], v23 offset:8
.LBB86_53:                              ;   Parent Loop BB86_13 Depth=1
                                        ;     Parent Loop BB86_47 Depth=2
                                        ; =>    This Inner Loop Header: Depth=3
	s_waitcnt lgkmcnt(0)
	v_add_f64 v[18:19], v[6:7], v[4:5]
	ds_cmpstore_rtn_b64 v[18:19], v23, v[18:19], v[6:7] offset:8
	s_waitcnt lgkmcnt(0)
	v_cmp_eq_u64_e32 vcc_lo, v[18:19], v[6:7]
	v_dual_mov_b32 v6, v18 :: v_dual_mov_b32 v7, v19
	s_or_b32 s51, vcc_lo, s51
	s_delay_alu instid0(SALU_CYCLE_1)
	s_and_not1_b32 exec_lo, exec_lo, s51
	s_cbranch_execnz .LBB86_53
; %bb.54:                               ;   in Loop: Header=BB86_47 Depth=2
	s_or_b32 exec_lo, exec_lo, s51
	s_delay_alu instid0(SALU_CYCLE_1)
	s_or_b32 s10, s10, exec_lo
.LBB86_55:                              ;   in Loop: Header=BB86_47 Depth=2
	s_or_b32 exec_lo, exec_lo, s50
	s_delay_alu instid0(SALU_CYCLE_1)
	s_and_not1_b32 s49, s49, exec_lo
	s_and_b32 s50, s11, exec_lo
	s_mov_b32 s11, -1
	s_or_b32 s49, s49, s50
	s_and_saveexec_b32 s50, s10
	s_cbranch_execz .LBB86_46
; %bb.56:                               ;   in Loop: Header=BB86_47 Depth=2
	v_add_nc_u32_e32 v17, 0x200, v17
	s_and_not1_b32 s49, s49, exec_lo
	s_delay_alu instid0(VALU_DEP_1)
	v_cmp_le_i32_e32 vcc_lo, s46, v17
	s_or_not1_b32 s11, vcc_lo, exec_lo
	s_branch .LBB86_46
.LBB86_57:                              ;   in Loop: Header=BB86_13 Depth=1
	s_or_b32 exec_lo, exec_lo, s47
	s_and_saveexec_b32 s10, s48
	s_delay_alu instid0(SALU_CYCLE_1)
	s_xor_b32 s10, exec_lo, s10
; %bb.58:                               ;   in Loop: Header=BB86_13 Depth=1
	v_min_i32_e32 v46, v22, v46
; %bb.59:                               ;   in Loop: Header=BB86_13 Depth=1
	s_or_b32 exec_lo, exec_lo, s10
.LBB86_60:                              ;   in Loop: Header=BB86_13 Depth=1
	s_delay_alu instid0(SALU_CYCLE_1)
	s_or_b32 exec_lo, exec_lo, s12
.LBB86_61:                              ;   in Loop: Header=BB86_13 Depth=1
	ds_bpermute_b32 v4, v34, v46
	s_waitcnt lgkmcnt(0)
	v_min_i32_e32 v4, v4, v46
	ds_bpermute_b32 v5, v35, v4
	s_waitcnt lgkmcnt(0)
	v_min_i32_e32 v4, v5, v4
	;; [unrolled: 3-line block ×3, first 2 shown]
	ds_bpermute_b32 v5, v38, v4
	s_and_saveexec_b32 s10, s1
	s_cbranch_execz .LBB86_66
; %bb.62:                               ;   in Loop: Header=BB86_13 Depth=1
	s_waitcnt lgkmcnt(0)
	v_min_i32_e32 v4, v5, v4
	s_mov_b32 s12, exec_lo
	s_brev_b32 s11, -2
.LBB86_63:                              ;   Parent Loop BB86_13 Depth=1
                                        ; =>  This Inner Loop Header: Depth=2
	s_ctz_i32_b32 s46, s12
	s_delay_alu instid0(VALU_DEP_1) | instid1(SALU_CYCLE_1)
	v_readlane_b32 s47, v4, s46
	s_lshl_b32 s46, 1, s46
	s_delay_alu instid0(SALU_CYCLE_1) | instskip(NEXT) | instid1(VALU_DEP_1)
	s_and_not1_b32 s12, s12, s46
	s_min_i32 s11, s11, s47
	s_cmp_lg_u32 s12, 0
	s_cbranch_scc1 .LBB86_63
; %bb.64:                               ;   in Loop: Header=BB86_13 Depth=1
	v_mbcnt_lo_u32_b32 v4, exec_lo, 0
	s_mov_b32 s12, exec_lo
	s_delay_alu instid0(VALU_DEP_1)
	v_cmpx_eq_u32_e32 0, v4
	s_xor_b32 s12, exec_lo, s12
	s_cbranch_execz .LBB86_66
; %bb.65:                               ;   in Loop: Header=BB86_13 Depth=1
	v_mov_b32_e32 v4, s11
	ds_min_i32 v0, v4 offset:34816
.LBB86_66:                              ;   in Loop: Header=BB86_13 Depth=1
	s_or_b32 exec_lo, exec_lo, s10
	s_waitcnt lgkmcnt(0)
	v_dual_mov_b32 v5, v41 :: v_dual_add_nc_u32 v4, s30, v44
	v_mov_b32_e32 v6, v30
	s_mov_b32 s10, 0
	s_waitcnt_vscnt null, 0x0
	s_barrier
	buffer_gl0_inv
	s_branch .LBB86_68
.LBB86_67:                              ;   in Loop: Header=BB86_68 Depth=2
	s_or_b32 exec_lo, exec_lo, s11
	s_waitcnt lgkmcnt(0)
	s_waitcnt_vscnt null, 0x0
	s_barrier
	buffer_gl0_inv
	ds_load_b32 v7, v0 offset:28
	v_add_nc_u32_e32 v17, 0x200, v6
	v_cmp_lt_u32_e32 vcc_lo, 0x5ff, v6
	s_delay_alu instid0(VALU_DEP_2)
	v_dual_mov_b32 v6, v17 :: v_dual_add_nc_u32 v5, 0x2000, v5
	s_or_b32 s10, vcc_lo, s10
	s_waitcnt lgkmcnt(0)
	v_add_nc_u32_e32 v42, v7, v42
	s_and_not1_b32 exec_lo, exec_lo, s10
	s_cbranch_execz .LBB86_12
.LBB86_68:                              ;   Parent Loop BB86_13 Depth=1
                                        ; =>  This Inner Loop Header: Depth=2
	ds_load_u8 v7, v6 offset:32768
	ds_load_2addr_b64 v[17:20], v5 offset1:1
	s_waitcnt lgkmcnt(1)
	v_cmp_ne_u16_e32 vcc_lo, 0, v7
	s_waitcnt lgkmcnt(0)
	ds_store_2addr_b64 v37, v[17:18], v[19:20] offset1:1
	s_waitcnt lgkmcnt(0)
	s_barrier
	buffer_gl0_inv
	s_bcnt1_i32_b32 s11, vcc_lo
	s_delay_alu instid0(SALU_CYCLE_1)
	v_dual_mov_b32 v21, s11 :: v_dual_and_b32 v24, vcc_lo, v16
	s_mov_b32 s11, exec_lo
	ds_store_b32 v39, v21
	s_waitcnt lgkmcnt(0)
	s_barrier
	buffer_gl0_inv
	ds_load_b128 v[17:20], v0
	ds_load_b96 v[21:23], v0 offset:16
	s_waitcnt lgkmcnt(1)
	v_cndmask_b32_e64 v17, v17, 0, s3
	v_cndmask_b32_e64 v18, v18, 0, s4
	;; [unrolled: 1-line block ×4, first 2 shown]
	s_waitcnt lgkmcnt(0)
	v_cndmask_b32_e64 v21, v21, 0, s7
	v_bcnt_u32_b32 v17, v24, v17
	s_delay_alu instid0(VALU_DEP_1) | instskip(SKIP_2) | instid1(VALU_DEP_3)
	v_add3_u32 v17, v17, v18, v19
	v_cndmask_b32_e64 v18, v22, 0, s8
	v_cndmask_b32_e64 v19, v23, 0, s9
	v_add3_u32 v17, v17, v20, v21
	v_and_b32_e32 v20, 1, v7
	s_delay_alu instid0(VALU_DEP_2) | instskip(NEXT) | instid1(VALU_DEP_2)
	v_add3_u32 v7, v17, v18, v19
	v_cmpx_eq_u32_e32 1, v20
	s_cbranch_execz .LBB86_70
; %bb.69:                               ;   in Loop: Header=BB86_68 Depth=2
	s_delay_alu instid0(VALU_DEP_2) | instskip(SKIP_3) | instid1(VALU_DEP_1)
	v_add3_u32 v21, v42, v7, -1
	ds_load_2addr_b64 v[17:20], v37 offset1:1
	v_add_nc_u32_e32 v25, v4, v6
	v_ashrrev_i32_e32 v22, 31, v21
	v_lshlrev_b64 v[23:24], 2, v[21:22]
	v_lshlrev_b64 v[21:22], 4, v[21:22]
	s_delay_alu instid0(VALU_DEP_2) | instskip(NEXT) | instid1(VALU_DEP_3)
	v_add_co_u32 v23, vcc_lo, s36, v23
	v_add_co_ci_u32_e32 v24, vcc_lo, s37, v24, vcc_lo
	s_delay_alu instid0(VALU_DEP_3) | instskip(NEXT) | instid1(VALU_DEP_4)
	v_add_co_u32 v21, vcc_lo, s38, v21
	v_add_co_ci_u32_e32 v22, vcc_lo, s39, v22, vcc_lo
	global_store_b32 v[23:24], v25, off
	s_waitcnt lgkmcnt(0)
	global_store_b128 v[21:22], v[17:20], off
.LBB86_70:                              ;   in Loop: Header=BB86_68 Depth=2
	s_or_b32 exec_lo, exec_lo, s11
	s_and_saveexec_b32 s11, s2
	s_cbranch_execz .LBB86_67
; %bb.71:                               ;   in Loop: Header=BB86_68 Depth=2
	ds_store_b32 v0, v7 offset:28
	s_branch .LBB86_67
.LBB86_72:
	s_endpgm
	.section	.rodata,"a",@progbits
	.p2align	6, 0x0
	.amdhsa_kernel _ZN9rocsparseL36csrgemm_fill_block_per_row_multipassILj512ELj16ELj2048ELj64Eii21rocsparse_complex_numIdEEEvT4_PKS3_S5_NS_24const_host_device_scalarIT5_EEPKT3_S5_PKS7_SB_S5_SD_S8_SB_S5_SD_SB_PS3_PS7_PS9_21rocsparse_index_base_SH_SH_SH_bbb
		.amdhsa_group_segment_fixed_size 43016
		.amdhsa_private_segment_fixed_size 24
		.amdhsa_kernarg_size 180
		.amdhsa_user_sgpr_count 15
		.amdhsa_user_sgpr_dispatch_ptr 1
		.amdhsa_user_sgpr_queue_ptr 0
		.amdhsa_user_sgpr_kernarg_segment_ptr 1
		.amdhsa_user_sgpr_dispatch_id 0
		.amdhsa_user_sgpr_private_segment_size 0
		.amdhsa_wavefront_size32 1
		.amdhsa_uses_dynamic_stack 0
		.amdhsa_enable_private_segment 1
		.amdhsa_system_sgpr_workgroup_id_x 1
		.amdhsa_system_sgpr_workgroup_id_y 0
		.amdhsa_system_sgpr_workgroup_id_z 0
		.amdhsa_system_sgpr_workgroup_info 0
		.amdhsa_system_vgpr_workitem_id 2
		.amdhsa_next_free_vgpr 52
		.amdhsa_next_free_sgpr 54
		.amdhsa_reserve_vcc 1
		.amdhsa_float_round_mode_32 0
		.amdhsa_float_round_mode_16_64 0
		.amdhsa_float_denorm_mode_32 3
		.amdhsa_float_denorm_mode_16_64 3
		.amdhsa_dx10_clamp 1
		.amdhsa_ieee_mode 1
		.amdhsa_fp16_overflow 0
		.amdhsa_workgroup_processor_mode 1
		.amdhsa_memory_ordered 1
		.amdhsa_forward_progress 0
		.amdhsa_shared_vgpr_count 0
		.amdhsa_exception_fp_ieee_invalid_op 0
		.amdhsa_exception_fp_denorm_src 0
		.amdhsa_exception_fp_ieee_div_zero 0
		.amdhsa_exception_fp_ieee_overflow 0
		.amdhsa_exception_fp_ieee_underflow 0
		.amdhsa_exception_fp_ieee_inexact 0
		.amdhsa_exception_int_div_zero 0
	.end_amdhsa_kernel
	.section	.text._ZN9rocsparseL36csrgemm_fill_block_per_row_multipassILj512ELj16ELj2048ELj64Eii21rocsparse_complex_numIdEEEvT4_PKS3_S5_NS_24const_host_device_scalarIT5_EEPKT3_S5_PKS7_SB_S5_SD_S8_SB_S5_SD_SB_PS3_PS7_PS9_21rocsparse_index_base_SH_SH_SH_bbb,"axG",@progbits,_ZN9rocsparseL36csrgemm_fill_block_per_row_multipassILj512ELj16ELj2048ELj64Eii21rocsparse_complex_numIdEEEvT4_PKS3_S5_NS_24const_host_device_scalarIT5_EEPKT3_S5_PKS7_SB_S5_SD_S8_SB_S5_SD_SB_PS3_PS7_PS9_21rocsparse_index_base_SH_SH_SH_bbb,comdat
.Lfunc_end86:
	.size	_ZN9rocsparseL36csrgemm_fill_block_per_row_multipassILj512ELj16ELj2048ELj64Eii21rocsparse_complex_numIdEEEvT4_PKS3_S5_NS_24const_host_device_scalarIT5_EEPKT3_S5_PKS7_SB_S5_SD_S8_SB_S5_SD_SB_PS3_PS7_PS9_21rocsparse_index_base_SH_SH_SH_bbb, .Lfunc_end86-_ZN9rocsparseL36csrgemm_fill_block_per_row_multipassILj512ELj16ELj2048ELj64Eii21rocsparse_complex_numIdEEEvT4_PKS3_S5_NS_24const_host_device_scalarIT5_EEPKT3_S5_PKS7_SB_S5_SD_S8_SB_S5_SD_SB_PS3_PS7_PS9_21rocsparse_index_base_SH_SH_SH_bbb
                                        ; -- End function
	.section	.AMDGPU.csdata,"",@progbits
; Kernel info:
; codeLenInByte = 3232
; NumSgprs: 56
; NumVgprs: 52
; ScratchSize: 24
; MemoryBound: 0
; FloatMode: 240
; IeeeMode: 1
; LDSByteSize: 43016 bytes/workgroup (compile time only)
; SGPRBlocks: 6
; VGPRBlocks: 6
; NumSGPRsForWavesPerEU: 56
; NumVGPRsForWavesPerEU: 52
; Occupancy: 12
; WaveLimiterHint : 1
; COMPUTE_PGM_RSRC2:SCRATCH_EN: 1
; COMPUTE_PGM_RSRC2:USER_SGPR: 15
; COMPUTE_PGM_RSRC2:TRAP_HANDLER: 0
; COMPUTE_PGM_RSRC2:TGID_X_EN: 1
; COMPUTE_PGM_RSRC2:TGID_Y_EN: 0
; COMPUTE_PGM_RSRC2:TGID_Z_EN: 0
; COMPUTE_PGM_RSRC2:TIDIG_COMP_CNT: 2
	.section	.text._ZN9rocsparseL25csrgemm_max_row_nnz_part1ILj256EllEEvT1_PKT0_PS1_,"axG",@progbits,_ZN9rocsparseL25csrgemm_max_row_nnz_part1ILj256EllEEvT1_PKT0_PS1_,comdat
	.globl	_ZN9rocsparseL25csrgemm_max_row_nnz_part1ILj256EllEEvT1_PKT0_PS1_ ; -- Begin function _ZN9rocsparseL25csrgemm_max_row_nnz_part1ILj256EllEEvT1_PKT0_PS1_
	.p2align	8
	.type	_ZN9rocsparseL25csrgemm_max_row_nnz_part1ILj256EllEEvT1_PKT0_PS1_,@function
_ZN9rocsparseL25csrgemm_max_row_nnz_part1ILj256EllEEvT1_PKT0_PS1_: ; @_ZN9rocsparseL25csrgemm_max_row_nnz_part1ILj256EllEEvT1_PKT0_PS1_
; %bb.0:
	s_clause 0x1
	s_load_b64 s[6:7], s[0:1], 0x0
	s_load_b64 s[4:5], s[0:1], 0x10
	s_mov_b32 s2, s15
	v_dual_mov_b32 v2, 0 :: v_dual_mov_b32 v3, 0
	v_lshl_or_b32 v1, s2, 8, v0
	v_mov_b32_e32 v4, 0
	s_mov_b32 s3, exec_lo
	s_waitcnt lgkmcnt(0)
	s_delay_alu instid0(VALU_DEP_2)
	v_cmpx_gt_i64_e64 s[6:7], v[1:2]
	s_cbranch_execz .LBB87_4
; %bb.1:
	s_clause 0x1
	s_load_b32 s8, s[0:1], 0x18
	s_load_b64 s[0:1], s[0:1], 0x8
	v_lshlrev_b64 v[5:6], 3, v[1:2]
	v_mov_b32_e32 v3, 0
	v_mov_b32_e32 v4, 0
	s_mov_b32 s9, 0
	s_waitcnt lgkmcnt(0)
	s_lshl_b32 s8, s8, 8
	v_add_co_u32 v5, vcc_lo, s0, v5
	v_add_co_ci_u32_e32 v6, vcc_lo, s1, v6, vcc_lo
	s_lshl_b64 s[10:11], s[8:9], 3
	.p2align	6
.LBB87_2:                               ; =>This Inner Loop Header: Depth=1
	global_load_b128 v[7:10], v[5:6], off
	v_add_co_u32 v1, vcc_lo, v1, s8
	v_add_co_ci_u32_e32 v2, vcc_lo, 0, v2, vcc_lo
	s_delay_alu instid0(VALU_DEP_1) | instskip(NEXT) | instid1(VALU_DEP_1)
	v_cmp_le_i64_e64 s1, s[6:7], v[1:2]
	s_or_b32 s9, s1, s9
	s_waitcnt vmcnt(0)
	v_sub_co_u32 v7, s0, v9, v7
	s_delay_alu instid0(VALU_DEP_1) | instskip(SKIP_1) | instid1(VALU_DEP_1)
	v_sub_co_ci_u32_e64 v8, s0, v10, v8, s0
	v_add_co_u32 v5, s0, v5, s10
	v_add_co_ci_u32_e64 v6, s0, s11, v6, s0
	s_delay_alu instid0(VALU_DEP_3)
	v_cmp_gt_i64_e32 vcc_lo, v[3:4], v[7:8]
	v_dual_cndmask_b32 v4, v8, v4 :: v_dual_cndmask_b32 v3, v7, v3
	s_and_not1_b32 exec_lo, exec_lo, s9
	s_cbranch_execnz .LBB87_2
; %bb.3:
	s_or_b32 exec_lo, exec_lo, s9
.LBB87_4:
	s_delay_alu instid0(SALU_CYCLE_1)
	s_or_b32 exec_lo, exec_lo, s3
	v_lshlrev_b32_e32 v1, 3, v0
	s_mov_b32 s0, exec_lo
	ds_store_b64 v1, v[3:4]
	s_waitcnt lgkmcnt(0)
	s_barrier
	buffer_gl0_inv
	v_cmpx_gt_u32_e32 0x80, v0
	s_cbranch_execz .LBB87_6
; %bb.5:
	ds_load_2addr_stride64_b64 v[2:5], v1 offset1:2
	s_waitcnt lgkmcnt(0)
	v_cmp_gt_i64_e32 vcc_lo, v[2:3], v[4:5]
	v_dual_cndmask_b32 v3, v5, v3 :: v_dual_cndmask_b32 v2, v4, v2
	ds_store_b64 v1, v[2:3]
.LBB87_6:
	s_or_b32 exec_lo, exec_lo, s0
	s_delay_alu instid0(SALU_CYCLE_1)
	s_mov_b32 s0, exec_lo
	s_waitcnt lgkmcnt(0)
	s_barrier
	buffer_gl0_inv
	v_cmpx_gt_u32_e32 64, v0
	s_cbranch_execz .LBB87_8
; %bb.7:
	ds_load_2addr_stride64_b64 v[2:5], v1 offset1:1
	s_waitcnt lgkmcnt(0)
	v_cmp_gt_i64_e32 vcc_lo, v[2:3], v[4:5]
	v_dual_cndmask_b32 v3, v5, v3 :: v_dual_cndmask_b32 v2, v4, v2
	ds_store_b64 v1, v[2:3]
.LBB87_8:
	s_or_b32 exec_lo, exec_lo, s0
	s_delay_alu instid0(SALU_CYCLE_1)
	s_mov_b32 s0, exec_lo
	s_waitcnt lgkmcnt(0)
	s_barrier
	buffer_gl0_inv
	v_cmpx_gt_u32_e32 32, v0
	s_cbranch_execz .LBB87_10
; %bb.9:
	ds_load_2addr_b64 v[2:5], v1 offset1:32
	s_waitcnt lgkmcnt(0)
	v_cmp_gt_i64_e32 vcc_lo, v[2:3], v[4:5]
	v_dual_cndmask_b32 v3, v5, v3 :: v_dual_cndmask_b32 v2, v4, v2
	ds_store_b64 v1, v[2:3]
.LBB87_10:
	s_or_b32 exec_lo, exec_lo, s0
	s_delay_alu instid0(SALU_CYCLE_1)
	s_mov_b32 s0, exec_lo
	s_waitcnt lgkmcnt(0)
	s_barrier
	buffer_gl0_inv
	v_cmpx_gt_u32_e32 16, v0
	s_cbranch_execz .LBB87_12
; %bb.11:
	ds_load_2addr_b64 v[2:5], v1 offset1:16
	s_waitcnt lgkmcnt(0)
	v_cmp_gt_i64_e32 vcc_lo, v[2:3], v[4:5]
	v_dual_cndmask_b32 v3, v5, v3 :: v_dual_cndmask_b32 v2, v4, v2
	ds_store_b64 v1, v[2:3]
.LBB87_12:
	s_or_b32 exec_lo, exec_lo, s0
	s_delay_alu instid0(SALU_CYCLE_1)
	s_mov_b32 s0, exec_lo
	s_waitcnt lgkmcnt(0)
	s_barrier
	buffer_gl0_inv
	v_cmpx_gt_u32_e32 8, v0
	s_cbranch_execz .LBB87_14
; %bb.13:
	ds_load_2addr_b64 v[2:5], v1 offset1:8
	s_waitcnt lgkmcnt(0)
	v_cmp_gt_i64_e32 vcc_lo, v[2:3], v[4:5]
	v_dual_cndmask_b32 v3, v5, v3 :: v_dual_cndmask_b32 v2, v4, v2
	ds_store_b64 v1, v[2:3]
.LBB87_14:
	s_or_b32 exec_lo, exec_lo, s0
	s_delay_alu instid0(SALU_CYCLE_1)
	s_mov_b32 s0, exec_lo
	s_waitcnt lgkmcnt(0)
	s_barrier
	buffer_gl0_inv
	v_cmpx_gt_u32_e32 4, v0
	s_cbranch_execz .LBB87_16
; %bb.15:
	ds_load_2addr_b64 v[2:5], v1 offset1:4
	s_waitcnt lgkmcnt(0)
	v_cmp_gt_i64_e32 vcc_lo, v[2:3], v[4:5]
	v_dual_cndmask_b32 v3, v5, v3 :: v_dual_cndmask_b32 v2, v4, v2
	ds_store_b64 v1, v[2:3]
.LBB87_16:
	s_or_b32 exec_lo, exec_lo, s0
	s_delay_alu instid0(SALU_CYCLE_1)
	s_mov_b32 s0, exec_lo
	s_waitcnt lgkmcnt(0)
	s_barrier
	buffer_gl0_inv
	v_cmpx_gt_u32_e32 2, v0
	s_cbranch_execz .LBB87_18
; %bb.17:
	ds_load_2addr_b64 v[2:5], v1 offset1:2
	s_waitcnt lgkmcnt(0)
	v_cmp_gt_i64_e32 vcc_lo, v[2:3], v[4:5]
	v_dual_cndmask_b32 v3, v5, v3 :: v_dual_cndmask_b32 v2, v4, v2
	ds_store_b64 v1, v[2:3]
.LBB87_18:
	s_or_b32 exec_lo, exec_lo, s0
	v_cmp_eq_u32_e32 vcc_lo, 0, v0
	s_waitcnt lgkmcnt(0)
	s_barrier
	buffer_gl0_inv
	s_and_saveexec_b32 s1, vcc_lo
	s_cbranch_execz .LBB87_20
; %bb.19:
	v_mov_b32_e32 v4, 0
	ds_load_b128 v[0:3], v4
	s_waitcnt lgkmcnt(0)
	v_cmp_gt_i64_e64 s0, v[0:1], v[2:3]
	s_delay_alu instid0(VALU_DEP_1)
	v_cndmask_b32_e64 v1, v3, v1, s0
	v_cndmask_b32_e64 v0, v2, v0, s0
	ds_store_b64 v4, v[0:1]
.LBB87_20:
	s_or_b32 exec_lo, exec_lo, s1
	s_waitcnt lgkmcnt(0)
	s_barrier
	buffer_gl0_inv
	s_and_saveexec_b32 s0, vcc_lo
	s_cbranch_execz .LBB87_22
; %bb.21:
	v_mov_b32_e32 v2, 0
	s_mov_b32 s3, 0
	s_delay_alu instid0(SALU_CYCLE_1) | instskip(NEXT) | instid1(SALU_CYCLE_1)
	s_lshl_b64 s[0:1], s[2:3], 3
	s_add_u32 s0, s4, s0
	ds_load_b64 v[0:1], v2
	s_addc_u32 s1, s5, s1
	s_waitcnt lgkmcnt(0)
	global_store_b64 v2, v[0:1], s[0:1]
.LBB87_22:
	s_nop 0
	s_sendmsg sendmsg(MSG_DEALLOC_VGPRS)
	s_endpgm
	.section	.rodata,"a",@progbits
	.p2align	6, 0x0
	.amdhsa_kernel _ZN9rocsparseL25csrgemm_max_row_nnz_part1ILj256EllEEvT1_PKT0_PS1_
		.amdhsa_group_segment_fixed_size 2048
		.amdhsa_private_segment_fixed_size 0
		.amdhsa_kernarg_size 280
		.amdhsa_user_sgpr_count 15
		.amdhsa_user_sgpr_dispatch_ptr 0
		.amdhsa_user_sgpr_queue_ptr 0
		.amdhsa_user_sgpr_kernarg_segment_ptr 1
		.amdhsa_user_sgpr_dispatch_id 0
		.amdhsa_user_sgpr_private_segment_size 0
		.amdhsa_wavefront_size32 1
		.amdhsa_uses_dynamic_stack 0
		.amdhsa_enable_private_segment 0
		.amdhsa_system_sgpr_workgroup_id_x 1
		.amdhsa_system_sgpr_workgroup_id_y 0
		.amdhsa_system_sgpr_workgroup_id_z 0
		.amdhsa_system_sgpr_workgroup_info 0
		.amdhsa_system_vgpr_workitem_id 0
		.amdhsa_next_free_vgpr 11
		.amdhsa_next_free_sgpr 16
		.amdhsa_reserve_vcc 1
		.amdhsa_float_round_mode_32 0
		.amdhsa_float_round_mode_16_64 0
		.amdhsa_float_denorm_mode_32 3
		.amdhsa_float_denorm_mode_16_64 3
		.amdhsa_dx10_clamp 1
		.amdhsa_ieee_mode 1
		.amdhsa_fp16_overflow 0
		.amdhsa_workgroup_processor_mode 1
		.amdhsa_memory_ordered 1
		.amdhsa_forward_progress 0
		.amdhsa_shared_vgpr_count 0
		.amdhsa_exception_fp_ieee_invalid_op 0
		.amdhsa_exception_fp_denorm_src 0
		.amdhsa_exception_fp_ieee_div_zero 0
		.amdhsa_exception_fp_ieee_overflow 0
		.amdhsa_exception_fp_ieee_underflow 0
		.amdhsa_exception_fp_ieee_inexact 0
		.amdhsa_exception_int_div_zero 0
	.end_amdhsa_kernel
	.section	.text._ZN9rocsparseL25csrgemm_max_row_nnz_part1ILj256EllEEvT1_PKT0_PS1_,"axG",@progbits,_ZN9rocsparseL25csrgemm_max_row_nnz_part1ILj256EllEEvT1_PKT0_PS1_,comdat
.Lfunc_end87:
	.size	_ZN9rocsparseL25csrgemm_max_row_nnz_part1ILj256EllEEvT1_PKT0_PS1_, .Lfunc_end87-_ZN9rocsparseL25csrgemm_max_row_nnz_part1ILj256EllEEvT1_PKT0_PS1_
                                        ; -- End function
	.section	.AMDGPU.csdata,"",@progbits
; Kernel info:
; codeLenInByte = 896
; NumSgprs: 18
; NumVgprs: 11
; ScratchSize: 0
; MemoryBound: 0
; FloatMode: 240
; IeeeMode: 1
; LDSByteSize: 2048 bytes/workgroup (compile time only)
; SGPRBlocks: 2
; VGPRBlocks: 1
; NumSGPRsForWavesPerEU: 18
; NumVGPRsForWavesPerEU: 11
; Occupancy: 16
; WaveLimiterHint : 0
; COMPUTE_PGM_RSRC2:SCRATCH_EN: 0
; COMPUTE_PGM_RSRC2:USER_SGPR: 15
; COMPUTE_PGM_RSRC2:TRAP_HANDLER: 0
; COMPUTE_PGM_RSRC2:TGID_X_EN: 1
; COMPUTE_PGM_RSRC2:TGID_Y_EN: 0
; COMPUTE_PGM_RSRC2:TGID_Z_EN: 0
; COMPUTE_PGM_RSRC2:TIDIG_COMP_CNT: 0
	.section	.text._ZN9rocsparseL25csrgemm_max_row_nnz_part2ILj256ElEEvPT0_,"axG",@progbits,_ZN9rocsparseL25csrgemm_max_row_nnz_part2ILj256ElEEvPT0_,comdat
	.globl	_ZN9rocsparseL25csrgemm_max_row_nnz_part2ILj256ElEEvPT0_ ; -- Begin function _ZN9rocsparseL25csrgemm_max_row_nnz_part2ILj256ElEEvPT0_
	.p2align	8
	.type	_ZN9rocsparseL25csrgemm_max_row_nnz_part2ILj256ElEEvPT0_,@function
_ZN9rocsparseL25csrgemm_max_row_nnz_part2ILj256ElEEvPT0_: ; @_ZN9rocsparseL25csrgemm_max_row_nnz_part2ILj256ElEEvPT0_
; %bb.0:
	s_load_b64 s[2:3], s[0:1], 0x0
	v_lshlrev_b32_e32 v1, 3, v0
	s_mov_b32 s0, exec_lo
	s_waitcnt lgkmcnt(0)
	global_load_b64 v[2:3], v1, s[2:3]
	s_waitcnt vmcnt(0)
	ds_store_b64 v1, v[2:3]
	s_waitcnt lgkmcnt(0)
	s_barrier
	buffer_gl0_inv
	v_cmpx_gt_u32_e32 0x80, v0
	s_cbranch_execz .LBB88_2
; %bb.1:
	ds_load_2addr_stride64_b64 v[2:5], v1 offset1:2
	s_waitcnt lgkmcnt(0)
	v_cmp_gt_i64_e32 vcc_lo, v[2:3], v[4:5]
	v_dual_cndmask_b32 v3, v5, v3 :: v_dual_cndmask_b32 v2, v4, v2
	ds_store_b64 v1, v[2:3]
.LBB88_2:
	s_or_b32 exec_lo, exec_lo, s0
	s_delay_alu instid0(SALU_CYCLE_1)
	s_mov_b32 s0, exec_lo
	s_waitcnt lgkmcnt(0)
	s_barrier
	buffer_gl0_inv
	v_cmpx_gt_u32_e32 64, v0
	s_cbranch_execz .LBB88_4
; %bb.3:
	ds_load_2addr_stride64_b64 v[2:5], v1 offset1:1
	s_waitcnt lgkmcnt(0)
	v_cmp_gt_i64_e32 vcc_lo, v[2:3], v[4:5]
	v_dual_cndmask_b32 v3, v5, v3 :: v_dual_cndmask_b32 v2, v4, v2
	ds_store_b64 v1, v[2:3]
.LBB88_4:
	s_or_b32 exec_lo, exec_lo, s0
	s_delay_alu instid0(SALU_CYCLE_1)
	s_mov_b32 s0, exec_lo
	s_waitcnt lgkmcnt(0)
	s_barrier
	buffer_gl0_inv
	v_cmpx_gt_u32_e32 32, v0
	s_cbranch_execz .LBB88_6
; %bb.5:
	ds_load_2addr_b64 v[2:5], v1 offset1:32
	s_waitcnt lgkmcnt(0)
	v_cmp_gt_i64_e32 vcc_lo, v[2:3], v[4:5]
	v_dual_cndmask_b32 v3, v5, v3 :: v_dual_cndmask_b32 v2, v4, v2
	ds_store_b64 v1, v[2:3]
.LBB88_6:
	s_or_b32 exec_lo, exec_lo, s0
	s_delay_alu instid0(SALU_CYCLE_1)
	s_mov_b32 s0, exec_lo
	s_waitcnt lgkmcnt(0)
	s_barrier
	buffer_gl0_inv
	v_cmpx_gt_u32_e32 16, v0
	s_cbranch_execz .LBB88_8
; %bb.7:
	ds_load_2addr_b64 v[2:5], v1 offset1:16
	s_waitcnt lgkmcnt(0)
	v_cmp_gt_i64_e32 vcc_lo, v[2:3], v[4:5]
	v_dual_cndmask_b32 v3, v5, v3 :: v_dual_cndmask_b32 v2, v4, v2
	ds_store_b64 v1, v[2:3]
.LBB88_8:
	;; [unrolled: 15-line block ×5, first 2 shown]
	s_or_b32 exec_lo, exec_lo, s0
	v_cmp_eq_u32_e32 vcc_lo, 0, v0
	s_waitcnt lgkmcnt(0)
	s_barrier
	buffer_gl0_inv
	s_and_saveexec_b32 s1, vcc_lo
	s_cbranch_execz .LBB88_16
; %bb.15:
	v_mov_b32_e32 v4, 0
	ds_load_b128 v[0:3], v4
	s_waitcnt lgkmcnt(0)
	v_cmp_gt_i64_e64 s0, v[0:1], v[2:3]
	s_delay_alu instid0(VALU_DEP_1)
	v_cndmask_b32_e64 v1, v3, v1, s0
	v_cndmask_b32_e64 v0, v2, v0, s0
	ds_store_b64 v4, v[0:1]
.LBB88_16:
	s_or_b32 exec_lo, exec_lo, s1
	s_waitcnt lgkmcnt(0)
	s_barrier
	buffer_gl0_inv
	s_and_saveexec_b32 s0, vcc_lo
	s_cbranch_execz .LBB88_18
; %bb.17:
	v_mov_b32_e32 v2, 0
	ds_load_b64 v[0:1], v2
	s_waitcnt lgkmcnt(0)
	global_store_b64 v2, v[0:1], s[2:3]
.LBB88_18:
	s_nop 0
	s_sendmsg sendmsg(MSG_DEALLOC_VGPRS)
	s_endpgm
	.section	.rodata,"a",@progbits
	.p2align	6, 0x0
	.amdhsa_kernel _ZN9rocsparseL25csrgemm_max_row_nnz_part2ILj256ElEEvPT0_
		.amdhsa_group_segment_fixed_size 2048
		.amdhsa_private_segment_fixed_size 0
		.amdhsa_kernarg_size 8
		.amdhsa_user_sgpr_count 15
		.amdhsa_user_sgpr_dispatch_ptr 0
		.amdhsa_user_sgpr_queue_ptr 0
		.amdhsa_user_sgpr_kernarg_segment_ptr 1
		.amdhsa_user_sgpr_dispatch_id 0
		.amdhsa_user_sgpr_private_segment_size 0
		.amdhsa_wavefront_size32 1
		.amdhsa_uses_dynamic_stack 0
		.amdhsa_enable_private_segment 0
		.amdhsa_system_sgpr_workgroup_id_x 1
		.amdhsa_system_sgpr_workgroup_id_y 0
		.amdhsa_system_sgpr_workgroup_id_z 0
		.amdhsa_system_sgpr_workgroup_info 0
		.amdhsa_system_vgpr_workitem_id 0
		.amdhsa_next_free_vgpr 6
		.amdhsa_next_free_sgpr 4
		.amdhsa_reserve_vcc 1
		.amdhsa_float_round_mode_32 0
		.amdhsa_float_round_mode_16_64 0
		.amdhsa_float_denorm_mode_32 3
		.amdhsa_float_denorm_mode_16_64 3
		.amdhsa_dx10_clamp 1
		.amdhsa_ieee_mode 1
		.amdhsa_fp16_overflow 0
		.amdhsa_workgroup_processor_mode 1
		.amdhsa_memory_ordered 1
		.amdhsa_forward_progress 0
		.amdhsa_shared_vgpr_count 0
		.amdhsa_exception_fp_ieee_invalid_op 0
		.amdhsa_exception_fp_denorm_src 0
		.amdhsa_exception_fp_ieee_div_zero 0
		.amdhsa_exception_fp_ieee_overflow 0
		.amdhsa_exception_fp_ieee_underflow 0
		.amdhsa_exception_fp_ieee_inexact 0
		.amdhsa_exception_int_div_zero 0
	.end_amdhsa_kernel
	.section	.text._ZN9rocsparseL25csrgemm_max_row_nnz_part2ILj256ElEEvPT0_,"axG",@progbits,_ZN9rocsparseL25csrgemm_max_row_nnz_part2ILj256ElEEvPT0_,comdat
.Lfunc_end88:
	.size	_ZN9rocsparseL25csrgemm_max_row_nnz_part2ILj256ElEEvPT0_, .Lfunc_end88-_ZN9rocsparseL25csrgemm_max_row_nnz_part2ILj256ElEEvPT0_
                                        ; -- End function
	.section	.AMDGPU.csdata,"",@progbits
; Kernel info:
; codeLenInByte = 656
; NumSgprs: 6
; NumVgprs: 6
; ScratchSize: 0
; MemoryBound: 0
; FloatMode: 240
; IeeeMode: 1
; LDSByteSize: 2048 bytes/workgroup (compile time only)
; SGPRBlocks: 0
; VGPRBlocks: 0
; NumSGPRsForWavesPerEU: 6
; NumVGPRsForWavesPerEU: 6
; Occupancy: 16
; WaveLimiterHint : 0
; COMPUTE_PGM_RSRC2:SCRATCH_EN: 0
; COMPUTE_PGM_RSRC2:USER_SGPR: 15
; COMPUTE_PGM_RSRC2:TRAP_HANDLER: 0
; COMPUTE_PGM_RSRC2:TGID_X_EN: 1
; COMPUTE_PGM_RSRC2:TGID_Y_EN: 0
; COMPUTE_PGM_RSRC2:TGID_Z_EN: 0
; COMPUTE_PGM_RSRC2:TIDIG_COMP_CNT: 0
	.section	.text._ZN9rocsparseL26csrgemm_group_reduce_part2ILj256ELj11EfllEEvT3_PKT2_PS1_Pij,"axG",@progbits,_ZN9rocsparseL26csrgemm_group_reduce_part2ILj256ELj11EfllEEvT3_PKT2_PS1_Pij,comdat
	.globl	_ZN9rocsparseL26csrgemm_group_reduce_part2ILj256ELj11EfllEEvT3_PKT2_PS1_Pij ; -- Begin function _ZN9rocsparseL26csrgemm_group_reduce_part2ILj256ELj11EfllEEvT3_PKT2_PS1_Pij
	.p2align	8
	.type	_ZN9rocsparseL26csrgemm_group_reduce_part2ILj256ELj11EfllEEvT3_PKT2_PS1_Pij,@function
_ZN9rocsparseL26csrgemm_group_reduce_part2ILj256ELj11EfllEEvT3_PKT2_PS1_Pij: ; @_ZN9rocsparseL26csrgemm_group_reduce_part2ILj256ELj11EfllEEvT3_PKT2_PS1_Pij
; %bb.0:
	s_clause 0x1
	s_load_b64 s[4:5], s[0:1], 0x0
	s_load_b64 s[2:3], s[0:1], 0x10
	v_mul_u32_u24_e32 v1, 11, v0
	v_mov_b32_e32 v2, 0
	s_mov_b32 s7, 0
	v_lshl_or_b32 v7, s15, 8, v0
	s_mov_b32 s6, s7
	v_lshlrev_b32_e32 v11, 3, v1
	v_mov_b32_e32 v1, v2
	s_mov_b32 s8, s7
	s_mov_b32 s9, s7
	v_mov_b32_e32 v3, s6
	v_dual_mov_b32 v5, s8 :: v_dual_mov_b32 v6, s9
	v_mov_b32_e32 v4, s7
	ds_store_b64 v11, v[1:2] offset:80
	v_mov_b32_e32 v1, v7
	s_mov_b32 s12, exec_lo
	ds_store_2addr_b64 v11, v[3:4], v[5:6] offset0:8 offset1:9
	ds_store_2addr_b64 v11, v[3:4], v[5:6] offset1:1
	ds_store_2addr_b64 v11, v[3:4], v[5:6] offset0:2 offset1:3
	ds_store_2addr_b64 v11, v[3:4], v[5:6] offset0:4 offset1:5
	;; [unrolled: 1-line block ×3, first 2 shown]
	s_waitcnt lgkmcnt(0)
	buffer_gl0_inv
	v_cmpx_gt_i64_e64 s[4:5], v[1:2]
	s_cbranch_execz .LBB89_43
; %bb.1:
	s_clause 0x3
	s_load_b32 s6, s[0:1], 0x20
	s_load_b64 s[8:9], s[0:1], 0x18
	s_load_b64 s[10:11], s[0:1], 0x8
	s_load_b32 s0, s[0:1], 0x28
	v_lshlrev_b64 v[3:4], 2, v[1:2]
	v_lshlrev_b64 v[5:6], 3, v[1:2]
	v_dual_mov_b32 v12, 6 :: v_dual_mov_b32 v13, 7
	v_dual_mov_b32 v14, 8 :: v_dual_mov_b32 v15, 9
	;; [unrolled: 1-line block ×6, first 2 shown]
	s_waitcnt lgkmcnt(0)
	s_cmpk_lt_u32 s6, 0xc108
	v_add_co_u32 v3, vcc_lo, s8, v3
	s_cselect_b32 s1, -1, 0
	s_cmp_lt_u32 s6, 0x18108
	v_add_co_ci_u32_e32 v4, vcc_lo, s9, v4, vcc_lo
	s_cselect_b32 s13, -1, 0
	s_cmp_lt_u32 s6, 0x30108
	v_add_co_u32 v5, vcc_lo, s10, v5
	s_cselect_b32 s14, -1, 0
	s_cmp_lt_u32 s6, 0x60108
	v_add_co_ci_u32_e32 v6, vcc_lo, s11, v6, vcc_lo
	s_cselect_b32 s16, -1, 0
	s_lshl_b32 s6, s0, 8
	s_xor_b32 s1, s1, -1
	s_lshl_b64 s[8:9], s[6:7], 2
	s_lshl_b64 s[10:11], s[6:7], 3
	s_xor_b32 s13, s13, -1
	s_xor_b32 s14, s14, -1
	;; [unrolled: 1-line block ×3, first 2 shown]
	s_branch .LBB89_3
.LBB89_2:                               ;   in Loop: Header=BB89_3 Depth=1
	s_or_b32 exec_lo, exec_lo, s0
	v_add_co_u32 v7, vcc_lo, v7, s6
	v_add_co_ci_u32_e32 v8, vcc_lo, 0, v8, vcc_lo
	v_add_co_u32 v3, vcc_lo, v3, s8
	v_add_co_ci_u32_e32 v4, vcc_lo, s9, v4, vcc_lo
	s_delay_alu instid0(VALU_DEP_3) | instskip(SKIP_1) | instid1(VALU_DEP_1)
	v_cmp_le_i64_e32 vcc_lo, s[4:5], v[7:8]
	v_add_co_u32 v5, s0, v5, s10
	v_add_co_ci_u32_e64 v6, s0, s11, v6, s0
	s_or_b32 s7, vcc_lo, s7
	s_delay_alu instid0(SALU_CYCLE_1)
	s_and_not1_b32 exec_lo, exec_lo, s7
	s_cbranch_execz .LBB89_43
.LBB89_3:                               ; =>This Inner Loop Header: Depth=1
	global_load_b128 v[22:25], v[5:6], off
	s_mov_b32 s0, exec_lo
	s_waitcnt vmcnt(0)
	v_sub_co_u32 v9, vcc_lo, v24, v22
	v_sub_co_ci_u32_e32 v10, vcc_lo, v25, v23, vcc_lo
	s_delay_alu instid0(VALU_DEP_1)
	v_cmpx_lt_i64_e32 16, v[9:10]
	s_xor_b32 s0, exec_lo, s0
	s_cbranch_execz .LBB89_41
; %bb.4:                                ;   in Loop: Header=BB89_3 Depth=1
	s_mov_b32 s17, exec_lo
	v_cmpx_lt_u64_e32 32, v[9:10]
	s_xor_b32 s17, exec_lo, s17
	s_cbranch_execz .LBB89_38
; %bb.5:                                ;   in Loop: Header=BB89_3 Depth=1
	s_mov_b32 s18, exec_lo
	v_cmpx_lt_u64_e32 0x100, v[9:10]
	;; [unrolled: 5-line block ×5, first 2 shown]
	s_xor_b32 s21, exec_lo, s21
	s_cbranch_execz .LBB89_26
; %bb.9:                                ;   in Loop: Header=BB89_3 Depth=1
	v_cmp_gt_u64_e32 vcc_lo, 0x1001, v[9:10]
	s_and_b32 s22, s1, vcc_lo
	s_delay_alu instid0(SALU_CYCLE_1) | instskip(NEXT) | instid1(SALU_CYCLE_1)
	s_and_saveexec_b32 s23, s22
	s_xor_b32 s22, exec_lo, s23
	s_cbranch_execz .LBB89_11
; %bb.10:                               ;   in Loop: Header=BB89_3 Depth=1
	ds_load_b64 v[9:10], v11 offset:48
	global_store_b32 v[3:4], v12, off
	s_waitcnt lgkmcnt(0)
	v_add_co_u32 v9, vcc_lo, v9, 1
	v_add_co_ci_u32_e32 v10, vcc_lo, 0, v10, vcc_lo
	ds_store_b64 v11, v[9:10] offset:48
                                        ; implicit-def: $vgpr9_vgpr10
.LBB89_11:                              ;   in Loop: Header=BB89_3 Depth=1
	s_and_not1_saveexec_b32 s22, s22
	s_cbranch_execz .LBB89_25
; %bb.12:                               ;   in Loop: Header=BB89_3 Depth=1
	v_cmp_gt_u64_e32 vcc_lo, 0x2001, v[9:10]
	s_and_b32 s23, s13, vcc_lo
	s_delay_alu instid0(SALU_CYCLE_1) | instskip(NEXT) | instid1(SALU_CYCLE_1)
	s_and_saveexec_b32 s24, s23
	s_xor_b32 s23, exec_lo, s24
	s_cbranch_execz .LBB89_14
; %bb.13:                               ;   in Loop: Header=BB89_3 Depth=1
	ds_load_b64 v[9:10], v11 offset:56
	global_store_b32 v[3:4], v13, off
	s_waitcnt lgkmcnt(0)
	v_add_co_u32 v9, vcc_lo, v9, 1
	v_add_co_ci_u32_e32 v10, vcc_lo, 0, v10, vcc_lo
	ds_store_b64 v11, v[9:10] offset:56
                                        ; implicit-def: $vgpr9_vgpr10
.LBB89_14:                              ;   in Loop: Header=BB89_3 Depth=1
	s_and_not1_saveexec_b32 s23, s23
	s_cbranch_execz .LBB89_24
; %bb.15:                               ;   in Loop: Header=BB89_3 Depth=1
	;; [unrolled: 18-line block ×3, first 2 shown]
	v_cmp_gt_u64_e32 vcc_lo, 0x8001, v[9:10]
	s_and_b32 s25, s16, vcc_lo
	s_delay_alu instid0(SALU_CYCLE_1) | instskip(NEXT) | instid1(SALU_CYCLE_1)
	s_and_saveexec_b32 s26, s25
	s_xor_b32 s25, exec_lo, s26
	s_cbranch_execz .LBB89_20
; %bb.19:                               ;   in Loop: Header=BB89_3 Depth=1
	ds_load_b64 v[9:10], v11 offset:72
	global_store_b32 v[3:4], v15, off
	s_waitcnt lgkmcnt(0)
	v_add_co_u32 v9, vcc_lo, v9, 1
	v_add_co_ci_u32_e32 v10, vcc_lo, 0, v10, vcc_lo
	ds_store_b64 v11, v[9:10] offset:72
.LBB89_20:                              ;   in Loop: Header=BB89_3 Depth=1
	s_and_not1_saveexec_b32 s25, s25
	s_cbranch_execz .LBB89_22
; %bb.21:                               ;   in Loop: Header=BB89_3 Depth=1
	ds_load_b64 v[9:10], v11 offset:80
	global_store_b32 v[3:4], v16, off
	s_waitcnt lgkmcnt(0)
	v_add_co_u32 v9, vcc_lo, v9, 1
	v_add_co_ci_u32_e32 v10, vcc_lo, 0, v10, vcc_lo
	ds_store_b64 v11, v[9:10] offset:80
.LBB89_22:                              ;   in Loop: Header=BB89_3 Depth=1
	s_or_b32 exec_lo, exec_lo, s25
.LBB89_23:                              ;   in Loop: Header=BB89_3 Depth=1
	s_delay_alu instid0(SALU_CYCLE_1)
	s_or_b32 exec_lo, exec_lo, s24
.LBB89_24:                              ;   in Loop: Header=BB89_3 Depth=1
	s_delay_alu instid0(SALU_CYCLE_1)
	s_or_b32 exec_lo, exec_lo, s23
.LBB89_25:                              ;   in Loop: Header=BB89_3 Depth=1
	s_delay_alu instid0(SALU_CYCLE_1)
	s_or_b32 exec_lo, exec_lo, s22
.LBB89_26:                              ;   in Loop: Header=BB89_3 Depth=1
	s_and_not1_saveexec_b32 s21, s21
	s_cbranch_execz .LBB89_28
; %bb.27:                               ;   in Loop: Header=BB89_3 Depth=1
	ds_load_b64 v[9:10], v11 offset:40
	global_store_b32 v[3:4], v17, off
	s_waitcnt lgkmcnt(0)
	v_add_co_u32 v9, vcc_lo, v9, 1
	v_add_co_ci_u32_e32 v10, vcc_lo, 0, v10, vcc_lo
	ds_store_b64 v11, v[9:10] offset:40
.LBB89_28:                              ;   in Loop: Header=BB89_3 Depth=1
	s_or_b32 exec_lo, exec_lo, s21
.LBB89_29:                              ;   in Loop: Header=BB89_3 Depth=1
	s_and_not1_saveexec_b32 s20, s20
	s_cbranch_execz .LBB89_31
; %bb.30:                               ;   in Loop: Header=BB89_3 Depth=1
	ds_load_b64 v[9:10], v11 offset:32
	global_store_b32 v[3:4], v18, off
	s_waitcnt lgkmcnt(0)
	v_add_co_u32 v9, vcc_lo, v9, 1
	v_add_co_ci_u32_e32 v10, vcc_lo, 0, v10, vcc_lo
	ds_store_b64 v11, v[9:10] offset:32
.LBB89_31:                              ;   in Loop: Header=BB89_3 Depth=1
	s_or_b32 exec_lo, exec_lo, s20
.LBB89_32:                              ;   in Loop: Header=BB89_3 Depth=1
	s_and_not1_saveexec_b32 s19, s19
	s_cbranch_execz .LBB89_34
; %bb.33:                               ;   in Loop: Header=BB89_3 Depth=1
	ds_load_b64 v[9:10], v11 offset:24
	global_store_b32 v[3:4], v19, off
	s_waitcnt lgkmcnt(0)
	v_add_co_u32 v9, vcc_lo, v9, 1
	v_add_co_ci_u32_e32 v10, vcc_lo, 0, v10, vcc_lo
	ds_store_b64 v11, v[9:10] offset:24
.LBB89_34:                              ;   in Loop: Header=BB89_3 Depth=1
	s_or_b32 exec_lo, exec_lo, s19
.LBB89_35:                              ;   in Loop: Header=BB89_3 Depth=1
	s_and_not1_saveexec_b32 s18, s18
	s_cbranch_execz .LBB89_37
; %bb.36:                               ;   in Loop: Header=BB89_3 Depth=1
	ds_load_b64 v[9:10], v11 offset:16
	global_store_b32 v[3:4], v20, off
	s_waitcnt lgkmcnt(0)
	v_add_co_u32 v9, vcc_lo, v9, 1
	v_add_co_ci_u32_e32 v10, vcc_lo, 0, v10, vcc_lo
	ds_store_b64 v11, v[9:10] offset:16
.LBB89_37:                              ;   in Loop: Header=BB89_3 Depth=1
	s_or_b32 exec_lo, exec_lo, s18
.LBB89_38:                              ;   in Loop: Header=BB89_3 Depth=1
	s_and_not1_saveexec_b32 s17, s17
	s_cbranch_execz .LBB89_40
; %bb.39:                               ;   in Loop: Header=BB89_3 Depth=1
	ds_load_b64 v[9:10], v11 offset:8
	global_store_b32 v[3:4], v21, off
	s_waitcnt lgkmcnt(0)
	v_add_co_u32 v9, vcc_lo, v9, 1
	v_add_co_ci_u32_e32 v10, vcc_lo, 0, v10, vcc_lo
	ds_store_b64 v11, v[9:10] offset:8
.LBB89_40:                              ;   in Loop: Header=BB89_3 Depth=1
	s_or_b32 exec_lo, exec_lo, s17
.LBB89_41:                              ;   in Loop: Header=BB89_3 Depth=1
	s_and_not1_saveexec_b32 s0, s0
	s_cbranch_execz .LBB89_2
; %bb.42:                               ;   in Loop: Header=BB89_3 Depth=1
	ds_load_b64 v[9:10], v11
	global_store_b32 v[3:4], v2, off
	s_waitcnt lgkmcnt(0)
	v_add_co_u32 v9, vcc_lo, v9, 1
	v_add_co_ci_u32_e32 v10, vcc_lo, 0, v10, vcc_lo
	ds_store_b64 v11, v[9:10]
	s_branch .LBB89_2
.LBB89_43:
	s_or_b32 exec_lo, exec_lo, s12
	s_delay_alu instid0(SALU_CYCLE_1)
	s_mov_b32 s0, exec_lo
	s_waitcnt lgkmcnt(0)
	s_waitcnt_vscnt null, 0x0
	s_barrier
	buffer_gl0_inv
	s_barrier
	buffer_gl0_inv
	;; [unrolled: 2-line block ×3, first 2 shown]
	v_cmpx_gt_u32_e32 0x80, v0
	s_cbranch_execz .LBB89_45
; %bb.44:
	v_add_nc_u32_e32 v1, 0x2c00, v11
	v_add_nc_u32_e32 v9, 0x2c10, v11
	;; [unrolled: 1-line block ×4, first 2 shown]
	ds_load_2addr_b64 v[1:4], v1 offset1:1
	ds_load_2addr_b64 v[5:8], v11 offset1:1
	ds_load_2addr_b64 v[12:15], v11 offset0:2 offset1:3
	ds_load_2addr_b64 v[16:19], v9 offset1:1
	v_add_nc_u32_e32 v9, 0x2c20, v11
	ds_load_2addr_b64 v[20:23], v11 offset0:4 offset1:5
	ds_load_2addr_b64 v[24:27], v11 offset0:6 offset1:7
	ds_load_2addr_b64 v[28:31], v9 offset1:1
	ds_load_2addr_b64 v[32:35], v10 offset1:1
	ds_load_2addr_b64 v[36:39], v11 offset0:8 offset1:9
	s_waitcnt lgkmcnt(7)
	v_add_co_u32 v9, vcc_lo, v5, v1
	v_add_co_ci_u32_e32 v10, vcc_lo, v6, v2, vcc_lo
	v_add_co_u32 v40, vcc_lo, v7, v3
	v_add_co_ci_u32_e32 v41, vcc_lo, v8, v4, vcc_lo
	ds_load_2addr_b64 v[1:4], v42 offset1:1
	v_add_nc_u32_e32 v5, 0x50, v11
	s_waitcnt lgkmcnt(6)
	v_add_co_u32 v12, vcc_lo, v12, v16
	v_add_co_ci_u32_e32 v13, vcc_lo, v13, v17, vcc_lo
	v_add_co_u32 v14, vcc_lo, v14, v18
	ds_load_2addr_stride64_b64 v[5:8], v5 offset1:22
	v_add_co_ci_u32_e32 v15, vcc_lo, v15, v19, vcc_lo
	s_waitcnt lgkmcnt(4)
	v_add_co_u32 v16, vcc_lo, v20, v28
	v_add_co_ci_u32_e32 v17, vcc_lo, v21, v29, vcc_lo
	v_add_co_u32 v18, vcc_lo, v22, v30
	v_add_co_ci_u32_e32 v19, vcc_lo, v23, v31, vcc_lo
	s_waitcnt lgkmcnt(3)
	v_add_co_u32 v20, vcc_lo, v24, v32
	v_add_co_ci_u32_e32 v21, vcc_lo, v25, v33, vcc_lo
	v_add_co_u32 v22, vcc_lo, v26, v34
	v_add_co_ci_u32_e32 v23, vcc_lo, v27, v35, vcc_lo
	s_waitcnt lgkmcnt(1)
	v_add_co_u32 v1, vcc_lo, v36, v1
	v_add_co_ci_u32_e32 v2, vcc_lo, v37, v2, vcc_lo
	v_add_co_u32 v3, vcc_lo, v38, v3
	v_add_co_ci_u32_e32 v4, vcc_lo, v39, v4, vcc_lo
	s_waitcnt lgkmcnt(0)
	v_add_co_u32 v5, vcc_lo, v5, v7
	v_add_co_ci_u32_e32 v6, vcc_lo, v6, v8, vcc_lo
	ds_store_2addr_b64 v11, v[9:10], v[40:41] offset1:1
	ds_store_2addr_b64 v11, v[12:13], v[14:15] offset0:2 offset1:3
	ds_store_2addr_b64 v11, v[16:17], v[18:19] offset0:4 offset1:5
	;; [unrolled: 1-line block ×4, first 2 shown]
	ds_store_b64 v11, v[5:6] offset:80
.LBB89_45:
	s_or_b32 exec_lo, exec_lo, s0
	s_delay_alu instid0(SALU_CYCLE_1)
	s_mov_b32 s0, exec_lo
	s_waitcnt lgkmcnt(0)
	s_barrier
	buffer_gl0_inv
	v_cmpx_gt_u32_e32 64, v0
	s_cbranch_execz .LBB89_47
; %bb.46:
	v_add_nc_u32_e32 v1, 0x1600, v11
	v_add_nc_u32_e32 v9, 0x1610, v11
	;; [unrolled: 1-line block ×4, first 2 shown]
	ds_load_2addr_b64 v[1:4], v1 offset1:1
	ds_load_2addr_b64 v[5:8], v11 offset1:1
	ds_load_2addr_b64 v[12:15], v11 offset0:2 offset1:3
	ds_load_2addr_b64 v[16:19], v9 offset1:1
	v_add_nc_u32_e32 v9, 0x1620, v11
	ds_load_2addr_b64 v[20:23], v11 offset0:4 offset1:5
	ds_load_2addr_b64 v[24:27], v11 offset0:6 offset1:7
	ds_load_2addr_b64 v[28:31], v9 offset1:1
	ds_load_2addr_b64 v[32:35], v10 offset1:1
	ds_load_2addr_b64 v[36:39], v11 offset0:8 offset1:9
	s_waitcnt lgkmcnt(7)
	v_add_co_u32 v9, vcc_lo, v5, v1
	v_add_co_ci_u32_e32 v10, vcc_lo, v6, v2, vcc_lo
	v_add_co_u32 v40, vcc_lo, v7, v3
	v_add_co_ci_u32_e32 v41, vcc_lo, v8, v4, vcc_lo
	ds_load_2addr_b64 v[1:4], v42 offset1:1
	v_add_nc_u32_e32 v5, 0x50, v11
	s_waitcnt lgkmcnt(6)
	v_add_co_u32 v12, vcc_lo, v12, v16
	v_add_co_ci_u32_e32 v13, vcc_lo, v13, v17, vcc_lo
	v_add_co_u32 v14, vcc_lo, v14, v18
	ds_load_2addr_stride64_b64 v[5:8], v5 offset1:11
	v_add_co_ci_u32_e32 v15, vcc_lo, v15, v19, vcc_lo
	s_waitcnt lgkmcnt(4)
	v_add_co_u32 v16, vcc_lo, v20, v28
	v_add_co_ci_u32_e32 v17, vcc_lo, v21, v29, vcc_lo
	v_add_co_u32 v18, vcc_lo, v22, v30
	v_add_co_ci_u32_e32 v19, vcc_lo, v23, v31, vcc_lo
	s_waitcnt lgkmcnt(3)
	v_add_co_u32 v20, vcc_lo, v24, v32
	v_add_co_ci_u32_e32 v21, vcc_lo, v25, v33, vcc_lo
	v_add_co_u32 v22, vcc_lo, v26, v34
	v_add_co_ci_u32_e32 v23, vcc_lo, v27, v35, vcc_lo
	s_waitcnt lgkmcnt(1)
	v_add_co_u32 v1, vcc_lo, v36, v1
	v_add_co_ci_u32_e32 v2, vcc_lo, v37, v2, vcc_lo
	v_add_co_u32 v3, vcc_lo, v38, v3
	v_add_co_ci_u32_e32 v4, vcc_lo, v39, v4, vcc_lo
	s_waitcnt lgkmcnt(0)
	v_add_co_u32 v5, vcc_lo, v5, v7
	v_add_co_ci_u32_e32 v6, vcc_lo, v6, v8, vcc_lo
	ds_store_2addr_b64 v11, v[9:10], v[40:41] offset1:1
	ds_store_2addr_b64 v11, v[12:13], v[14:15] offset0:2 offset1:3
	ds_store_2addr_b64 v11, v[16:17], v[18:19] offset0:4 offset1:5
	;; [unrolled: 1-line block ×4, first 2 shown]
	ds_store_b64 v11, v[5:6] offset:80
.LBB89_47:
	s_or_b32 exec_lo, exec_lo, s0
	s_delay_alu instid0(SALU_CYCLE_1)
	s_mov_b32 s0, exec_lo
	s_waitcnt lgkmcnt(0)
	s_barrier
	buffer_gl0_inv
	v_cmpx_gt_u32_e32 32, v0
	s_cbranch_execz .LBB89_49
; %bb.48:
	v_add_nc_u32_e32 v1, 0xb00, v11
	v_add_nc_u32_e32 v9, 0xb10, v11
	;; [unrolled: 1-line block ×4, first 2 shown]
	ds_load_2addr_b64 v[1:4], v1 offset1:1
	ds_load_2addr_b64 v[5:8], v11 offset1:1
	ds_load_2addr_b64 v[12:15], v11 offset0:2 offset1:3
	ds_load_2addr_b64 v[16:19], v9 offset1:1
	v_add_nc_u32_e32 v9, 0xb20, v11
	ds_load_2addr_b64 v[20:23], v11 offset0:4 offset1:5
	ds_load_2addr_b64 v[24:27], v11 offset0:6 offset1:7
	ds_load_2addr_b64 v[28:31], v9 offset1:1
	ds_load_2addr_b64 v[32:35], v10 offset1:1
	ds_load_b64 v[9:10], v11 offset:2896
	s_waitcnt lgkmcnt(7)
	v_add_co_u32 v36, vcc_lo, v5, v1
	v_add_co_ci_u32_e32 v37, vcc_lo, v6, v2, vcc_lo
	v_add_co_u32 v38, vcc_lo, v7, v3
	v_add_co_ci_u32_e32 v39, vcc_lo, v8, v4, vcc_lo
	ds_load_2addr_b64 v[1:4], v40 offset1:1
	ds_load_2addr_b64 v[5:8], v11 offset0:8 offset1:9
	s_waitcnt lgkmcnt(7)
	v_add_co_u32 v12, vcc_lo, v12, v16
	v_add_co_ci_u32_e32 v13, vcc_lo, v13, v17, vcc_lo
	v_add_co_u32 v14, vcc_lo, v14, v18
	v_add_co_ci_u32_e32 v15, vcc_lo, v15, v19, vcc_lo
	ds_load_b64 v[18:19], v11 offset:80
	s_waitcnt lgkmcnt(5)
	v_add_co_u32 v16, vcc_lo, v20, v28
	v_add_co_ci_u32_e32 v17, vcc_lo, v21, v29, vcc_lo
	v_add_co_u32 v20, vcc_lo, v22, v30
	v_add_co_ci_u32_e32 v21, vcc_lo, v23, v31, vcc_lo
	s_waitcnt lgkmcnt(4)
	v_add_co_u32 v22, vcc_lo, v24, v32
	v_add_co_ci_u32_e32 v23, vcc_lo, v25, v33, vcc_lo
	v_add_co_u32 v24, vcc_lo, v26, v34
	v_add_co_ci_u32_e32 v25, vcc_lo, v27, v35, vcc_lo
	;; [unrolled: 5-line block ×3, first 2 shown]
	s_waitcnt lgkmcnt(0)
	v_add_co_u32 v5, vcc_lo, v18, v9
	v_add_co_ci_u32_e32 v6, vcc_lo, v19, v10, vcc_lo
	ds_store_2addr_b64 v11, v[36:37], v[38:39] offset1:1
	ds_store_2addr_b64 v11, v[12:13], v[14:15] offset0:2 offset1:3
	ds_store_2addr_b64 v11, v[16:17], v[20:21] offset0:4 offset1:5
	;; [unrolled: 1-line block ×4, first 2 shown]
	ds_store_b64 v11, v[5:6] offset:80
.LBB89_49:
	s_or_b32 exec_lo, exec_lo, s0
	s_delay_alu instid0(SALU_CYCLE_1)
	s_mov_b32 s0, exec_lo
	s_waitcnt lgkmcnt(0)
	s_barrier
	buffer_gl0_inv
	v_cmpx_gt_u32_e32 16, v0
	s_cbranch_execz .LBB89_51
; %bb.50:
	ds_load_2addr_b64 v[1:4], v11 offset0:176 offset1:177
	ds_load_2addr_b64 v[5:8], v11 offset1:1
	ds_load_2addr_b64 v[12:15], v11 offset0:2 offset1:3
	ds_load_2addr_b64 v[16:19], v11 offset0:178 offset1:179
	ds_load_2addr_b64 v[20:23], v11 offset0:180 offset1:181
	ds_load_2addr_b64 v[24:27], v11 offset0:182 offset1:183
	ds_load_2addr_b64 v[28:31], v11 offset0:4 offset1:5
	ds_load_2addr_b64 v[32:35], v11 offset0:6 offset1:7
	ds_load_2addr_b64 v[36:39], v11 offset0:8 offset1:9
	s_waitcnt lgkmcnt(7)
	v_add_co_u32 v9, vcc_lo, v5, v1
	v_add_co_ci_u32_e32 v10, vcc_lo, v6, v2, vcc_lo
	v_add_co_u32 v40, vcc_lo, v7, v3
	v_add_co_ci_u32_e32 v41, vcc_lo, v8, v4, vcc_lo
	ds_load_2addr_b64 v[1:4], v11 offset0:184 offset1:185
	s_waitcnt lgkmcnt(6)
	v_add_co_u32 v12, vcc_lo, v12, v16
	v_add_co_ci_u32_e32 v13, vcc_lo, v13, v17, vcc_lo
	v_add_co_u32 v14, vcc_lo, v14, v18
	ds_load_2addr_b64 v[5:8], v11 offset0:10 offset1:186
	v_add_co_ci_u32_e32 v15, vcc_lo, v15, v19, vcc_lo
	s_waitcnt lgkmcnt(4)
	v_add_co_u32 v16, vcc_lo, v28, v20
	v_add_co_ci_u32_e32 v17, vcc_lo, v29, v21, vcc_lo
	v_add_co_u32 v18, vcc_lo, v30, v22
	v_add_co_ci_u32_e32 v19, vcc_lo, v31, v23, vcc_lo
	s_waitcnt lgkmcnt(3)
	v_add_co_u32 v20, vcc_lo, v32, v24
	v_add_co_ci_u32_e32 v21, vcc_lo, v33, v25, vcc_lo
	v_add_co_u32 v22, vcc_lo, v34, v26
	v_add_co_ci_u32_e32 v23, vcc_lo, v35, v27, vcc_lo
	s_waitcnt lgkmcnt(1)
	v_add_co_u32 v1, vcc_lo, v36, v1
	v_add_co_ci_u32_e32 v2, vcc_lo, v37, v2, vcc_lo
	v_add_co_u32 v3, vcc_lo, v38, v3
	v_add_co_ci_u32_e32 v4, vcc_lo, v39, v4, vcc_lo
	s_waitcnt lgkmcnt(0)
	v_add_co_u32 v5, vcc_lo, v5, v7
	v_add_co_ci_u32_e32 v6, vcc_lo, v6, v8, vcc_lo
	ds_store_2addr_b64 v11, v[9:10], v[40:41] offset1:1
	ds_store_2addr_b64 v11, v[12:13], v[14:15] offset0:2 offset1:3
	ds_store_2addr_b64 v11, v[16:17], v[18:19] offset0:4 offset1:5
	ds_store_2addr_b64 v11, v[20:21], v[22:23] offset0:6 offset1:7
	ds_store_2addr_b64 v11, v[1:2], v[3:4] offset0:8 offset1:9
	ds_store_b64 v11, v[5:6] offset:80
.LBB89_51:
	s_or_b32 exec_lo, exec_lo, s0
	s_delay_alu instid0(SALU_CYCLE_1)
	s_mov_b32 s0, exec_lo
	s_waitcnt lgkmcnt(0)
	s_barrier
	buffer_gl0_inv
	v_cmpx_gt_u32_e32 8, v0
	s_cbranch_execz .LBB89_53
; %bb.52:
	ds_load_2addr_b64 v[1:4], v11 offset0:88 offset1:89
	ds_load_2addr_b64 v[5:8], v11 offset1:1
	ds_load_2addr_b64 v[12:15], v11 offset0:2 offset1:3
	ds_load_2addr_b64 v[16:19], v11 offset0:90 offset1:91
	ds_load_2addr_b64 v[20:23], v11 offset0:92 offset1:93
	ds_load_2addr_b64 v[24:27], v11 offset0:94 offset1:95
	ds_load_2addr_b64 v[28:31], v11 offset0:4 offset1:5
	ds_load_2addr_b64 v[32:35], v11 offset0:6 offset1:7
	ds_load_2addr_b64 v[36:39], v11 offset0:8 offset1:9
	s_waitcnt lgkmcnt(7)
	v_add_co_u32 v9, vcc_lo, v5, v1
	v_add_co_ci_u32_e32 v10, vcc_lo, v6, v2, vcc_lo
	v_add_co_u32 v40, vcc_lo, v7, v3
	v_add_co_ci_u32_e32 v41, vcc_lo, v8, v4, vcc_lo
	ds_load_2addr_b64 v[1:4], v11 offset0:96 offset1:97
	s_waitcnt lgkmcnt(6)
	v_add_co_u32 v12, vcc_lo, v12, v16
	v_add_co_ci_u32_e32 v13, vcc_lo, v13, v17, vcc_lo
	v_add_co_u32 v14, vcc_lo, v14, v18
	ds_load_2addr_b64 v[5:8], v11 offset0:10 offset1:98
	v_add_co_ci_u32_e32 v15, vcc_lo, v15, v19, vcc_lo
	s_waitcnt lgkmcnt(4)
	v_add_co_u32 v16, vcc_lo, v28, v20
	v_add_co_ci_u32_e32 v17, vcc_lo, v29, v21, vcc_lo
	v_add_co_u32 v18, vcc_lo, v30, v22
	v_add_co_ci_u32_e32 v19, vcc_lo, v31, v23, vcc_lo
	s_waitcnt lgkmcnt(3)
	v_add_co_u32 v20, vcc_lo, v32, v24
	v_add_co_ci_u32_e32 v21, vcc_lo, v33, v25, vcc_lo
	v_add_co_u32 v22, vcc_lo, v34, v26
	v_add_co_ci_u32_e32 v23, vcc_lo, v35, v27, vcc_lo
	s_waitcnt lgkmcnt(1)
	v_add_co_u32 v1, vcc_lo, v36, v1
	v_add_co_ci_u32_e32 v2, vcc_lo, v37, v2, vcc_lo
	v_add_co_u32 v3, vcc_lo, v38, v3
	v_add_co_ci_u32_e32 v4, vcc_lo, v39, v4, vcc_lo
	s_waitcnt lgkmcnt(0)
	v_add_co_u32 v5, vcc_lo, v5, v7
	v_add_co_ci_u32_e32 v6, vcc_lo, v6, v8, vcc_lo
	ds_store_2addr_b64 v11, v[9:10], v[40:41] offset1:1
	ds_store_2addr_b64 v11, v[12:13], v[14:15] offset0:2 offset1:3
	ds_store_2addr_b64 v11, v[16:17], v[18:19] offset0:4 offset1:5
	ds_store_2addr_b64 v11, v[20:21], v[22:23] offset0:6 offset1:7
	ds_store_2addr_b64 v11, v[1:2], v[3:4] offset0:8 offset1:9
	ds_store_b64 v11, v[5:6] offset:80
.LBB89_53:
	;; [unrolled: 55-line block ×4, first 2 shown]
	s_or_b32 exec_lo, exec_lo, s0
	s_delay_alu instid0(SALU_CYCLE_1)
	s_mov_b32 s0, exec_lo
	s_waitcnt lgkmcnt(0)
	s_barrier
	buffer_gl0_inv
	v_cmpx_eq_u32_e32 0, v0
	s_cbranch_execz .LBB89_59
; %bb.58:
	v_mov_b32_e32 v41, 0
	ds_load_b128 v[1:4], v41 offset:80
	ds_load_b128 v[5:8], v41
	ds_load_b128 v[9:12], v41 offset:96
	ds_load_b128 v[13:16], v41 offset:16
	;; [unrolled: 1-line block ×8, first 2 shown]
	s_waitcnt lgkmcnt(8)
	v_add_co_u32 v3, vcc_lo, v5, v3
	v_add_co_ci_u32_e32 v4, vcc_lo, v6, v4, vcc_lo
	s_waitcnt lgkmcnt(7)
	v_add_co_u32 v5, vcc_lo, v7, v9
	v_add_co_ci_u32_e32 v6, vcc_lo, v8, v10, vcc_lo
	s_waitcnt lgkmcnt(6)
	v_add_co_u32 v7, vcc_lo, v13, v11
	v_add_co_ci_u32_e32 v8, vcc_lo, v14, v12, vcc_lo
	ds_load_b128 v[11:14], v41 offset:160
	s_waitcnt lgkmcnt(6)
	v_add_co_u32 v9, vcc_lo, v15, v17
	v_add_co_ci_u32_e32 v10, vcc_lo, v16, v18, vcc_lo
	s_waitcnt lgkmcnt(5)
	v_add_co_u32 v15, vcc_lo, v21, v19
	v_add_co_ci_u32_e32 v16, vcc_lo, v22, v20, vcc_lo
	;; [unrolled: 3-line block ×3, first 2 shown]
	v_add_co_u32 v19, vcc_lo, v25, v31
	v_add_co_ci_u32_e32 v20, vcc_lo, v26, v32, vcc_lo
	s_waitcnt lgkmcnt(2)
	v_add_co_u32 v21, vcc_lo, v27, v33
	v_add_co_ci_u32_e32 v22, vcc_lo, v28, v34, vcc_lo
	s_waitcnt lgkmcnt(1)
	;; [unrolled: 3-line block ×3, first 2 shown]
	v_add_co_u32 v25, vcc_lo, v39, v11
	v_add_co_ci_u32_e32 v26, vcc_lo, v40, v12, vcc_lo
	v_add_co_u32 v1, vcc_lo, v1, v13
	v_add_co_ci_u32_e32 v2, vcc_lo, v2, v14, vcc_lo
	ds_store_b128 v41, v[3:6]
	ds_store_b128 v41, v[7:10] offset:16
	ds_store_b128 v41, v[15:18] offset:32
	;; [unrolled: 1-line block ×4, first 2 shown]
	ds_store_b64 v41, v[1:2] offset:80
.LBB89_59:
	s_or_b32 exec_lo, exec_lo, s0
	s_waitcnt lgkmcnt(0)
	s_barrier
	buffer_gl0_inv
	s_mov_b32 s0, exec_lo
	v_cmpx_gt_u32_e32 11, v0
	s_cbranch_execz .LBB89_61
; %bb.60:
	v_lshlrev_b32_e32 v3, 3, v0
	v_mad_u64_u32 v[1:2], null, s15, 11, v[0:1]
	v_mov_b32_e32 v2, 0
	ds_load_b64 v[3:4], v3
	v_lshlrev_b64 v[0:1], 3, v[1:2]
	s_delay_alu instid0(VALU_DEP_1) | instskip(NEXT) | instid1(VALU_DEP_2)
	v_add_co_u32 v0, vcc_lo, s2, v0
	v_add_co_ci_u32_e32 v1, vcc_lo, s3, v1, vcc_lo
	s_waitcnt lgkmcnt(0)
	global_store_b64 v[0:1], v[3:4], off
.LBB89_61:
	s_nop 0
	s_sendmsg sendmsg(MSG_DEALLOC_VGPRS)
	s_endpgm
	.section	.rodata,"a",@progbits
	.p2align	6, 0x0
	.amdhsa_kernel _ZN9rocsparseL26csrgemm_group_reduce_part2ILj256ELj11EfllEEvT3_PKT2_PS1_Pij
		.amdhsa_group_segment_fixed_size 22528
		.amdhsa_private_segment_fixed_size 0
		.amdhsa_kernarg_size 296
		.amdhsa_user_sgpr_count 15
		.amdhsa_user_sgpr_dispatch_ptr 0
		.amdhsa_user_sgpr_queue_ptr 0
		.amdhsa_user_sgpr_kernarg_segment_ptr 1
		.amdhsa_user_sgpr_dispatch_id 0
		.amdhsa_user_sgpr_private_segment_size 0
		.amdhsa_wavefront_size32 1
		.amdhsa_uses_dynamic_stack 0
		.amdhsa_enable_private_segment 0
		.amdhsa_system_sgpr_workgroup_id_x 1
		.amdhsa_system_sgpr_workgroup_id_y 0
		.amdhsa_system_sgpr_workgroup_id_z 0
		.amdhsa_system_sgpr_workgroup_info 0
		.amdhsa_system_vgpr_workitem_id 0
		.amdhsa_next_free_vgpr 43
		.amdhsa_next_free_sgpr 27
		.amdhsa_reserve_vcc 1
		.amdhsa_float_round_mode_32 0
		.amdhsa_float_round_mode_16_64 0
		.amdhsa_float_denorm_mode_32 3
		.amdhsa_float_denorm_mode_16_64 3
		.amdhsa_dx10_clamp 1
		.amdhsa_ieee_mode 1
		.amdhsa_fp16_overflow 0
		.amdhsa_workgroup_processor_mode 1
		.amdhsa_memory_ordered 1
		.amdhsa_forward_progress 0
		.amdhsa_shared_vgpr_count 0
		.amdhsa_exception_fp_ieee_invalid_op 0
		.amdhsa_exception_fp_denorm_src 0
		.amdhsa_exception_fp_ieee_div_zero 0
		.amdhsa_exception_fp_ieee_overflow 0
		.amdhsa_exception_fp_ieee_underflow 0
		.amdhsa_exception_fp_ieee_inexact 0
		.amdhsa_exception_int_div_zero 0
	.end_amdhsa_kernel
	.section	.text._ZN9rocsparseL26csrgemm_group_reduce_part2ILj256ELj11EfllEEvT3_PKT2_PS1_Pij,"axG",@progbits,_ZN9rocsparseL26csrgemm_group_reduce_part2ILj256ELj11EfllEEvT3_PKT2_PS1_Pij,comdat
.Lfunc_end89:
	.size	_ZN9rocsparseL26csrgemm_group_reduce_part2ILj256ELj11EfllEEvT3_PKT2_PS1_Pij, .Lfunc_end89-_ZN9rocsparseL26csrgemm_group_reduce_part2ILj256ELj11EfllEEvT3_PKT2_PS1_Pij
                                        ; -- End function
	.section	.AMDGPU.csdata,"",@progbits
; Kernel info:
; codeLenInByte = 4172
; NumSgprs: 29
; NumVgprs: 43
; ScratchSize: 0
; MemoryBound: 0
; FloatMode: 240
; IeeeMode: 1
; LDSByteSize: 22528 bytes/workgroup (compile time only)
; SGPRBlocks: 3
; VGPRBlocks: 5
; NumSGPRsForWavesPerEU: 29
; NumVGPRsForWavesPerEU: 43
; Occupancy: 10
; WaveLimiterHint : 0
; COMPUTE_PGM_RSRC2:SCRATCH_EN: 0
; COMPUTE_PGM_RSRC2:USER_SGPR: 15
; COMPUTE_PGM_RSRC2:TRAP_HANDLER: 0
; COMPUTE_PGM_RSRC2:TGID_X_EN: 1
; COMPUTE_PGM_RSRC2:TGID_Y_EN: 0
; COMPUTE_PGM_RSRC2:TGID_Z_EN: 0
; COMPUTE_PGM_RSRC2:TIDIG_COMP_CNT: 0
	.section	.text._ZN9rocsparseL26csrgemm_group_reduce_part3ILj256ELj11ElEEvPT1_,"axG",@progbits,_ZN9rocsparseL26csrgemm_group_reduce_part3ILj256ELj11ElEEvPT1_,comdat
	.globl	_ZN9rocsparseL26csrgemm_group_reduce_part3ILj256ELj11ElEEvPT1_ ; -- Begin function _ZN9rocsparseL26csrgemm_group_reduce_part3ILj256ELj11ElEEvPT1_
	.p2align	8
	.type	_ZN9rocsparseL26csrgemm_group_reduce_part3ILj256ELj11ElEEvPT1_,@function
_ZN9rocsparseL26csrgemm_group_reduce_part3ILj256ELj11ElEEvPT1_: ; @_ZN9rocsparseL26csrgemm_group_reduce_part3ILj256ELj11ElEEvPT1_
; %bb.0:
	s_load_b64 s[2:3], s[0:1], 0x0
	v_lshlrev_b32_e32 v3, 3, v0
	v_or_b32_e32 v4, 0xffffff00, v0
	s_mov_b32 s1, 0
	s_waitcnt lgkmcnt(0)
	s_delay_alu instid0(VALU_DEP_2) | instskip(NEXT) | instid1(VALU_DEP_1)
	v_add_co_u32 v1, s0, s2, v3
	v_add_co_ci_u32_e64 v2, null, s3, 0, s0
	.p2align	6
.LBB90_1:                               ; =>This Inner Loop Header: Depth=1
	global_load_b64 v[5:6], v[1:2], off
	v_add_nc_u32_e32 v4, 0x100, v4
	v_add_co_u32 v1, vcc_lo, 0x800, v1
	v_add_co_ci_u32_e32 v2, vcc_lo, 0, v2, vcc_lo
	s_delay_alu instid0(VALU_DEP_3) | instskip(NEXT) | instid1(VALU_DEP_1)
	v_cmp_lt_u32_e64 s0, 0x9ff, v4
	s_or_b32 s1, s0, s1
	s_waitcnt vmcnt(0)
	ds_store_b64 v3, v[5:6]
	v_add_nc_u32_e32 v3, 0x800, v3
	s_and_not1_b32 exec_lo, exec_lo, s1
	s_cbranch_execnz .LBB90_1
; %bb.2:
	s_or_b32 exec_lo, exec_lo, s1
	v_mul_u32_u24_e32 v1, 0x58, v0
	s_mov_b32 s0, exec_lo
	s_waitcnt lgkmcnt(0)
	s_barrier
	buffer_gl0_inv
	s_barrier
	buffer_gl0_inv
	;; [unrolled: 2-line block ×3, first 2 shown]
	v_cmpx_gt_u32_e32 0x80, v0
	s_cbranch_execz .LBB90_4
; %bb.3:
	s_movk_i32 s1, 0x2c00
	ds_load_2addr_b64 v[2:5], v1 offset1:1
	v_mad_u32_u24 v6, 0x58, v0, s1
	s_movk_i32 s1, 0x2c10
	s_movk_i32 s4, 0x2c30
	v_mad_u32_u24 v10, 0x58, v0, s1
	s_movk_i32 s1, 0x2c20
	ds_load_2addr_b64 v[6:9], v6 offset1:1
	s_movk_i32 s5, 0x2c40
	ds_load_2addr_b64 v[10:13], v10 offset1:1
	ds_load_2addr_b64 v[14:17], v1 offset0:2 offset1:3
	v_mad_u32_u24 v26, 0x58, v0, s1
	v_mad_u32_u24 v30, 0x58, v0, s4
	;; [unrolled: 1-line block ×3, first 2 shown]
	ds_load_2addr_b64 v[18:21], v1 offset0:4 offset1:5
	ds_load_2addr_b64 v[22:25], v1 offset0:6 offset1:7
	ds_load_2addr_b64 v[26:29], v26 offset1:1
	ds_load_2addr_b64 v[30:33], v30 offset1:1
	;; [unrolled: 1-line block ×3, first 2 shown]
	s_waitcnt lgkmcnt(7)
	v_add_co_u32 v38, vcc_lo, v2, v6
	v_add_co_ci_u32_e32 v39, vcc_lo, v3, v7, vcc_lo
	v_add_co_u32 v40, vcc_lo, v4, v8
	v_add_co_ci_u32_e32 v41, vcc_lo, v5, v9, vcc_lo
	ds_load_2addr_b64 v[2:5], v1 offset0:8 offset1:9
	v_add_nc_u32_e32 v6, 0x50, v1
	s_waitcnt lgkmcnt(6)
	v_add_co_u32 v10, vcc_lo, v14, v10
	v_add_co_ci_u32_e32 v11, vcc_lo, v15, v11, vcc_lo
	v_add_co_u32 v12, vcc_lo, v16, v12
	ds_load_2addr_stride64_b64 v[6:9], v6 offset1:22
	v_add_co_ci_u32_e32 v13, vcc_lo, v17, v13, vcc_lo
	s_waitcnt lgkmcnt(4)
	v_add_co_u32 v14, vcc_lo, v18, v26
	v_add_co_ci_u32_e32 v15, vcc_lo, v19, v27, vcc_lo
	v_add_co_u32 v16, vcc_lo, v20, v28
	v_add_co_ci_u32_e32 v17, vcc_lo, v21, v29, vcc_lo
	s_waitcnt lgkmcnt(3)
	v_add_co_u32 v18, vcc_lo, v22, v30
	v_add_co_ci_u32_e32 v19, vcc_lo, v23, v31, vcc_lo
	v_add_co_u32 v20, vcc_lo, v24, v32
	;; [unrolled: 5-line block ×3, first 2 shown]
	v_add_co_ci_u32_e32 v5, vcc_lo, v5, v37, vcc_lo
	s_waitcnt lgkmcnt(0)
	v_add_co_u32 v6, vcc_lo, v6, v8
	v_add_co_ci_u32_e32 v7, vcc_lo, v7, v9, vcc_lo
	ds_store_2addr_b64 v1, v[38:39], v[40:41] offset1:1
	ds_store_2addr_b64 v1, v[10:11], v[12:13] offset0:2 offset1:3
	ds_store_2addr_b64 v1, v[14:15], v[16:17] offset0:4 offset1:5
	;; [unrolled: 1-line block ×4, first 2 shown]
	ds_store_b64 v1, v[6:7] offset:80
.LBB90_4:
	s_or_b32 exec_lo, exec_lo, s0
	s_delay_alu instid0(SALU_CYCLE_1)
	s_mov_b32 s0, exec_lo
	s_waitcnt lgkmcnt(0)
	s_barrier
	buffer_gl0_inv
	v_cmpx_gt_u32_e32 64, v0
	s_cbranch_execz .LBB90_6
; %bb.5:
	s_movk_i32 s1, 0x1600
	ds_load_2addr_b64 v[2:5], v1 offset1:1
	v_mad_u32_u24 v6, 0x58, v0, s1
	s_movk_i32 s1, 0x1610
	s_movk_i32 s4, 0x1630
	v_mad_u32_u24 v10, 0x58, v0, s1
	s_movk_i32 s1, 0x1620
	ds_load_2addr_b64 v[6:9], v6 offset1:1
	s_movk_i32 s5, 0x1640
	ds_load_2addr_b64 v[10:13], v10 offset1:1
	ds_load_2addr_b64 v[14:17], v1 offset0:2 offset1:3
	v_mad_u32_u24 v26, 0x58, v0, s1
	v_mad_u32_u24 v30, 0x58, v0, s4
	;; [unrolled: 1-line block ×3, first 2 shown]
	ds_load_2addr_b64 v[18:21], v1 offset0:4 offset1:5
	ds_load_2addr_b64 v[22:25], v1 offset0:6 offset1:7
	ds_load_2addr_b64 v[26:29], v26 offset1:1
	ds_load_2addr_b64 v[30:33], v30 offset1:1
	;; [unrolled: 1-line block ×3, first 2 shown]
	s_waitcnt lgkmcnt(7)
	v_add_co_u32 v38, vcc_lo, v2, v6
	v_add_co_ci_u32_e32 v39, vcc_lo, v3, v7, vcc_lo
	v_add_co_u32 v40, vcc_lo, v4, v8
	v_add_co_ci_u32_e32 v41, vcc_lo, v5, v9, vcc_lo
	ds_load_2addr_b64 v[2:5], v1 offset0:8 offset1:9
	v_add_nc_u32_e32 v6, 0x50, v1
	s_waitcnt lgkmcnt(6)
	v_add_co_u32 v10, vcc_lo, v14, v10
	v_add_co_ci_u32_e32 v11, vcc_lo, v15, v11, vcc_lo
	v_add_co_u32 v12, vcc_lo, v16, v12
	ds_load_2addr_stride64_b64 v[6:9], v6 offset1:11
	v_add_co_ci_u32_e32 v13, vcc_lo, v17, v13, vcc_lo
	s_waitcnt lgkmcnt(4)
	v_add_co_u32 v14, vcc_lo, v18, v26
	v_add_co_ci_u32_e32 v15, vcc_lo, v19, v27, vcc_lo
	v_add_co_u32 v16, vcc_lo, v20, v28
	v_add_co_ci_u32_e32 v17, vcc_lo, v21, v29, vcc_lo
	s_waitcnt lgkmcnt(3)
	v_add_co_u32 v18, vcc_lo, v22, v30
	v_add_co_ci_u32_e32 v19, vcc_lo, v23, v31, vcc_lo
	v_add_co_u32 v20, vcc_lo, v24, v32
	;; [unrolled: 5-line block ×3, first 2 shown]
	v_add_co_ci_u32_e32 v5, vcc_lo, v5, v37, vcc_lo
	s_waitcnt lgkmcnt(0)
	v_add_co_u32 v6, vcc_lo, v6, v8
	v_add_co_ci_u32_e32 v7, vcc_lo, v7, v9, vcc_lo
	ds_store_2addr_b64 v1, v[38:39], v[40:41] offset1:1
	ds_store_2addr_b64 v1, v[10:11], v[12:13] offset0:2 offset1:3
	ds_store_2addr_b64 v1, v[14:15], v[16:17] offset0:4 offset1:5
	;; [unrolled: 1-line block ×4, first 2 shown]
	ds_store_b64 v1, v[6:7] offset:80
.LBB90_6:
	s_or_b32 exec_lo, exec_lo, s0
	s_delay_alu instid0(SALU_CYCLE_1)
	s_mov_b32 s0, exec_lo
	s_waitcnt lgkmcnt(0)
	s_barrier
	buffer_gl0_inv
	v_cmpx_gt_u32_e32 32, v0
	s_cbranch_execz .LBB90_8
; %bb.7:
	s_movk_i32 s1, 0xb00
	ds_load_2addr_b64 v[2:5], v1 offset1:1
	v_mad_u32_u24 v6, 0x58, v0, s1
	s_movk_i32 s1, 0xb10
	s_movk_i32 s4, 0xb30
	v_mad_u32_u24 v10, 0x58, v0, s1
	s_movk_i32 s1, 0xb20
	ds_load_2addr_b64 v[6:9], v6 offset1:1
	s_movk_i32 s5, 0xb40
	ds_load_2addr_b64 v[10:13], v10 offset1:1
	ds_load_2addr_b64 v[14:17], v1 offset0:2 offset1:3
	v_mad_u32_u24 v26, 0x58, v0, s1
	v_mad_u32_u24 v30, 0x58, v0, s4
	;; [unrolled: 1-line block ×3, first 2 shown]
	ds_load_2addr_b64 v[18:21], v1 offset0:4 offset1:5
	ds_load_2addr_b64 v[22:25], v1 offset0:6 offset1:7
	ds_load_2addr_b64 v[26:29], v26 offset1:1
	ds_load_2addr_b64 v[30:33], v30 offset1:1
	;; [unrolled: 1-line block ×3, first 2 shown]
	s_waitcnt lgkmcnt(7)
	v_add_co_u32 v6, vcc_lo, v2, v6
	v_add_co_ci_u32_e32 v7, vcc_lo, v3, v7, vcc_lo
	v_add_co_u32 v8, vcc_lo, v4, v8
	v_add_co_ci_u32_e32 v9, vcc_lo, v5, v9, vcc_lo
	s_waitcnt lgkmcnt(5)
	v_add_co_u32 v10, vcc_lo, v14, v10
	v_add_co_ci_u32_e32 v11, vcc_lo, v15, v11, vcc_lo
	ds_load_2addr_b64 v[2:5], v1 offset0:8 offset1:9
	v_add_co_u32 v12, vcc_lo, v16, v12
	v_add_co_ci_u32_e32 v13, vcc_lo, v17, v13, vcc_lo
	s_waitcnt lgkmcnt(3)
	v_add_co_u32 v14, vcc_lo, v18, v26
	v_add_co_ci_u32_e32 v15, vcc_lo, v19, v27, vcc_lo
	ds_load_b64 v[16:17], v1 offset:2896
	ds_load_b64 v[18:19], v1 offset:80
	v_add_co_u32 v20, vcc_lo, v20, v28
	v_add_co_ci_u32_e32 v21, vcc_lo, v21, v29, vcc_lo
	s_waitcnt lgkmcnt(4)
	v_add_co_u32 v22, vcc_lo, v22, v30
	v_add_co_ci_u32_e32 v23, vcc_lo, v23, v31, vcc_lo
	v_add_co_u32 v24, vcc_lo, v24, v32
	v_add_co_ci_u32_e32 v25, vcc_lo, v25, v33, vcc_lo
	s_waitcnt lgkmcnt(2)
	v_add_co_u32 v2, vcc_lo, v2, v34
	v_add_co_ci_u32_e32 v3, vcc_lo, v3, v35, vcc_lo
	;; [unrolled: 5-line block ×3, first 2 shown]
	ds_store_2addr_b64 v1, v[6:7], v[8:9] offset1:1
	ds_store_2addr_b64 v1, v[10:11], v[12:13] offset0:2 offset1:3
	ds_store_2addr_b64 v1, v[14:15], v[20:21] offset0:4 offset1:5
	;; [unrolled: 1-line block ×4, first 2 shown]
	ds_store_b64 v1, v[16:17] offset:80
.LBB90_8:
	s_or_b32 exec_lo, exec_lo, s0
	s_delay_alu instid0(SALU_CYCLE_1)
	s_mov_b32 s0, exec_lo
	s_waitcnt lgkmcnt(0)
	s_barrier
	buffer_gl0_inv
	v_cmpx_gt_u32_e32 16, v0
	s_cbranch_execz .LBB90_10
; %bb.9:
	ds_load_2addr_b64 v[2:5], v1 offset0:176 offset1:177
	ds_load_2addr_b64 v[6:9], v1 offset1:1
	ds_load_2addr_b64 v[10:13], v1 offset0:2 offset1:3
	ds_load_2addr_b64 v[14:17], v1 offset0:178 offset1:179
	ds_load_2addr_b64 v[18:21], v1 offset0:180 offset1:181
	ds_load_2addr_b64 v[22:25], v1 offset0:182 offset1:183
	ds_load_2addr_b64 v[26:29], v1 offset0:4 offset1:5
	ds_load_2addr_b64 v[30:33], v1 offset0:6 offset1:7
	ds_load_2addr_b64 v[34:37], v1 offset0:8 offset1:9
	s_waitcnt lgkmcnt(7)
	v_add_co_u32 v38, vcc_lo, v6, v2
	v_add_co_ci_u32_e32 v39, vcc_lo, v7, v3, vcc_lo
	v_add_co_u32 v40, vcc_lo, v8, v4
	v_add_co_ci_u32_e32 v41, vcc_lo, v9, v5, vcc_lo
	ds_load_2addr_b64 v[2:5], v1 offset0:184 offset1:185
	s_waitcnt lgkmcnt(6)
	v_add_co_u32 v10, vcc_lo, v10, v14
	v_add_co_ci_u32_e32 v11, vcc_lo, v11, v15, vcc_lo
	v_add_co_u32 v12, vcc_lo, v12, v16
	ds_load_2addr_b64 v[6:9], v1 offset0:10 offset1:186
	v_add_co_ci_u32_e32 v13, vcc_lo, v13, v17, vcc_lo
	s_waitcnt lgkmcnt(4)
	v_add_co_u32 v14, vcc_lo, v26, v18
	v_add_co_ci_u32_e32 v15, vcc_lo, v27, v19, vcc_lo
	v_add_co_u32 v16, vcc_lo, v28, v20
	v_add_co_ci_u32_e32 v17, vcc_lo, v29, v21, vcc_lo
	s_waitcnt lgkmcnt(3)
	v_add_co_u32 v18, vcc_lo, v30, v22
	v_add_co_ci_u32_e32 v19, vcc_lo, v31, v23, vcc_lo
	v_add_co_u32 v20, vcc_lo, v32, v24
	v_add_co_ci_u32_e32 v21, vcc_lo, v33, v25, vcc_lo
	s_waitcnt lgkmcnt(1)
	v_add_co_u32 v2, vcc_lo, v34, v2
	v_add_co_ci_u32_e32 v3, vcc_lo, v35, v3, vcc_lo
	v_add_co_u32 v4, vcc_lo, v36, v4
	v_add_co_ci_u32_e32 v5, vcc_lo, v37, v5, vcc_lo
	s_waitcnt lgkmcnt(0)
	v_add_co_u32 v6, vcc_lo, v6, v8
	v_add_co_ci_u32_e32 v7, vcc_lo, v7, v9, vcc_lo
	ds_store_2addr_b64 v1, v[38:39], v[40:41] offset1:1
	ds_store_2addr_b64 v1, v[10:11], v[12:13] offset0:2 offset1:3
	ds_store_2addr_b64 v1, v[14:15], v[16:17] offset0:4 offset1:5
	ds_store_2addr_b64 v1, v[18:19], v[20:21] offset0:6 offset1:7
	ds_store_2addr_b64 v1, v[2:3], v[4:5] offset0:8 offset1:9
	ds_store_b64 v1, v[6:7] offset:80
.LBB90_10:
	s_or_b32 exec_lo, exec_lo, s0
	s_delay_alu instid0(SALU_CYCLE_1)
	s_mov_b32 s0, exec_lo
	s_waitcnt lgkmcnt(0)
	s_barrier
	buffer_gl0_inv
	v_cmpx_gt_u32_e32 8, v0
	s_cbranch_execz .LBB90_12
; %bb.11:
	ds_load_2addr_b64 v[2:5], v1 offset0:88 offset1:89
	ds_load_2addr_b64 v[6:9], v1 offset1:1
	ds_load_2addr_b64 v[10:13], v1 offset0:2 offset1:3
	ds_load_2addr_b64 v[14:17], v1 offset0:90 offset1:91
	ds_load_2addr_b64 v[18:21], v1 offset0:92 offset1:93
	ds_load_2addr_b64 v[22:25], v1 offset0:94 offset1:95
	ds_load_2addr_b64 v[26:29], v1 offset0:4 offset1:5
	ds_load_2addr_b64 v[30:33], v1 offset0:6 offset1:7
	ds_load_2addr_b64 v[34:37], v1 offset0:8 offset1:9
	s_waitcnt lgkmcnt(7)
	v_add_co_u32 v38, vcc_lo, v6, v2
	v_add_co_ci_u32_e32 v39, vcc_lo, v7, v3, vcc_lo
	v_add_co_u32 v40, vcc_lo, v8, v4
	v_add_co_ci_u32_e32 v41, vcc_lo, v9, v5, vcc_lo
	ds_load_2addr_b64 v[2:5], v1 offset0:96 offset1:97
	s_waitcnt lgkmcnt(6)
	v_add_co_u32 v10, vcc_lo, v10, v14
	v_add_co_ci_u32_e32 v11, vcc_lo, v11, v15, vcc_lo
	v_add_co_u32 v12, vcc_lo, v12, v16
	ds_load_2addr_b64 v[6:9], v1 offset0:10 offset1:98
	v_add_co_ci_u32_e32 v13, vcc_lo, v13, v17, vcc_lo
	s_waitcnt lgkmcnt(4)
	v_add_co_u32 v14, vcc_lo, v26, v18
	v_add_co_ci_u32_e32 v15, vcc_lo, v27, v19, vcc_lo
	v_add_co_u32 v16, vcc_lo, v28, v20
	v_add_co_ci_u32_e32 v17, vcc_lo, v29, v21, vcc_lo
	s_waitcnt lgkmcnt(3)
	v_add_co_u32 v18, vcc_lo, v30, v22
	v_add_co_ci_u32_e32 v19, vcc_lo, v31, v23, vcc_lo
	v_add_co_u32 v20, vcc_lo, v32, v24
	v_add_co_ci_u32_e32 v21, vcc_lo, v33, v25, vcc_lo
	s_waitcnt lgkmcnt(1)
	v_add_co_u32 v2, vcc_lo, v34, v2
	v_add_co_ci_u32_e32 v3, vcc_lo, v35, v3, vcc_lo
	v_add_co_u32 v4, vcc_lo, v36, v4
	v_add_co_ci_u32_e32 v5, vcc_lo, v37, v5, vcc_lo
	s_waitcnt lgkmcnt(0)
	v_add_co_u32 v6, vcc_lo, v6, v8
	v_add_co_ci_u32_e32 v7, vcc_lo, v7, v9, vcc_lo
	ds_store_2addr_b64 v1, v[38:39], v[40:41] offset1:1
	ds_store_2addr_b64 v1, v[10:11], v[12:13] offset0:2 offset1:3
	ds_store_2addr_b64 v1, v[14:15], v[16:17] offset0:4 offset1:5
	ds_store_2addr_b64 v1, v[18:19], v[20:21] offset0:6 offset1:7
	ds_store_2addr_b64 v1, v[2:3], v[4:5] offset0:8 offset1:9
	ds_store_b64 v1, v[6:7] offset:80
.LBB90_12:
	;; [unrolled: 55-line block ×3, first 2 shown]
	s_or_b32 exec_lo, exec_lo, s0
	s_delay_alu instid0(SALU_CYCLE_1)
	s_mov_b32 s0, exec_lo
	s_waitcnt lgkmcnt(0)
	s_barrier
	buffer_gl0_inv
	v_cmpx_gt_u32_e32 2, v0
	s_cbranch_execz .LBB90_16
; %bb.15:
	v_mul_u32_u24_e32 v1, 11, v0
	s_delay_alu instid0(VALU_DEP_1)
	v_lshlrev_b32_e32 v41, 3, v1
	ds_load_2addr_b64 v[1:4], v41 offset0:22 offset1:23
	ds_load_2addr_b64 v[5:8], v41 offset1:1
	ds_load_2addr_b64 v[9:12], v41 offset0:2 offset1:3
	ds_load_2addr_b64 v[13:16], v41 offset0:24 offset1:25
	;; [unrolled: 1-line block ×8, first 2 shown]
	s_waitcnt lgkmcnt(8)
	v_add_co_u32 v5, vcc_lo, v5, v1
	v_add_co_ci_u32_e32 v6, vcc_lo, v6, v2, vcc_lo
	v_add_co_u32 v7, vcc_lo, v7, v3
	v_add_co_ci_u32_e32 v8, vcc_lo, v8, v4, vcc_lo
	s_waitcnt lgkmcnt(6)
	v_add_co_u32 v9, vcc_lo, v9, v13
	v_add_co_ci_u32_e32 v10, vcc_lo, v10, v14, vcc_lo
	v_add_co_u32 v11, vcc_lo, v11, v15
	ds_load_2addr_b64 v[1:4], v41 offset0:10 offset1:32
	v_add_co_ci_u32_e32 v12, vcc_lo, v12, v16, vcc_lo
	s_waitcnt lgkmcnt(5)
	v_add_co_u32 v13, vcc_lo, v21, v17
	v_add_co_ci_u32_e32 v14, vcc_lo, v22, v18, vcc_lo
	v_add_co_u32 v15, vcc_lo, v23, v19
	v_add_co_ci_u32_e32 v16, vcc_lo, v24, v20, vcc_lo
	s_waitcnt lgkmcnt(3)
	v_add_co_u32 v17, vcc_lo, v25, v29
	v_add_co_ci_u32_e32 v18, vcc_lo, v26, v30, vcc_lo
	v_add_co_u32 v19, vcc_lo, v27, v31
	;; [unrolled: 5-line block ×3, first 2 shown]
	v_add_co_ci_u32_e32 v24, vcc_lo, v40, v36, vcc_lo
	s_waitcnt lgkmcnt(0)
	v_add_co_u32 v1, vcc_lo, v1, v3
	v_add_co_ci_u32_e32 v2, vcc_lo, v2, v4, vcc_lo
	ds_store_2addr_b64 v41, v[5:6], v[7:8] offset1:1
	ds_store_2addr_b64 v41, v[9:10], v[11:12] offset0:2 offset1:3
	ds_store_2addr_b64 v41, v[13:14], v[15:16] offset0:4 offset1:5
	;; [unrolled: 1-line block ×4, first 2 shown]
	ds_store_b64 v41, v[1:2] offset:80
.LBB90_16:
	s_or_b32 exec_lo, exec_lo, s0
	s_delay_alu instid0(SALU_CYCLE_1)
	s_mov_b32 s0, exec_lo
	s_waitcnt lgkmcnt(0)
	s_barrier
	buffer_gl0_inv
	v_cmpx_eq_u32_e32 0, v0
	s_cbranch_execz .LBB90_18
; %bb.17:
	v_mov_b32_e32 v41, 0
	ds_load_b128 v[1:4], v41 offset:80
	ds_load_b128 v[5:8], v41
	ds_load_b128 v[9:12], v41 offset:96
	ds_load_b128 v[13:16], v41 offset:16
	;; [unrolled: 1-line block ×8, first 2 shown]
	s_waitcnt lgkmcnt(8)
	v_add_co_u32 v3, vcc_lo, v5, v3
	v_add_co_ci_u32_e32 v4, vcc_lo, v6, v4, vcc_lo
	s_waitcnt lgkmcnt(7)
	v_add_co_u32 v5, vcc_lo, v7, v9
	v_add_co_ci_u32_e32 v6, vcc_lo, v8, v10, vcc_lo
	;; [unrolled: 3-line block ×3, first 2 shown]
	ds_load_b128 v[11:14], v41 offset:160
	s_waitcnt lgkmcnt(6)
	v_add_co_u32 v9, vcc_lo, v15, v17
	v_add_co_ci_u32_e32 v10, vcc_lo, v16, v18, vcc_lo
	s_waitcnt lgkmcnt(5)
	v_add_co_u32 v15, vcc_lo, v21, v19
	v_add_co_ci_u32_e32 v16, vcc_lo, v22, v20, vcc_lo
	s_waitcnt lgkmcnt(3)
	v_add_co_u32 v17, vcc_lo, v23, v29
	v_add_co_ci_u32_e32 v18, vcc_lo, v24, v30, vcc_lo
	v_add_co_u32 v19, vcc_lo, v25, v31
	v_add_co_ci_u32_e32 v20, vcc_lo, v26, v32, vcc_lo
	s_waitcnt lgkmcnt(2)
	v_add_co_u32 v21, vcc_lo, v27, v33
	v_add_co_ci_u32_e32 v22, vcc_lo, v28, v34, vcc_lo
	s_waitcnt lgkmcnt(1)
	;; [unrolled: 3-line block ×3, first 2 shown]
	v_add_co_u32 v25, vcc_lo, v39, v11
	v_add_co_ci_u32_e32 v26, vcc_lo, v40, v12, vcc_lo
	v_add_co_u32 v1, vcc_lo, v1, v13
	v_add_co_ci_u32_e32 v2, vcc_lo, v2, v14, vcc_lo
	ds_store_b128 v41, v[3:6]
	ds_store_b128 v41, v[7:10] offset:16
	ds_store_b128 v41, v[15:18] offset:32
	;; [unrolled: 1-line block ×4, first 2 shown]
	ds_store_b64 v41, v[1:2] offset:80
.LBB90_18:
	s_or_b32 exec_lo, exec_lo, s0
	s_waitcnt lgkmcnt(0)
	s_barrier
	buffer_gl0_inv
	s_mov_b32 s0, exec_lo
	v_cmpx_gt_u32_e32 11, v0
	s_cbranch_execz .LBB90_20
; %bb.19:
	v_lshlrev_b32_e32 v2, 3, v0
	ds_load_b64 v[0:1], v2
	s_waitcnt lgkmcnt(0)
	global_store_b64 v2, v[0:1], s[2:3]
.LBB90_20:
	s_nop 0
	s_sendmsg sendmsg(MSG_DEALLOC_VGPRS)
	s_endpgm
	.section	.rodata,"a",@progbits
	.p2align	6, 0x0
	.amdhsa_kernel _ZN9rocsparseL26csrgemm_group_reduce_part3ILj256ELj11ElEEvPT1_
		.amdhsa_group_segment_fixed_size 22528
		.amdhsa_private_segment_fixed_size 0
		.amdhsa_kernarg_size 8
		.amdhsa_user_sgpr_count 15
		.amdhsa_user_sgpr_dispatch_ptr 0
		.amdhsa_user_sgpr_queue_ptr 0
		.amdhsa_user_sgpr_kernarg_segment_ptr 1
		.amdhsa_user_sgpr_dispatch_id 0
		.amdhsa_user_sgpr_private_segment_size 0
		.amdhsa_wavefront_size32 1
		.amdhsa_uses_dynamic_stack 0
		.amdhsa_enable_private_segment 0
		.amdhsa_system_sgpr_workgroup_id_x 1
		.amdhsa_system_sgpr_workgroup_id_y 0
		.amdhsa_system_sgpr_workgroup_id_z 0
		.amdhsa_system_sgpr_workgroup_info 0
		.amdhsa_system_vgpr_workitem_id 0
		.amdhsa_next_free_vgpr 42
		.amdhsa_next_free_sgpr 6
		.amdhsa_reserve_vcc 1
		.amdhsa_float_round_mode_32 0
		.amdhsa_float_round_mode_16_64 0
		.amdhsa_float_denorm_mode_32 3
		.amdhsa_float_denorm_mode_16_64 3
		.amdhsa_dx10_clamp 1
		.amdhsa_ieee_mode 1
		.amdhsa_fp16_overflow 0
		.amdhsa_workgroup_processor_mode 1
		.amdhsa_memory_ordered 1
		.amdhsa_forward_progress 0
		.amdhsa_shared_vgpr_count 0
		.amdhsa_exception_fp_ieee_invalid_op 0
		.amdhsa_exception_fp_denorm_src 0
		.amdhsa_exception_fp_ieee_div_zero 0
		.amdhsa_exception_fp_ieee_overflow 0
		.amdhsa_exception_fp_ieee_underflow 0
		.amdhsa_exception_fp_ieee_inexact 0
		.amdhsa_exception_int_div_zero 0
	.end_amdhsa_kernel
	.section	.text._ZN9rocsparseL26csrgemm_group_reduce_part3ILj256ELj11ElEEvPT1_,"axG",@progbits,_ZN9rocsparseL26csrgemm_group_reduce_part3ILj256ELj11ElEEvPT1_,comdat
.Lfunc_end90:
	.size	_ZN9rocsparseL26csrgemm_group_reduce_part3ILj256ELj11ElEEvPT1_, .Lfunc_end90-_ZN9rocsparseL26csrgemm_group_reduce_part3ILj256ELj11ElEEvPT1_
                                        ; -- End function
	.section	.AMDGPU.csdata,"",@progbits
; Kernel info:
; codeLenInByte = 3144
; NumSgprs: 8
; NumVgprs: 42
; ScratchSize: 0
; MemoryBound: 1
; FloatMode: 240
; IeeeMode: 1
; LDSByteSize: 22528 bytes/workgroup (compile time only)
; SGPRBlocks: 0
; VGPRBlocks: 5
; NumSGPRsForWavesPerEU: 8
; NumVGPRsForWavesPerEU: 42
; Occupancy: 10
; WaveLimiterHint : 1
; COMPUTE_PGM_RSRC2:SCRATCH_EN: 0
; COMPUTE_PGM_RSRC2:USER_SGPR: 15
; COMPUTE_PGM_RSRC2:TRAP_HANDLER: 0
; COMPUTE_PGM_RSRC2:TGID_X_EN: 1
; COMPUTE_PGM_RSRC2:TGID_Y_EN: 0
; COMPUTE_PGM_RSRC2:TGID_Z_EN: 0
; COMPUTE_PGM_RSRC2:TIDIG_COMP_CNT: 0
	.section	.text._ZN9rocsparseL23csrgemm_fill_wf_per_rowILj256ELj8ELj16ELj137EllfEEvT4_S1_PKS1_S3_NS_24const_host_device_scalarIT5_EEPKT3_S3_PKS5_S9_S3_SB_S6_S9_S3_SB_S9_PS1_PS5_21rocsparse_index_base_SE_SE_SE_bbb,"axG",@progbits,_ZN9rocsparseL23csrgemm_fill_wf_per_rowILj256ELj8ELj16ELj137EllfEEvT4_S1_PKS1_S3_NS_24const_host_device_scalarIT5_EEPKT3_S3_PKS5_S9_S3_SB_S6_S9_S3_SB_S9_PS1_PS5_21rocsparse_index_base_SE_SE_SE_bbb,comdat
	.globl	_ZN9rocsparseL23csrgemm_fill_wf_per_rowILj256ELj8ELj16ELj137EllfEEvT4_S1_PKS1_S3_NS_24const_host_device_scalarIT5_EEPKT3_S3_PKS5_S9_S3_SB_S6_S9_S3_SB_S9_PS1_PS5_21rocsparse_index_base_SE_SE_SE_bbb ; -- Begin function _ZN9rocsparseL23csrgemm_fill_wf_per_rowILj256ELj8ELj16ELj137EllfEEvT4_S1_PKS1_S3_NS_24const_host_device_scalarIT5_EEPKT3_S3_PKS5_S9_S3_SB_S6_S9_S3_SB_S9_PS1_PS5_21rocsparse_index_base_SE_SE_SE_bbb
	.p2align	8
	.type	_ZN9rocsparseL23csrgemm_fill_wf_per_rowILj256ELj8ELj16ELj137EllfEEvT4_S1_PKS1_S3_NS_24const_host_device_scalarIT5_EEPKT3_S3_PKS5_S9_S3_SB_S6_S9_S3_SB_S9_PS1_PS5_21rocsparse_index_base_SE_SE_SE_bbb,@function
_ZN9rocsparseL23csrgemm_fill_wf_per_rowILj256ELj8ELj16ELj137EllfEEvT4_S1_PKS1_S3_NS_24const_host_device_scalarIT5_EEPKT3_S3_PKS5_S9_S3_SB_S6_S9_S3_SB_S9_PS1_PS5_21rocsparse_index_base_SE_SE_SE_bbb: ; @_ZN9rocsparseL23csrgemm_fill_wf_per_rowILj256ELj8ELj16ELj137EllfEEvT4_S1_PKS1_S3_NS_24const_host_device_scalarIT5_EEPKT3_S3_PKS5_S9_S3_SB_S6_S9_S3_SB_S9_PS1_PS5_21rocsparse_index_base_SE_SE_SE_bbb
; %bb.0:
	s_clause 0x3
	s_load_b32 s12, s[0:1], 0xa0
	s_load_b128 s[24:27], s[0:1], 0x90
	s_load_b64 s[4:5], s[0:1], 0x20
	s_load_b64 s[2:3], s[0:1], 0x58
	s_waitcnt lgkmcnt(0)
	s_bitcmp1_b32 s12, 0
	s_cselect_b32 s13, -1, 0
	s_bitcmp1_b32 s12, 16
	s_cselect_b32 s14, -1, 0
	s_xor_b32 s6, s13, -1
	s_delay_alu instid0(SALU_CYCLE_1) | instskip(NEXT) | instid1(SALU_CYCLE_1)
	s_or_b32 s6, s6, s14
	s_and_b32 vcc_lo, exec_lo, s6
	s_cbranch_vccnz .LBB91_2
; %bb.1:
	s_load_b32 s4, s[4:5], 0x0
	s_waitcnt lgkmcnt(0)
	v_mov_b32_e32 v20, s4
	s_branch .LBB91_3
.LBB91_2:
	v_cndmask_b32_e64 v20, 0, s4, s13
.LBB91_3:
	s_clause 0x4
	s_load_b128 s[28:31], s[0:1], 0x80
	s_load_b256 s[4:11], s[0:1], 0x60
	s_load_b128 s[36:39], s[0:1], 0x48
	s_load_b128 s[40:43], s[0:1], 0x10
	s_load_b256 s[16:23], s[0:1], 0x28
	s_bitcmp1_b32 s12, 8
	s_cselect_b32 s12, -1, 0
	s_delay_alu instid0(SALU_CYCLE_1) | instskip(NEXT) | instid1(SALU_CYCLE_1)
	s_xor_b32 s33, s12, -1
	s_or_b32 s14, s33, s14
	s_delay_alu instid0(SALU_CYCLE_1)
	s_and_b32 vcc_lo, exec_lo, s14
	s_cbranch_vccnz .LBB91_5
; %bb.4:
	s_load_b32 s2, s[2:3], 0x0
	s_waitcnt lgkmcnt(0)
	v_mov_b32_e32 v18, s2
	s_branch .LBB91_6
.LBB91_5:
	v_cndmask_b32_e64 v18, 0, s2, s12
.LBB91_6:
	v_and_b32_e32 v21, 7, v0
	s_load_b128 s[0:3], s[0:1], 0x0
	v_lshrrev_b32_e32 v2, 3, v0
	s_mov_b32 s14, 0
	s_delay_alu instid0(VALU_DEP_2) | instskip(NEXT) | instid1(VALU_DEP_2)
	v_lshlrev_b32_e32 v1, 3, v21
	v_lshlrev_b32_e32 v0, 6, v2
	s_delay_alu instid0(VALU_DEP_2) | instskip(NEXT) | instid1(VALU_DEP_1)
	v_lshl_or_b32 v14, v2, 7, v1
	v_dual_mov_b32 v4, v14 :: v_dual_lshlrev_b32 v3, 2, v21
	v_or_b32_e32 v16, -8, v21
	s_delay_alu instid0(VALU_DEP_2) | instskip(SKIP_2) | instid1(VALU_DEP_3)
	v_or3_b32 v15, v0, v3, 0x1000
	s_waitcnt lgkmcnt(0)
	v_dual_mov_b32 v0, s2 :: v_dual_mov_b32 v3, 0
	v_dual_mov_b32 v1, s3 :: v_dual_mov_b32 v6, v16
	s_delay_alu instid0(VALU_DEP_3)
	v_mov_b32_e32 v5, v15
.LBB91_7:                               ; =>This Inner Loop Header: Depth=1
	s_delay_alu instid0(VALU_DEP_2) | instskip(NEXT) | instid1(VALU_DEP_1)
	v_add_co_u32 v6, s33, v6, 8
	s_xor_b32 s33, s33, -1
	ds_store_b64 v4, v[0:1]
	ds_store_b32 v5, v3
	v_add_nc_u32_e32 v5, 32, v5
	v_add_nc_u32_e32 v4, 64, v4
	s_and_b32 s33, exec_lo, s33
	s_delay_alu instid0(SALU_CYCLE_1) | instskip(NEXT) | instid1(SALU_CYCLE_1)
	s_or_b32 s14, s33, s14
	s_and_not1_b32 exec_lo, exec_lo, s14
	s_cbranch_execnz .LBB91_7
; %bb.8:
	s_or_b32 exec_lo, exec_lo, s14
	s_lshl_b32 s14, s15, 5
	v_mov_b32_e32 v1, 0
	v_and_or_b32 v0, 0x1fffffe0, s14, v2
	s_waitcnt lgkmcnt(0)
	buffer_gl0_inv
	v_cmp_gt_i64_e32 vcc_lo, s[0:1], v[0:1]
	s_and_saveexec_b32 s0, vcc_lo
	s_cbranch_execz .LBB91_52
; %bb.9:
	s_cmp_eq_u64 s[42:43], 0
	s_cbranch_scc1 .LBB91_11
; %bb.10:
	s_load_b64 s[0:1], s[40:41], 0x0
	v_lshlrev_b32_e32 v0, 3, v0
	s_waitcnt lgkmcnt(0)
	s_lshl_b64 s[0:1], s[0:1], 3
	s_delay_alu instid0(SALU_CYCLE_1)
	s_add_u32 s0, s42, s0
	s_addc_u32 s1, s43, s1
	global_load_b64 v[0:1], v0, s[0:1]
.LBB91_11:
	s_waitcnt vmcnt(0)
	v_lshlrev_b64 v[4:5], 3, v[0:1]
	v_lshlrev_b32_e32 v17, 7, v2
	v_lshl_or_b32 v19, v2, 6, 0x1000
	s_and_not1_b32 vcc_lo, exec_lo, s13
	s_cbranch_vccnz .LBB91_31
; %bb.12:
	s_delay_alu instid0(VALU_DEP_3) | instskip(SKIP_2) | instid1(VALU_DEP_1)
	v_add_co_u32 v0, vcc_lo, s16, v4
	v_add_co_ci_u32_e32 v1, vcc_lo, s17, v5, vcc_lo
	v_sub_co_u32 v8, s0, v21, s24
	v_sub_co_ci_u32_e64 v9, null, 0, 0, s0
	global_load_b128 v[0:3], v[0:1], off
	s_mov_b32 s1, 0
	s_mov_b32 s0, exec_lo
	s_waitcnt vmcnt(0)
	v_sub_co_u32 v6, vcc_lo, v2, s24
	v_subrev_co_ci_u32_e32 v7, vcc_lo, 0, v3, vcc_lo
	v_add_co_u32 v8, vcc_lo, v0, v8
	v_add_co_ci_u32_e32 v9, vcc_lo, v1, v9, vcc_lo
	s_delay_alu instid0(VALU_DEP_1)
	v_cmpx_lt_i64_e64 v[8:9], v[6:7]
	s_cbranch_execz .LBB91_30
; %bb.13:
	s_mov_b32 s13, s25
	s_branch .LBB91_15
.LBB91_14:                              ;   in Loop: Header=BB91_15 Depth=1
	s_or_b32 exec_lo, exec_lo, s14
	v_add_co_u32 v8, vcc_lo, v8, 8
	v_add_co_ci_u32_e32 v9, vcc_lo, 0, v9, vcc_lo
	s_delay_alu instid0(VALU_DEP_1) | instskip(SKIP_1) | instid1(SALU_CYCLE_1)
	v_cmp_ge_i64_e32 vcc_lo, v[8:9], v[6:7]
	s_or_b32 s1, vcc_lo, s1
	s_and_not1_b32 exec_lo, exec_lo, s1
	s_cbranch_execz .LBB91_30
.LBB91_15:                              ; =>This Loop Header: Depth=1
                                        ;     Child Loop BB91_18 Depth 2
                                        ;       Child Loop BB91_20 Depth 3
	v_lshlrev_b64 v[0:1], 3, v[8:9]
	s_mov_b32 s14, exec_lo
	s_delay_alu instid0(VALU_DEP_1) | instskip(NEXT) | instid1(VALU_DEP_2)
	v_add_co_u32 v0, vcc_lo, s18, v0
	v_add_co_ci_u32_e32 v1, vcc_lo, s19, v1, vcc_lo
	global_load_b64 v[0:1], v[0:1], off
	s_waitcnt vmcnt(0)
	v_sub_co_u32 v0, vcc_lo, v0, s24
	v_subrev_co_ci_u32_e32 v1, vcc_lo, 0, v1, vcc_lo
	s_delay_alu instid0(VALU_DEP_1) | instskip(NEXT) | instid1(VALU_DEP_1)
	v_lshlrev_b64 v[0:1], 3, v[0:1]
	v_add_co_u32 v0, vcc_lo, s22, v0
	s_delay_alu instid0(VALU_DEP_2)
	v_add_co_ci_u32_e32 v1, vcc_lo, s23, v1, vcc_lo
	global_load_b128 v[0:3], v[0:1], off
	s_waitcnt vmcnt(0)
	v_cmpx_lt_i64_e64 v[0:1], v[2:3]
	s_cbranch_execz .LBB91_14
; %bb.16:                               ;   in Loop: Header=BB91_15 Depth=1
	v_lshlrev_b64 v[10:11], 2, v[8:9]
	s_mov_b32 s15, 0
	s_delay_alu instid0(VALU_DEP_1) | instskip(NEXT) | instid1(VALU_DEP_2)
	v_add_co_u32 v10, vcc_lo, s20, v10
	v_add_co_ci_u32_e32 v11, vcc_lo, s21, v11, vcc_lo
	v_sub_co_u32 v2, vcc_lo, v2, s13
	v_subrev_co_ci_u32_e32 v3, vcc_lo, 0, v3, vcc_lo
	global_load_b32 v10, v[10:11], off
	v_sub_co_u32 v0, vcc_lo, v0, s13
	v_subrev_co_ci_u32_e32 v1, vcc_lo, 0, v1, vcc_lo
	s_waitcnt vmcnt(0)
	v_mul_f32_e32 v22, v20, v10
	s_branch .LBB91_18
.LBB91_17:                              ;   in Loop: Header=BB91_18 Depth=2
	s_or_b32 exec_lo, exec_lo, s16
	v_add_co_u32 v0, vcc_lo, v0, 1
	v_add_co_ci_u32_e32 v1, vcc_lo, 0, v1, vcc_lo
	s_delay_alu instid0(VALU_DEP_1) | instskip(SKIP_1) | instid1(SALU_CYCLE_1)
	v_cmp_ge_i64_e32 vcc_lo, v[0:1], v[2:3]
	s_or_b32 s15, vcc_lo, s15
	s_and_not1_b32 exec_lo, exec_lo, s15
	s_cbranch_execz .LBB91_14
.LBB91_18:                              ;   Parent Loop BB91_15 Depth=1
                                        ; =>  This Loop Header: Depth=2
                                        ;       Child Loop BB91_20 Depth 3
	s_delay_alu instid0(VALU_DEP_2) | instskip(SKIP_2) | instid1(VALU_DEP_2)
	v_lshlrev_b64 v[10:11], 3, v[0:1]
	v_lshlrev_b64 v[12:13], 2, v[0:1]
	s_mov_b32 s16, 0
	v_add_co_u32 v10, vcc_lo, s36, v10
	s_delay_alu instid0(VALU_DEP_3) | instskip(NEXT) | instid1(VALU_DEP_3)
	v_add_co_ci_u32_e32 v11, vcc_lo, s37, v11, vcc_lo
	v_add_co_u32 v12, vcc_lo, s38, v12
	s_delay_alu instid0(VALU_DEP_4)
	v_add_co_ci_u32_e32 v13, vcc_lo, s39, v13, vcc_lo
	global_load_b64 v[10:11], v[10:11], off
	global_load_b32 v12, v[12:13], off
	s_waitcnt vmcnt(1)
	v_sub_co_u32 v10, vcc_lo, v10, s13
	v_subrev_co_ci_u32_e32 v11, vcc_lo, 0, v11, vcc_lo
	s_delay_alu instid0(VALU_DEP_2) | instskip(SKIP_1) | instid1(VALU_DEP_1)
	v_lshl_add_u32 v13, v10, 3, v10
	s_waitcnt vmcnt(0)
	v_dual_mul_f32 v23, v22, v12 :: v_dual_and_b32 v24, 15, v13
	s_branch .LBB91_20
.LBB91_19:                              ;   in Loop: Header=BB91_20 Depth=3
	s_or_b32 exec_lo, exec_lo, s17
	s_xor_b32 s17, s25, -1
	s_delay_alu instid0(SALU_CYCLE_1) | instskip(NEXT) | instid1(SALU_CYCLE_1)
	s_and_b32 s17, exec_lo, s17
	s_or_b32 s16, s17, s16
	s_delay_alu instid0(SALU_CYCLE_1)
	s_and_not1_b32 exec_lo, exec_lo, s16
	s_cbranch_execz .LBB91_17
.LBB91_20:                              ;   Parent Loop BB91_15 Depth=1
                                        ;     Parent Loop BB91_18 Depth=2
                                        ; =>    This Inner Loop Header: Depth=3
	s_delay_alu instid0(VALU_DEP_1)
	v_lshl_add_u32 v25, v24, 3, v17
	s_mov_b32 s17, exec_lo
                                        ; implicit-def: $sgpr25
	ds_load_b64 v[12:13], v25
	s_waitcnt lgkmcnt(0)
	v_cmpx_ne_u64_e64 v[12:13], v[10:11]
	s_xor_b32 s17, exec_lo, s17
	s_cbranch_execz .LBB91_28
; %bb.21:                               ;   in Loop: Header=BB91_20 Depth=3
	s_mov_b32 s33, exec_lo
                                        ; implicit-def: $sgpr25
	v_cmpx_ne_u64_e64 s[2:3], v[12:13]
	s_xor_b32 s33, exec_lo, s33
; %bb.22:                               ;   in Loop: Header=BB91_20 Depth=3
	v_add_nc_u32_e32 v12, 1, v24
	s_mov_b32 s25, -1
                                        ; implicit-def: $vgpr25
	s_delay_alu instid0(VALU_DEP_1)
	v_and_b32_e32 v24, 15, v12
; %bb.23:                               ;   in Loop: Header=BB91_20 Depth=3
	s_and_not1_saveexec_b32 s33, s33
	s_cbranch_execz .LBB91_27
; %bb.24:                               ;   in Loop: Header=BB91_20 Depth=3
	v_dual_mov_b32 v13, s3 :: v_dual_mov_b32 v12, s2
	s_mov_b32 s34, -1
	s_mov_b32 s35, exec_lo
	ds_cmpstore_rtn_b64 v[12:13], v25, v[10:11], v[12:13]
	s_waitcnt lgkmcnt(0)
	v_cmpx_eq_u64_e64 s[2:3], v[12:13]
	s_cbranch_execz .LBB91_26
; %bb.25:                               ;   in Loop: Header=BB91_20 Depth=3
	v_lshl_add_u32 v12, v24, 2, v19
	s_xor_b32 s34, exec_lo, -1
	ds_add_f32 v12, v23
.LBB91_26:                              ;   in Loop: Header=BB91_20 Depth=3
	s_or_b32 exec_lo, exec_lo, s35
	s_delay_alu instid0(SALU_CYCLE_1) | instskip(SKIP_1) | instid1(SALU_CYCLE_1)
	s_and_not1_b32 s25, s25, exec_lo
	s_and_b32 s34, s34, exec_lo
	s_or_b32 s25, s25, s34
.LBB91_27:                              ;   in Loop: Header=BB91_20 Depth=3
	s_or_b32 exec_lo, exec_lo, s33
	s_delay_alu instid0(SALU_CYCLE_1)
	s_and_b32 s25, s25, exec_lo
.LBB91_28:                              ;   in Loop: Header=BB91_20 Depth=3
	s_and_not1_saveexec_b32 s17, s17
	s_cbranch_execz .LBB91_19
; %bb.29:                               ;   in Loop: Header=BB91_20 Depth=3
	v_lshl_add_u32 v12, v24, 2, v19
	s_and_not1_b32 s25, s25, exec_lo
	ds_add_f32 v12, v23
	s_branch .LBB91_19
.LBB91_30:
	s_or_b32 exec_lo, exec_lo, s0
.LBB91_31:
	s_delay_alu instid0(SALU_CYCLE_1)
	s_and_not1_b32 vcc_lo, exec_lo, s12
	s_cbranch_vccnz .LBB91_48
; %bb.32:
	v_add_co_u32 v0, vcc_lo, s4, v4
	v_add_co_ci_u32_e32 v1, vcc_lo, s5, v5, vcc_lo
	v_sub_co_u32 v2, s0, v21, s27
	s_delay_alu instid0(VALU_DEP_1)
	v_sub_co_ci_u32_e64 v3, null, 0, 0, s0
	global_load_b128 v[6:9], v[0:1], off
	s_mov_b32 s0, 0
	s_mov_b32 s1, exec_lo
	s_waitcnt vmcnt(0)
	v_sub_co_u32 v0, vcc_lo, v8, s27
	v_subrev_co_ci_u32_e32 v1, vcc_lo, 0, v9, vcc_lo
	v_add_co_u32 v2, vcc_lo, v6, v2
	v_add_co_ci_u32_e32 v3, vcc_lo, v7, v3, vcc_lo
	s_delay_alu instid0(VALU_DEP_1)
	v_cmpx_lt_i64_e64 v[2:3], v[0:1]
	s_cbranch_execz .LBB91_47
; %bb.33:
	s_mov_b32 s4, s27
	s_branch .LBB91_35
.LBB91_34:                              ;   in Loop: Header=BB91_35 Depth=1
	s_or_b32 exec_lo, exec_lo, s5
	v_add_co_u32 v2, vcc_lo, v2, 8
	v_add_co_ci_u32_e32 v3, vcc_lo, 0, v3, vcc_lo
	s_delay_alu instid0(VALU_DEP_1) | instskip(SKIP_1) | instid1(SALU_CYCLE_1)
	v_cmp_ge_i64_e32 vcc_lo, v[2:3], v[0:1]
	s_or_b32 s0, vcc_lo, s0
	s_and_not1_b32 exec_lo, exec_lo, s0
	s_cbranch_execz .LBB91_47
.LBB91_35:                              ; =>This Loop Header: Depth=1
                                        ;     Child Loop BB91_37 Depth 2
	v_lshlrev_b64 v[6:7], 3, v[2:3]
	v_lshlrev_b64 v[8:9], 2, v[2:3]
	s_mov_b32 s5, 0
	s_delay_alu instid0(VALU_DEP_2) | instskip(NEXT) | instid1(VALU_DEP_3)
	v_add_co_u32 v6, vcc_lo, s6, v6
	v_add_co_ci_u32_e32 v7, vcc_lo, s7, v7, vcc_lo
	s_delay_alu instid0(VALU_DEP_3) | instskip(NEXT) | instid1(VALU_DEP_4)
	v_add_co_u32 v8, vcc_lo, s8, v8
	v_add_co_ci_u32_e32 v9, vcc_lo, s9, v9, vcc_lo
	global_load_b64 v[6:7], v[6:7], off
	global_load_b32 v8, v[8:9], off
	s_waitcnt vmcnt(1)
	v_sub_co_u32 v6, vcc_lo, v6, s4
	v_subrev_co_ci_u32_e32 v7, vcc_lo, 0, v7, vcc_lo
	s_delay_alu instid0(VALU_DEP_2) | instskip(SKIP_1) | instid1(VALU_DEP_1)
	v_lshl_add_u32 v9, v6, 3, v6
	s_waitcnt vmcnt(0)
	v_dual_mul_f32 v10, v18, v8 :: v_dual_and_b32 v11, 15, v9
	s_branch .LBB91_37
.LBB91_36:                              ;   in Loop: Header=BB91_37 Depth=2
	s_or_b32 exec_lo, exec_lo, s12
	s_xor_b32 s12, s13, -1
	s_delay_alu instid0(SALU_CYCLE_1) | instskip(NEXT) | instid1(SALU_CYCLE_1)
	s_and_b32 s12, exec_lo, s12
	s_or_b32 s5, s12, s5
	s_delay_alu instid0(SALU_CYCLE_1)
	s_and_not1_b32 exec_lo, exec_lo, s5
	s_cbranch_execz .LBB91_34
.LBB91_37:                              ;   Parent Loop BB91_35 Depth=1
                                        ; =>  This Inner Loop Header: Depth=2
	s_delay_alu instid0(VALU_DEP_1)
	v_lshl_add_u32 v12, v11, 3, v17
	s_mov_b32 s12, exec_lo
                                        ; implicit-def: $sgpr13
	ds_load_b64 v[8:9], v12
	s_waitcnt lgkmcnt(0)
	v_cmpx_ne_u64_e64 v[8:9], v[6:7]
	s_xor_b32 s12, exec_lo, s12
	s_cbranch_execz .LBB91_45
; %bb.38:                               ;   in Loop: Header=BB91_37 Depth=2
	s_mov_b32 s14, exec_lo
                                        ; implicit-def: $sgpr13
	v_cmpx_ne_u64_e64 s[2:3], v[8:9]
	s_xor_b32 s14, exec_lo, s14
; %bb.39:                               ;   in Loop: Header=BB91_37 Depth=2
	v_add_nc_u32_e32 v8, 1, v11
	s_mov_b32 s13, -1
                                        ; implicit-def: $vgpr12
	s_delay_alu instid0(VALU_DEP_1)
	v_and_b32_e32 v11, 15, v8
; %bb.40:                               ;   in Loop: Header=BB91_37 Depth=2
	s_and_not1_saveexec_b32 s14, s14
	s_cbranch_execz .LBB91_44
; %bb.41:                               ;   in Loop: Header=BB91_37 Depth=2
	v_dual_mov_b32 v9, s3 :: v_dual_mov_b32 v8, s2
	s_mov_b32 s15, -1
	s_mov_b32 s16, exec_lo
	ds_cmpstore_rtn_b64 v[8:9], v12, v[6:7], v[8:9]
	s_waitcnt lgkmcnt(0)
	v_cmpx_eq_u64_e64 s[2:3], v[8:9]
	s_cbranch_execz .LBB91_43
; %bb.42:                               ;   in Loop: Header=BB91_37 Depth=2
	v_lshl_add_u32 v8, v11, 2, v19
	s_xor_b32 s15, exec_lo, -1
	ds_add_f32 v8, v10
.LBB91_43:                              ;   in Loop: Header=BB91_37 Depth=2
	s_or_b32 exec_lo, exec_lo, s16
	s_delay_alu instid0(SALU_CYCLE_1) | instskip(SKIP_1) | instid1(SALU_CYCLE_1)
	s_and_not1_b32 s13, s13, exec_lo
	s_and_b32 s15, s15, exec_lo
	s_or_b32 s13, s13, s15
.LBB91_44:                              ;   in Loop: Header=BB91_37 Depth=2
	s_or_b32 exec_lo, exec_lo, s14
	s_delay_alu instid0(SALU_CYCLE_1)
	s_and_b32 s13, s13, exec_lo
.LBB91_45:                              ;   in Loop: Header=BB91_37 Depth=2
	s_and_not1_saveexec_b32 s12, s12
	s_cbranch_execz .LBB91_36
; %bb.46:                               ;   in Loop: Header=BB91_37 Depth=2
	v_lshl_add_u32 v8, v11, 2, v19
	s_and_not1_b32 s13, s13, exec_lo
	ds_add_f32 v8, v10
	s_branch .LBB91_36
.LBB91_47:
	s_or_b32 exec_lo, exec_lo, s1
.LBB91_48:
	v_add_co_u32 v0, vcc_lo, s10, v4
	v_add_co_ci_u32_e32 v1, vcc_lo, s11, v5, vcc_lo
	s_waitcnt lgkmcnt(0)
	buffer_gl0_inv
	s_mov_b32 s0, 0
	global_load_b64 v[0:1], v[0:1], off
	s_waitcnt vmcnt(0)
	v_sub_co_u32 v2, vcc_lo, v0, s26
	v_subrev_co_ci_u32_e32 v3, vcc_lo, 0, v1, vcc_lo
	s_branch .LBB91_50
.LBB91_49:                              ;   in Loop: Header=BB91_50 Depth=1
	s_or_b32 exec_lo, exec_lo, s1
	v_add_co_u32 v16, s1, v16, 8
	s_delay_alu instid0(VALU_DEP_1) | instskip(SKIP_3) | instid1(SALU_CYCLE_1)
	s_xor_b32 s1, s1, -1
	v_add_nc_u32_e32 v15, 32, v15
	v_add_nc_u32_e32 v14, 64, v14
	s_and_b32 s1, exec_lo, s1
	s_or_b32 s0, s1, s0
	s_delay_alu instid0(SALU_CYCLE_1)
	s_and_not1_b32 exec_lo, exec_lo, s0
	s_cbranch_execz .LBB91_52
.LBB91_50:                              ; =>This Inner Loop Header: Depth=1
	ds_load_b64 v[0:1], v14
	s_mov_b32 s1, exec_lo
	s_waitcnt lgkmcnt(0)
	v_cmpx_gt_i64_e64 s[2:3], v[0:1]
	s_cbranch_execz .LBB91_49
; %bb.51:                               ;   in Loop: Header=BB91_50 Depth=1
	ds_load_b128 v[4:7], v17
	ds_load_b128 v[8:11], v17 offset:16
	ds_load_b128 v[18:21], v17 offset:32
	;; [unrolled: 1-line block ×7, first 2 shown]
	s_waitcnt lgkmcnt(7)
	v_cmp_gt_i64_e32 vcc_lo, v[0:1], v[4:5]
	v_cndmask_b32_e64 v4, 0, 1, vcc_lo
	v_cmp_gt_i64_e32 vcc_lo, v[0:1], v[6:7]
	v_cndmask_b32_e64 v5, 0, 1, vcc_lo
	s_delay_alu instid0(VALU_DEP_3)
	v_add_co_u32 v4, vcc_lo, v2, v4
	v_add_co_ci_u32_e32 v6, vcc_lo, 0, v3, vcc_lo
	s_waitcnt lgkmcnt(6)
	v_cmp_gt_i64_e32 vcc_lo, v[0:1], v[8:9]
	ds_load_b32 v8, v15
	v_cndmask_b32_e64 v7, 0, 1, vcc_lo
	v_add_co_u32 v4, vcc_lo, v4, v5
	v_add_co_ci_u32_e32 v5, vcc_lo, 0, v6, vcc_lo
	v_cmp_gt_i64_e32 vcc_lo, v[0:1], v[10:11]
	v_cndmask_b32_e64 v6, 0, 1, vcc_lo
	s_delay_alu instid0(VALU_DEP_4) | instskip(NEXT) | instid1(VALU_DEP_4)
	v_add_co_u32 v4, vcc_lo, v4, v7
	v_add_co_ci_u32_e32 v5, vcc_lo, 0, v5, vcc_lo
	s_waitcnt lgkmcnt(6)
	v_cmp_gt_i64_e32 vcc_lo, v[0:1], v[18:19]
	v_cndmask_b32_e64 v7, 0, 1, vcc_lo
	v_add_co_u32 v4, vcc_lo, v4, v6
	v_add_co_ci_u32_e32 v5, vcc_lo, 0, v5, vcc_lo
	v_cmp_gt_i64_e32 vcc_lo, v[0:1], v[20:21]
	v_cndmask_b32_e64 v6, 0, 1, vcc_lo
	s_delay_alu instid0(VALU_DEP_4) | instskip(NEXT) | instid1(VALU_DEP_4)
	v_add_co_u32 v4, vcc_lo, v4, v7
	v_add_co_ci_u32_e32 v5, vcc_lo, 0, v5, vcc_lo
	s_waitcnt lgkmcnt(5)
	v_cmp_gt_i64_e32 vcc_lo, v[0:1], v[22:23]
	v_cndmask_b32_e64 v7, 0, 1, vcc_lo
	v_add_co_u32 v4, vcc_lo, v4, v6
	v_add_co_ci_u32_e32 v5, vcc_lo, 0, v5, vcc_lo
	v_cmp_gt_i64_e32 vcc_lo, v[0:1], v[24:25]
	v_cndmask_b32_e64 v6, 0, 1, vcc_lo
	s_delay_alu instid0(VALU_DEP_4) | instskip(NEXT) | instid1(VALU_DEP_4)
	v_add_co_u32 v4, vcc_lo, v4, v7
	v_add_co_ci_u32_e32 v5, vcc_lo, 0, v5, vcc_lo
	s_waitcnt lgkmcnt(4)
	v_cmp_gt_i64_e32 vcc_lo, v[0:1], v[26:27]
	v_cndmask_b32_e64 v7, 0, 1, vcc_lo
	v_add_co_u32 v4, vcc_lo, v4, v6
	v_add_co_ci_u32_e32 v5, vcc_lo, 0, v5, vcc_lo
	v_cmp_gt_i64_e32 vcc_lo, v[0:1], v[28:29]
	v_cndmask_b32_e64 v6, 0, 1, vcc_lo
	s_delay_alu instid0(VALU_DEP_4) | instskip(NEXT) | instid1(VALU_DEP_4)
	v_add_co_u32 v4, vcc_lo, v4, v7
	v_add_co_ci_u32_e32 v5, vcc_lo, 0, v5, vcc_lo
	s_waitcnt lgkmcnt(3)
	v_cmp_gt_i64_e32 vcc_lo, v[0:1], v[30:31]
	v_cndmask_b32_e64 v7, 0, 1, vcc_lo
	v_add_co_u32 v4, vcc_lo, v4, v6
	v_add_co_ci_u32_e32 v5, vcc_lo, 0, v5, vcc_lo
	v_cmp_gt_i64_e32 vcc_lo, v[0:1], v[32:33]
	v_cndmask_b32_e64 v6, 0, 1, vcc_lo
	s_delay_alu instid0(VALU_DEP_4) | instskip(NEXT) | instid1(VALU_DEP_4)
	v_add_co_u32 v4, vcc_lo, v4, v7
	v_add_co_ci_u32_e32 v5, vcc_lo, 0, v5, vcc_lo
	s_waitcnt lgkmcnt(2)
	v_cmp_gt_i64_e32 vcc_lo, v[0:1], v[34:35]
	v_cndmask_b32_e64 v7, 0, 1, vcc_lo
	v_add_co_u32 v4, vcc_lo, v4, v6
	v_add_co_ci_u32_e32 v5, vcc_lo, 0, v5, vcc_lo
	v_cmp_gt_i64_e32 vcc_lo, v[0:1], v[36:37]
	v_cndmask_b32_e64 v6, 0, 1, vcc_lo
	s_delay_alu instid0(VALU_DEP_4) | instskip(NEXT) | instid1(VALU_DEP_4)
	v_add_co_u32 v4, vcc_lo, v4, v7
	v_add_co_ci_u32_e32 v5, vcc_lo, 0, v5, vcc_lo
	s_waitcnt lgkmcnt(1)
	v_cmp_gt_i64_e32 vcc_lo, v[0:1], v[38:39]
	v_cndmask_b32_e64 v7, 0, 1, vcc_lo
	v_add_co_u32 v4, vcc_lo, v4, v6
	v_add_co_ci_u32_e32 v5, vcc_lo, 0, v5, vcc_lo
	v_cmp_gt_i64_e32 vcc_lo, v[0:1], v[40:41]
	v_cndmask_b32_e64 v6, 0, 1, vcc_lo
	s_delay_alu instid0(VALU_DEP_4) | instskip(NEXT) | instid1(VALU_DEP_4)
	v_add_co_u32 v4, vcc_lo, v4, v7
	v_add_co_ci_u32_e32 v5, vcc_lo, 0, v5, vcc_lo
	s_delay_alu instid0(VALU_DEP_2) | instskip(NEXT) | instid1(VALU_DEP_2)
	v_add_co_u32 v4, vcc_lo, v4, v6
	v_add_co_ci_u32_e32 v5, vcc_lo, 0, v5, vcc_lo
	v_add_co_u32 v0, vcc_lo, v0, s26
	v_add_co_ci_u32_e32 v1, vcc_lo, 0, v1, vcc_lo
	s_delay_alu instid0(VALU_DEP_3) | instskip(SKIP_1) | instid1(VALU_DEP_2)
	v_lshlrev_b64 v[6:7], 3, v[4:5]
	v_lshlrev_b64 v[4:5], 2, v[4:5]
	v_add_co_u32 v6, vcc_lo, s28, v6
	s_delay_alu instid0(VALU_DEP_3) | instskip(NEXT) | instid1(VALU_DEP_3)
	v_add_co_ci_u32_e32 v7, vcc_lo, s29, v7, vcc_lo
	v_add_co_u32 v4, vcc_lo, s30, v4
	s_delay_alu instid0(VALU_DEP_4)
	v_add_co_ci_u32_e32 v5, vcc_lo, s31, v5, vcc_lo
	global_store_b64 v[6:7], v[0:1], off
	s_waitcnt lgkmcnt(0)
	global_store_b32 v[4:5], v8, off
	s_branch .LBB91_49
.LBB91_52:
	s_nop 0
	s_sendmsg sendmsg(MSG_DEALLOC_VGPRS)
	s_endpgm
	.section	.rodata,"a",@progbits
	.p2align	6, 0x0
	.amdhsa_kernel _ZN9rocsparseL23csrgemm_fill_wf_per_rowILj256ELj8ELj16ELj137EllfEEvT4_S1_PKS1_S3_NS_24const_host_device_scalarIT5_EEPKT3_S3_PKS5_S9_S3_SB_S6_S9_S3_SB_S9_PS1_PS5_21rocsparse_index_base_SE_SE_SE_bbb
		.amdhsa_group_segment_fixed_size 6144
		.amdhsa_private_segment_fixed_size 0
		.amdhsa_kernarg_size 164
		.amdhsa_user_sgpr_count 15
		.amdhsa_user_sgpr_dispatch_ptr 0
		.amdhsa_user_sgpr_queue_ptr 0
		.amdhsa_user_sgpr_kernarg_segment_ptr 1
		.amdhsa_user_sgpr_dispatch_id 0
		.amdhsa_user_sgpr_private_segment_size 0
		.amdhsa_wavefront_size32 1
		.amdhsa_uses_dynamic_stack 0
		.amdhsa_enable_private_segment 0
		.amdhsa_system_sgpr_workgroup_id_x 1
		.amdhsa_system_sgpr_workgroup_id_y 0
		.amdhsa_system_sgpr_workgroup_id_z 0
		.amdhsa_system_sgpr_workgroup_info 0
		.amdhsa_system_vgpr_workitem_id 0
		.amdhsa_next_free_vgpr 42
		.amdhsa_next_free_sgpr 44
		.amdhsa_reserve_vcc 1
		.amdhsa_float_round_mode_32 0
		.amdhsa_float_round_mode_16_64 0
		.amdhsa_float_denorm_mode_32 3
		.amdhsa_float_denorm_mode_16_64 3
		.amdhsa_dx10_clamp 1
		.amdhsa_ieee_mode 1
		.amdhsa_fp16_overflow 0
		.amdhsa_workgroup_processor_mode 1
		.amdhsa_memory_ordered 1
		.amdhsa_forward_progress 0
		.amdhsa_shared_vgpr_count 0
		.amdhsa_exception_fp_ieee_invalid_op 0
		.amdhsa_exception_fp_denorm_src 0
		.amdhsa_exception_fp_ieee_div_zero 0
		.amdhsa_exception_fp_ieee_overflow 0
		.amdhsa_exception_fp_ieee_underflow 0
		.amdhsa_exception_fp_ieee_inexact 0
		.amdhsa_exception_int_div_zero 0
	.end_amdhsa_kernel
	.section	.text._ZN9rocsparseL23csrgemm_fill_wf_per_rowILj256ELj8ELj16ELj137EllfEEvT4_S1_PKS1_S3_NS_24const_host_device_scalarIT5_EEPKT3_S3_PKS5_S9_S3_SB_S6_S9_S3_SB_S9_PS1_PS5_21rocsparse_index_base_SE_SE_SE_bbb,"axG",@progbits,_ZN9rocsparseL23csrgemm_fill_wf_per_rowILj256ELj8ELj16ELj137EllfEEvT4_S1_PKS1_S3_NS_24const_host_device_scalarIT5_EEPKT3_S3_PKS5_S9_S3_SB_S6_S9_S3_SB_S9_PS1_PS5_21rocsparse_index_base_SE_SE_SE_bbb,comdat
.Lfunc_end91:
	.size	_ZN9rocsparseL23csrgemm_fill_wf_per_rowILj256ELj8ELj16ELj137EllfEEvT4_S1_PKS1_S3_NS_24const_host_device_scalarIT5_EEPKT3_S3_PKS5_S9_S3_SB_S6_S9_S3_SB_S9_PS1_PS5_21rocsparse_index_base_SE_SE_SE_bbb, .Lfunc_end91-_ZN9rocsparseL23csrgemm_fill_wf_per_rowILj256ELj8ELj16ELj137EllfEEvT4_S1_PKS1_S3_NS_24const_host_device_scalarIT5_EEPKT3_S3_PKS5_S9_S3_SB_S6_S9_S3_SB_S9_PS1_PS5_21rocsparse_index_base_SE_SE_SE_bbb
                                        ; -- End function
	.section	.AMDGPU.csdata,"",@progbits
; Kernel info:
; codeLenInByte = 2468
; NumSgprs: 46
; NumVgprs: 42
; ScratchSize: 0
; MemoryBound: 0
; FloatMode: 240
; IeeeMode: 1
; LDSByteSize: 6144 bytes/workgroup (compile time only)
; SGPRBlocks: 5
; VGPRBlocks: 5
; NumSGPRsForWavesPerEU: 46
; NumVGPRsForWavesPerEU: 42
; Occupancy: 16
; WaveLimiterHint : 1
; COMPUTE_PGM_RSRC2:SCRATCH_EN: 0
; COMPUTE_PGM_RSRC2:USER_SGPR: 15
; COMPUTE_PGM_RSRC2:TRAP_HANDLER: 0
; COMPUTE_PGM_RSRC2:TGID_X_EN: 1
; COMPUTE_PGM_RSRC2:TGID_Y_EN: 0
; COMPUTE_PGM_RSRC2:TGID_Z_EN: 0
; COMPUTE_PGM_RSRC2:TIDIG_COMP_CNT: 0
	.section	.text._ZN9rocsparseL23csrgemm_fill_wf_per_rowILj256ELj16ELj32ELj137EllfEEvT4_S1_PKS1_S3_NS_24const_host_device_scalarIT5_EEPKT3_S3_PKS5_S9_S3_SB_S6_S9_S3_SB_S9_PS1_PS5_21rocsparse_index_base_SE_SE_SE_bbb,"axG",@progbits,_ZN9rocsparseL23csrgemm_fill_wf_per_rowILj256ELj16ELj32ELj137EllfEEvT4_S1_PKS1_S3_NS_24const_host_device_scalarIT5_EEPKT3_S3_PKS5_S9_S3_SB_S6_S9_S3_SB_S9_PS1_PS5_21rocsparse_index_base_SE_SE_SE_bbb,comdat
	.globl	_ZN9rocsparseL23csrgemm_fill_wf_per_rowILj256ELj16ELj32ELj137EllfEEvT4_S1_PKS1_S3_NS_24const_host_device_scalarIT5_EEPKT3_S3_PKS5_S9_S3_SB_S6_S9_S3_SB_S9_PS1_PS5_21rocsparse_index_base_SE_SE_SE_bbb ; -- Begin function _ZN9rocsparseL23csrgemm_fill_wf_per_rowILj256ELj16ELj32ELj137EllfEEvT4_S1_PKS1_S3_NS_24const_host_device_scalarIT5_EEPKT3_S3_PKS5_S9_S3_SB_S6_S9_S3_SB_S9_PS1_PS5_21rocsparse_index_base_SE_SE_SE_bbb
	.p2align	8
	.type	_ZN9rocsparseL23csrgemm_fill_wf_per_rowILj256ELj16ELj32ELj137EllfEEvT4_S1_PKS1_S3_NS_24const_host_device_scalarIT5_EEPKT3_S3_PKS5_S9_S3_SB_S6_S9_S3_SB_S9_PS1_PS5_21rocsparse_index_base_SE_SE_SE_bbb,@function
_ZN9rocsparseL23csrgemm_fill_wf_per_rowILj256ELj16ELj32ELj137EllfEEvT4_S1_PKS1_S3_NS_24const_host_device_scalarIT5_EEPKT3_S3_PKS5_S9_S3_SB_S6_S9_S3_SB_S9_PS1_PS5_21rocsparse_index_base_SE_SE_SE_bbb: ; @_ZN9rocsparseL23csrgemm_fill_wf_per_rowILj256ELj16ELj32ELj137EllfEEvT4_S1_PKS1_S3_NS_24const_host_device_scalarIT5_EEPKT3_S3_PKS5_S9_S3_SB_S6_S9_S3_SB_S9_PS1_PS5_21rocsparse_index_base_SE_SE_SE_bbb
; %bb.0:
	s_clause 0x3
	s_load_b32 s12, s[0:1], 0xa0
	s_load_b128 s[24:27], s[0:1], 0x90
	s_load_b64 s[4:5], s[0:1], 0x20
	s_load_b64 s[2:3], s[0:1], 0x58
	s_waitcnt lgkmcnt(0)
	s_bitcmp1_b32 s12, 0
	s_cselect_b32 s13, -1, 0
	s_bitcmp1_b32 s12, 16
	s_cselect_b32 s14, -1, 0
	s_xor_b32 s6, s13, -1
	s_delay_alu instid0(SALU_CYCLE_1) | instskip(NEXT) | instid1(SALU_CYCLE_1)
	s_or_b32 s6, s6, s14
	s_and_b32 vcc_lo, exec_lo, s6
	s_cbranch_vccnz .LBB92_2
; %bb.1:
	s_load_b32 s4, s[4:5], 0x0
	s_waitcnt lgkmcnt(0)
	v_mov_b32_e32 v20, s4
	s_branch .LBB92_3
.LBB92_2:
	v_cndmask_b32_e64 v20, 0, s4, s13
.LBB92_3:
	s_clause 0x4
	s_load_b128 s[28:31], s[0:1], 0x80
	s_load_b256 s[4:11], s[0:1], 0x60
	s_load_b128 s[36:39], s[0:1], 0x48
	s_load_b128 s[40:43], s[0:1], 0x10
	s_load_b256 s[16:23], s[0:1], 0x28
	s_bitcmp1_b32 s12, 8
	s_cselect_b32 s12, -1, 0
	s_delay_alu instid0(SALU_CYCLE_1) | instskip(NEXT) | instid1(SALU_CYCLE_1)
	s_xor_b32 s33, s12, -1
	s_or_b32 s14, s33, s14
	s_delay_alu instid0(SALU_CYCLE_1)
	s_and_b32 vcc_lo, exec_lo, s14
	s_cbranch_vccnz .LBB92_5
; %bb.4:
	s_load_b32 s2, s[2:3], 0x0
	s_waitcnt lgkmcnt(0)
	v_mov_b32_e32 v18, s2
	s_branch .LBB92_6
.LBB92_5:
	v_cndmask_b32_e64 v18, 0, s2, s12
.LBB92_6:
	v_and_b32_e32 v21, 15, v0
	s_load_b128 s[0:3], s[0:1], 0x0
	v_lshrrev_b32_e32 v2, 4, v0
	s_mov_b32 s14, 0
	s_delay_alu instid0(VALU_DEP_2) | instskip(NEXT) | instid1(VALU_DEP_2)
	v_lshlrev_b32_e32 v1, 3, v21
	v_lshlrev_b32_e32 v0, 7, v2
	s_delay_alu instid0(VALU_DEP_2) | instskip(NEXT) | instid1(VALU_DEP_1)
	v_lshl_or_b32 v14, v2, 8, v1
	v_dual_mov_b32 v4, v14 :: v_dual_lshlrev_b32 v3, 2, v21
	v_or_b32_e32 v16, -16, v21
	s_delay_alu instid0(VALU_DEP_2) | instskip(SKIP_2) | instid1(VALU_DEP_3)
	v_or3_b32 v15, v0, v3, 0x1000
	s_waitcnt lgkmcnt(0)
	v_dual_mov_b32 v0, s2 :: v_dual_mov_b32 v3, 0
	v_dual_mov_b32 v1, s3 :: v_dual_mov_b32 v6, v16
	s_delay_alu instid0(VALU_DEP_3)
	v_mov_b32_e32 v5, v15
.LBB92_7:                               ; =>This Inner Loop Header: Depth=1
	s_delay_alu instid0(VALU_DEP_2) | instskip(NEXT) | instid1(VALU_DEP_1)
	v_add_co_u32 v6, s33, v6, 16
	s_xor_b32 s33, s33, -1
	ds_store_b64 v4, v[0:1]
	ds_store_b32 v5, v3
	v_add_nc_u32_e32 v5, 64, v5
	v_add_nc_u32_e32 v4, 0x80, v4
	s_and_b32 s33, exec_lo, s33
	s_delay_alu instid0(SALU_CYCLE_1) | instskip(NEXT) | instid1(SALU_CYCLE_1)
	s_or_b32 s14, s33, s14
	s_and_not1_b32 exec_lo, exec_lo, s14
	s_cbranch_execnz .LBB92_7
; %bb.8:
	s_or_b32 exec_lo, exec_lo, s14
	s_lshl_b32 s14, s15, 4
	v_mov_b32_e32 v1, 0
	v_and_or_b32 v0, 0xffffff0, s14, v2
	s_waitcnt lgkmcnt(0)
	buffer_gl0_inv
	v_cmp_gt_i64_e32 vcc_lo, s[0:1], v[0:1]
	s_and_saveexec_b32 s0, vcc_lo
	s_cbranch_execz .LBB92_52
; %bb.9:
	s_cmp_eq_u64 s[42:43], 0
	s_cbranch_scc1 .LBB92_11
; %bb.10:
	s_load_b64 s[0:1], s[40:41], 0x0
	v_lshlrev_b32_e32 v0, 3, v0
	s_waitcnt lgkmcnt(0)
	s_lshl_b64 s[0:1], s[0:1], 3
	s_delay_alu instid0(SALU_CYCLE_1)
	s_add_u32 s0, s42, s0
	s_addc_u32 s1, s43, s1
	global_load_b64 v[0:1], v0, s[0:1]
.LBB92_11:
	s_waitcnt vmcnt(0)
	v_lshlrev_b64 v[4:5], 3, v[0:1]
	v_lshlrev_b32_e32 v17, 8, v2
	v_lshl_or_b32 v19, v2, 7, 0x1000
	s_and_not1_b32 vcc_lo, exec_lo, s13
	s_cbranch_vccnz .LBB92_31
; %bb.12:
	s_delay_alu instid0(VALU_DEP_3) | instskip(SKIP_2) | instid1(VALU_DEP_1)
	v_add_co_u32 v0, vcc_lo, s16, v4
	v_add_co_ci_u32_e32 v1, vcc_lo, s17, v5, vcc_lo
	v_sub_co_u32 v8, s0, v21, s24
	v_sub_co_ci_u32_e64 v9, null, 0, 0, s0
	global_load_b128 v[0:3], v[0:1], off
	s_mov_b32 s1, 0
	s_mov_b32 s0, exec_lo
	s_waitcnt vmcnt(0)
	v_sub_co_u32 v6, vcc_lo, v2, s24
	v_subrev_co_ci_u32_e32 v7, vcc_lo, 0, v3, vcc_lo
	v_add_co_u32 v8, vcc_lo, v0, v8
	v_add_co_ci_u32_e32 v9, vcc_lo, v1, v9, vcc_lo
	s_delay_alu instid0(VALU_DEP_1)
	v_cmpx_lt_i64_e64 v[8:9], v[6:7]
	s_cbranch_execz .LBB92_30
; %bb.13:
	s_mov_b32 s13, s25
	s_branch .LBB92_15
.LBB92_14:                              ;   in Loop: Header=BB92_15 Depth=1
	s_or_b32 exec_lo, exec_lo, s14
	v_add_co_u32 v8, vcc_lo, v8, 16
	v_add_co_ci_u32_e32 v9, vcc_lo, 0, v9, vcc_lo
	s_delay_alu instid0(VALU_DEP_1) | instskip(SKIP_1) | instid1(SALU_CYCLE_1)
	v_cmp_ge_i64_e32 vcc_lo, v[8:9], v[6:7]
	s_or_b32 s1, vcc_lo, s1
	s_and_not1_b32 exec_lo, exec_lo, s1
	s_cbranch_execz .LBB92_30
.LBB92_15:                              ; =>This Loop Header: Depth=1
                                        ;     Child Loop BB92_18 Depth 2
                                        ;       Child Loop BB92_20 Depth 3
	v_lshlrev_b64 v[0:1], 3, v[8:9]
	s_mov_b32 s14, exec_lo
	s_delay_alu instid0(VALU_DEP_1) | instskip(NEXT) | instid1(VALU_DEP_2)
	v_add_co_u32 v0, vcc_lo, s18, v0
	v_add_co_ci_u32_e32 v1, vcc_lo, s19, v1, vcc_lo
	global_load_b64 v[0:1], v[0:1], off
	s_waitcnt vmcnt(0)
	v_sub_co_u32 v0, vcc_lo, v0, s24
	v_subrev_co_ci_u32_e32 v1, vcc_lo, 0, v1, vcc_lo
	s_delay_alu instid0(VALU_DEP_1) | instskip(NEXT) | instid1(VALU_DEP_1)
	v_lshlrev_b64 v[0:1], 3, v[0:1]
	v_add_co_u32 v0, vcc_lo, s22, v0
	s_delay_alu instid0(VALU_DEP_2)
	v_add_co_ci_u32_e32 v1, vcc_lo, s23, v1, vcc_lo
	global_load_b128 v[0:3], v[0:1], off
	s_waitcnt vmcnt(0)
	v_cmpx_lt_i64_e64 v[0:1], v[2:3]
	s_cbranch_execz .LBB92_14
; %bb.16:                               ;   in Loop: Header=BB92_15 Depth=1
	v_lshlrev_b64 v[10:11], 2, v[8:9]
	s_mov_b32 s15, 0
	s_delay_alu instid0(VALU_DEP_1) | instskip(NEXT) | instid1(VALU_DEP_2)
	v_add_co_u32 v10, vcc_lo, s20, v10
	v_add_co_ci_u32_e32 v11, vcc_lo, s21, v11, vcc_lo
	v_sub_co_u32 v2, vcc_lo, v2, s13
	v_subrev_co_ci_u32_e32 v3, vcc_lo, 0, v3, vcc_lo
	global_load_b32 v10, v[10:11], off
	v_sub_co_u32 v0, vcc_lo, v0, s13
	v_subrev_co_ci_u32_e32 v1, vcc_lo, 0, v1, vcc_lo
	s_waitcnt vmcnt(0)
	v_mul_f32_e32 v22, v20, v10
	s_branch .LBB92_18
.LBB92_17:                              ;   in Loop: Header=BB92_18 Depth=2
	s_or_b32 exec_lo, exec_lo, s16
	v_add_co_u32 v0, vcc_lo, v0, 1
	v_add_co_ci_u32_e32 v1, vcc_lo, 0, v1, vcc_lo
	s_delay_alu instid0(VALU_DEP_1) | instskip(SKIP_1) | instid1(SALU_CYCLE_1)
	v_cmp_ge_i64_e32 vcc_lo, v[0:1], v[2:3]
	s_or_b32 s15, vcc_lo, s15
	s_and_not1_b32 exec_lo, exec_lo, s15
	s_cbranch_execz .LBB92_14
.LBB92_18:                              ;   Parent Loop BB92_15 Depth=1
                                        ; =>  This Loop Header: Depth=2
                                        ;       Child Loop BB92_20 Depth 3
	s_delay_alu instid0(VALU_DEP_2) | instskip(SKIP_2) | instid1(VALU_DEP_2)
	v_lshlrev_b64 v[10:11], 3, v[0:1]
	v_lshlrev_b64 v[12:13], 2, v[0:1]
	s_mov_b32 s16, 0
	v_add_co_u32 v10, vcc_lo, s36, v10
	s_delay_alu instid0(VALU_DEP_3) | instskip(NEXT) | instid1(VALU_DEP_3)
	v_add_co_ci_u32_e32 v11, vcc_lo, s37, v11, vcc_lo
	v_add_co_u32 v12, vcc_lo, s38, v12
	s_delay_alu instid0(VALU_DEP_4)
	v_add_co_ci_u32_e32 v13, vcc_lo, s39, v13, vcc_lo
	global_load_b64 v[10:11], v[10:11], off
	global_load_b32 v12, v[12:13], off
	s_waitcnt vmcnt(1)
	v_sub_co_u32 v10, vcc_lo, v10, s13
	v_subrev_co_ci_u32_e32 v11, vcc_lo, 0, v11, vcc_lo
	s_delay_alu instid0(VALU_DEP_2) | instskip(SKIP_1) | instid1(VALU_DEP_1)
	v_lshl_add_u32 v13, v10, 3, v10
	s_waitcnt vmcnt(0)
	v_dual_mul_f32 v23, v22, v12 :: v_dual_and_b32 v24, 31, v13
	s_branch .LBB92_20
.LBB92_19:                              ;   in Loop: Header=BB92_20 Depth=3
	s_or_b32 exec_lo, exec_lo, s17
	s_xor_b32 s17, s25, -1
	s_delay_alu instid0(SALU_CYCLE_1) | instskip(NEXT) | instid1(SALU_CYCLE_1)
	s_and_b32 s17, exec_lo, s17
	s_or_b32 s16, s17, s16
	s_delay_alu instid0(SALU_CYCLE_1)
	s_and_not1_b32 exec_lo, exec_lo, s16
	s_cbranch_execz .LBB92_17
.LBB92_20:                              ;   Parent Loop BB92_15 Depth=1
                                        ;     Parent Loop BB92_18 Depth=2
                                        ; =>    This Inner Loop Header: Depth=3
	s_delay_alu instid0(VALU_DEP_1)
	v_lshl_add_u32 v25, v24, 3, v17
	s_mov_b32 s17, exec_lo
                                        ; implicit-def: $sgpr25
	ds_load_b64 v[12:13], v25
	s_waitcnt lgkmcnt(0)
	v_cmpx_ne_u64_e64 v[12:13], v[10:11]
	s_xor_b32 s17, exec_lo, s17
	s_cbranch_execz .LBB92_28
; %bb.21:                               ;   in Loop: Header=BB92_20 Depth=3
	s_mov_b32 s33, exec_lo
                                        ; implicit-def: $sgpr25
	v_cmpx_ne_u64_e64 s[2:3], v[12:13]
	s_xor_b32 s33, exec_lo, s33
; %bb.22:                               ;   in Loop: Header=BB92_20 Depth=3
	v_add_nc_u32_e32 v12, 1, v24
	s_mov_b32 s25, -1
                                        ; implicit-def: $vgpr25
	s_delay_alu instid0(VALU_DEP_1)
	v_and_b32_e32 v24, 31, v12
; %bb.23:                               ;   in Loop: Header=BB92_20 Depth=3
	s_and_not1_saveexec_b32 s33, s33
	s_cbranch_execz .LBB92_27
; %bb.24:                               ;   in Loop: Header=BB92_20 Depth=3
	v_dual_mov_b32 v13, s3 :: v_dual_mov_b32 v12, s2
	s_mov_b32 s34, -1
	s_mov_b32 s35, exec_lo
	ds_cmpstore_rtn_b64 v[12:13], v25, v[10:11], v[12:13]
	s_waitcnt lgkmcnt(0)
	v_cmpx_eq_u64_e64 s[2:3], v[12:13]
	s_cbranch_execz .LBB92_26
; %bb.25:                               ;   in Loop: Header=BB92_20 Depth=3
	v_lshl_add_u32 v12, v24, 2, v19
	s_xor_b32 s34, exec_lo, -1
	ds_add_f32 v12, v23
.LBB92_26:                              ;   in Loop: Header=BB92_20 Depth=3
	s_or_b32 exec_lo, exec_lo, s35
	s_delay_alu instid0(SALU_CYCLE_1) | instskip(SKIP_1) | instid1(SALU_CYCLE_1)
	s_and_not1_b32 s25, s25, exec_lo
	s_and_b32 s34, s34, exec_lo
	s_or_b32 s25, s25, s34
.LBB92_27:                              ;   in Loop: Header=BB92_20 Depth=3
	s_or_b32 exec_lo, exec_lo, s33
	s_delay_alu instid0(SALU_CYCLE_1)
	s_and_b32 s25, s25, exec_lo
.LBB92_28:                              ;   in Loop: Header=BB92_20 Depth=3
	s_and_not1_saveexec_b32 s17, s17
	s_cbranch_execz .LBB92_19
; %bb.29:                               ;   in Loop: Header=BB92_20 Depth=3
	v_lshl_add_u32 v12, v24, 2, v19
	s_and_not1_b32 s25, s25, exec_lo
	ds_add_f32 v12, v23
	s_branch .LBB92_19
.LBB92_30:
	s_or_b32 exec_lo, exec_lo, s0
.LBB92_31:
	s_delay_alu instid0(SALU_CYCLE_1)
	s_and_not1_b32 vcc_lo, exec_lo, s12
	s_cbranch_vccnz .LBB92_48
; %bb.32:
	v_add_co_u32 v0, vcc_lo, s4, v4
	v_add_co_ci_u32_e32 v1, vcc_lo, s5, v5, vcc_lo
	v_sub_co_u32 v2, s0, v21, s27
	s_delay_alu instid0(VALU_DEP_1)
	v_sub_co_ci_u32_e64 v3, null, 0, 0, s0
	global_load_b128 v[6:9], v[0:1], off
	s_mov_b32 s0, 0
	s_mov_b32 s1, exec_lo
	s_waitcnt vmcnt(0)
	v_sub_co_u32 v0, vcc_lo, v8, s27
	v_subrev_co_ci_u32_e32 v1, vcc_lo, 0, v9, vcc_lo
	v_add_co_u32 v2, vcc_lo, v6, v2
	v_add_co_ci_u32_e32 v3, vcc_lo, v7, v3, vcc_lo
	s_delay_alu instid0(VALU_DEP_1)
	v_cmpx_lt_i64_e64 v[2:3], v[0:1]
	s_cbranch_execz .LBB92_47
; %bb.33:
	s_mov_b32 s4, s27
	s_branch .LBB92_35
.LBB92_34:                              ;   in Loop: Header=BB92_35 Depth=1
	s_or_b32 exec_lo, exec_lo, s5
	v_add_co_u32 v2, vcc_lo, v2, 16
	v_add_co_ci_u32_e32 v3, vcc_lo, 0, v3, vcc_lo
	s_delay_alu instid0(VALU_DEP_1) | instskip(SKIP_1) | instid1(SALU_CYCLE_1)
	v_cmp_ge_i64_e32 vcc_lo, v[2:3], v[0:1]
	s_or_b32 s0, vcc_lo, s0
	s_and_not1_b32 exec_lo, exec_lo, s0
	s_cbranch_execz .LBB92_47
.LBB92_35:                              ; =>This Loop Header: Depth=1
                                        ;     Child Loop BB92_37 Depth 2
	v_lshlrev_b64 v[6:7], 3, v[2:3]
	v_lshlrev_b64 v[8:9], 2, v[2:3]
	s_mov_b32 s5, 0
	s_delay_alu instid0(VALU_DEP_2) | instskip(NEXT) | instid1(VALU_DEP_3)
	v_add_co_u32 v6, vcc_lo, s6, v6
	v_add_co_ci_u32_e32 v7, vcc_lo, s7, v7, vcc_lo
	s_delay_alu instid0(VALU_DEP_3) | instskip(NEXT) | instid1(VALU_DEP_4)
	v_add_co_u32 v8, vcc_lo, s8, v8
	v_add_co_ci_u32_e32 v9, vcc_lo, s9, v9, vcc_lo
	global_load_b64 v[6:7], v[6:7], off
	global_load_b32 v8, v[8:9], off
	s_waitcnt vmcnt(1)
	v_sub_co_u32 v6, vcc_lo, v6, s4
	v_subrev_co_ci_u32_e32 v7, vcc_lo, 0, v7, vcc_lo
	s_delay_alu instid0(VALU_DEP_2) | instskip(SKIP_1) | instid1(VALU_DEP_1)
	v_lshl_add_u32 v9, v6, 3, v6
	s_waitcnt vmcnt(0)
	v_dual_mul_f32 v10, v18, v8 :: v_dual_and_b32 v11, 31, v9
	s_branch .LBB92_37
.LBB92_36:                              ;   in Loop: Header=BB92_37 Depth=2
	s_or_b32 exec_lo, exec_lo, s12
	s_xor_b32 s12, s13, -1
	s_delay_alu instid0(SALU_CYCLE_1) | instskip(NEXT) | instid1(SALU_CYCLE_1)
	s_and_b32 s12, exec_lo, s12
	s_or_b32 s5, s12, s5
	s_delay_alu instid0(SALU_CYCLE_1)
	s_and_not1_b32 exec_lo, exec_lo, s5
	s_cbranch_execz .LBB92_34
.LBB92_37:                              ;   Parent Loop BB92_35 Depth=1
                                        ; =>  This Inner Loop Header: Depth=2
	s_delay_alu instid0(VALU_DEP_1)
	v_lshl_add_u32 v12, v11, 3, v17
	s_mov_b32 s12, exec_lo
                                        ; implicit-def: $sgpr13
	ds_load_b64 v[8:9], v12
	s_waitcnt lgkmcnt(0)
	v_cmpx_ne_u64_e64 v[8:9], v[6:7]
	s_xor_b32 s12, exec_lo, s12
	s_cbranch_execz .LBB92_45
; %bb.38:                               ;   in Loop: Header=BB92_37 Depth=2
	s_mov_b32 s14, exec_lo
                                        ; implicit-def: $sgpr13
	v_cmpx_ne_u64_e64 s[2:3], v[8:9]
	s_xor_b32 s14, exec_lo, s14
; %bb.39:                               ;   in Loop: Header=BB92_37 Depth=2
	v_add_nc_u32_e32 v8, 1, v11
	s_mov_b32 s13, -1
                                        ; implicit-def: $vgpr12
	s_delay_alu instid0(VALU_DEP_1)
	v_and_b32_e32 v11, 31, v8
; %bb.40:                               ;   in Loop: Header=BB92_37 Depth=2
	s_and_not1_saveexec_b32 s14, s14
	s_cbranch_execz .LBB92_44
; %bb.41:                               ;   in Loop: Header=BB92_37 Depth=2
	v_dual_mov_b32 v9, s3 :: v_dual_mov_b32 v8, s2
	s_mov_b32 s15, -1
	s_mov_b32 s16, exec_lo
	ds_cmpstore_rtn_b64 v[8:9], v12, v[6:7], v[8:9]
	s_waitcnt lgkmcnt(0)
	v_cmpx_eq_u64_e64 s[2:3], v[8:9]
	s_cbranch_execz .LBB92_43
; %bb.42:                               ;   in Loop: Header=BB92_37 Depth=2
	v_lshl_add_u32 v8, v11, 2, v19
	s_xor_b32 s15, exec_lo, -1
	ds_add_f32 v8, v10
.LBB92_43:                              ;   in Loop: Header=BB92_37 Depth=2
	s_or_b32 exec_lo, exec_lo, s16
	s_delay_alu instid0(SALU_CYCLE_1) | instskip(SKIP_1) | instid1(SALU_CYCLE_1)
	s_and_not1_b32 s13, s13, exec_lo
	s_and_b32 s15, s15, exec_lo
	s_or_b32 s13, s13, s15
.LBB92_44:                              ;   in Loop: Header=BB92_37 Depth=2
	s_or_b32 exec_lo, exec_lo, s14
	s_delay_alu instid0(SALU_CYCLE_1)
	s_and_b32 s13, s13, exec_lo
.LBB92_45:                              ;   in Loop: Header=BB92_37 Depth=2
	s_and_not1_saveexec_b32 s12, s12
	s_cbranch_execz .LBB92_36
; %bb.46:                               ;   in Loop: Header=BB92_37 Depth=2
	v_lshl_add_u32 v8, v11, 2, v19
	s_and_not1_b32 s13, s13, exec_lo
	ds_add_f32 v8, v10
	s_branch .LBB92_36
.LBB92_47:
	s_or_b32 exec_lo, exec_lo, s1
.LBB92_48:
	v_add_co_u32 v0, vcc_lo, s10, v4
	v_add_co_ci_u32_e32 v1, vcc_lo, s11, v5, vcc_lo
	s_waitcnt lgkmcnt(0)
	buffer_gl0_inv
	s_mov_b32 s0, 0
	global_load_b64 v[0:1], v[0:1], off
	s_waitcnt vmcnt(0)
	v_sub_co_u32 v2, vcc_lo, v0, s26
	v_subrev_co_ci_u32_e32 v3, vcc_lo, 0, v1, vcc_lo
	s_branch .LBB92_50
.LBB92_49:                              ;   in Loop: Header=BB92_50 Depth=1
	s_or_b32 exec_lo, exec_lo, s1
	v_add_co_u32 v16, s1, v16, 16
	s_delay_alu instid0(VALU_DEP_1) | instskip(SKIP_3) | instid1(SALU_CYCLE_1)
	s_xor_b32 s1, s1, -1
	v_add_nc_u32_e32 v15, 64, v15
	v_add_nc_u32_e32 v14, 0x80, v14
	s_and_b32 s1, exec_lo, s1
	s_or_b32 s0, s1, s0
	s_delay_alu instid0(SALU_CYCLE_1)
	s_and_not1_b32 exec_lo, exec_lo, s0
	s_cbranch_execz .LBB92_52
.LBB92_50:                              ; =>This Inner Loop Header: Depth=1
	ds_load_b64 v[0:1], v14
	s_mov_b32 s1, exec_lo
	s_waitcnt lgkmcnt(0)
	v_cmpx_gt_i64_e64 s[2:3], v[0:1]
	s_cbranch_execz .LBB92_49
; %bb.51:                               ;   in Loop: Header=BB92_50 Depth=1
	ds_load_b128 v[4:7], v17
	ds_load_b128 v[8:11], v17 offset:16
	ds_load_b128 v[18:21], v17 offset:32
	ds_load_b128 v[22:25], v17 offset:48
	ds_load_b128 v[26:29], v17 offset:64
	ds_load_b128 v[30:33], v17 offset:80
	ds_load_b128 v[34:37], v17 offset:96
	ds_load_b128 v[38:41], v17 offset:112
	s_waitcnt lgkmcnt(7)
	v_cmp_gt_i64_e32 vcc_lo, v[0:1], v[4:5]
	v_cndmask_b32_e64 v4, 0, 1, vcc_lo
	v_cmp_gt_i64_e32 vcc_lo, v[0:1], v[6:7]
	v_cndmask_b32_e64 v5, 0, 1, vcc_lo
	s_delay_alu instid0(VALU_DEP_3)
	v_add_co_u32 v4, vcc_lo, v2, v4
	v_add_co_ci_u32_e32 v6, vcc_lo, 0, v3, vcc_lo
	s_waitcnt lgkmcnt(6)
	v_cmp_gt_i64_e32 vcc_lo, v[0:1], v[8:9]
	v_cndmask_b32_e64 v7, 0, 1, vcc_lo
	v_add_co_u32 v4, vcc_lo, v4, v5
	v_add_co_ci_u32_e32 v5, vcc_lo, 0, v6, vcc_lo
	v_cmp_gt_i64_e32 vcc_lo, v[0:1], v[10:11]
	v_cndmask_b32_e64 v6, 0, 1, vcc_lo
	s_delay_alu instid0(VALU_DEP_4) | instskip(NEXT) | instid1(VALU_DEP_4)
	v_add_co_u32 v4, vcc_lo, v4, v7
	v_add_co_ci_u32_e32 v5, vcc_lo, 0, v5, vcc_lo
	s_waitcnt lgkmcnt(5)
	v_cmp_gt_i64_e32 vcc_lo, v[0:1], v[18:19]
	v_cndmask_b32_e64 v7, 0, 1, vcc_lo
	v_add_co_u32 v4, vcc_lo, v4, v6
	v_add_co_ci_u32_e32 v5, vcc_lo, 0, v5, vcc_lo
	v_cmp_gt_i64_e32 vcc_lo, v[0:1], v[20:21]
	v_cndmask_b32_e64 v6, 0, 1, vcc_lo
	s_delay_alu instid0(VALU_DEP_4) | instskip(NEXT) | instid1(VALU_DEP_4)
	;; [unrolled: 10-line block ×5, first 2 shown]
	v_add_co_u32 v4, vcc_lo, v4, v7
	v_add_co_ci_u32_e32 v5, vcc_lo, 0, v5, vcc_lo
	s_delay_alu instid0(VALU_DEP_2) | instskip(NEXT) | instid1(VALU_DEP_2)
	v_add_co_u32 v8, vcc_lo, v4, v6
	v_add_co_ci_u32_e32 v9, vcc_lo, 0, v5, vcc_lo
	s_waitcnt lgkmcnt(1)
	v_cmp_gt_i64_e32 vcc_lo, v[0:1], v[34:35]
	ds_load_b128 v[4:7], v17 offset:128
	v_cndmask_b32_e64 v10, 0, 1, vcc_lo
	v_cmp_gt_i64_e32 vcc_lo, v[0:1], v[36:37]
	v_cndmask_b32_e64 v11, 0, 1, vcc_lo
	s_delay_alu instid0(VALU_DEP_3) | instskip(SKIP_1) | instid1(VALU_DEP_2)
	v_add_co_u32 v8, vcc_lo, v8, v10
	v_add_co_ci_u32_e32 v9, vcc_lo, 0, v9, vcc_lo
	v_add_co_u32 v12, vcc_lo, v8, v11
	s_delay_alu instid0(VALU_DEP_2)
	v_add_co_ci_u32_e32 v13, vcc_lo, 0, v9, vcc_lo
	ds_load_b128 v[8:11], v17 offset:144
	s_waitcnt lgkmcnt(2)
	v_cmp_gt_i64_e32 vcc_lo, v[0:1], v[38:39]
	v_cndmask_b32_e64 v18, 0, 1, vcc_lo
	v_cmp_gt_i64_e32 vcc_lo, v[0:1], v[40:41]
	v_cndmask_b32_e64 v19, 0, 1, vcc_lo
	s_delay_alu instid0(VALU_DEP_3) | instskip(SKIP_1) | instid1(VALU_DEP_2)
	v_add_co_u32 v12, vcc_lo, v12, v18
	v_add_co_ci_u32_e32 v13, vcc_lo, 0, v13, vcc_lo
	v_add_co_u32 v12, vcc_lo, v12, v19
	s_delay_alu instid0(VALU_DEP_2)
	v_add_co_ci_u32_e32 v13, vcc_lo, 0, v13, vcc_lo
	s_waitcnt lgkmcnt(1)
	v_cmp_gt_i64_e32 vcc_lo, v[0:1], v[4:5]
	v_cndmask_b32_e64 v18, 0, 1, vcc_lo
	v_cmp_gt_i64_e32 vcc_lo, v[0:1], v[6:7]
	ds_load_b128 v[4:7], v17 offset:160
	v_cndmask_b32_e64 v19, 0, 1, vcc_lo
	v_add_co_u32 v12, vcc_lo, v12, v18
	v_add_co_ci_u32_e32 v13, vcc_lo, 0, v13, vcc_lo
	s_waitcnt lgkmcnt(1)
	v_cmp_gt_i64_e32 vcc_lo, v[0:1], v[8:9]
	v_cndmask_b32_e64 v8, 0, 1, vcc_lo
	v_add_co_u32 v9, vcc_lo, v12, v19
	v_add_co_ci_u32_e32 v12, vcc_lo, 0, v13, vcc_lo
	v_cmp_gt_i64_e32 vcc_lo, v[0:1], v[10:11]
	v_cndmask_b32_e64 v13, 0, 1, vcc_lo
	s_delay_alu instid0(VALU_DEP_4)
	v_add_co_u32 v18, vcc_lo, v9, v8
	ds_load_b128 v[8:11], v17 offset:176
	v_add_co_ci_u32_e32 v12, vcc_lo, 0, v12, vcc_lo
	v_add_co_u32 v13, vcc_lo, v18, v13
	ds_load_b128 v[18:21], v17 offset:192
	v_add_co_ci_u32_e32 v12, vcc_lo, 0, v12, vcc_lo
	s_waitcnt lgkmcnt(2)
	v_cmp_gt_i64_e32 vcc_lo, v[0:1], v[4:5]
	v_cndmask_b32_e64 v4, 0, 1, vcc_lo
	v_cmp_gt_i64_e32 vcc_lo, v[0:1], v[6:7]
	v_cndmask_b32_e64 v5, 0, 1, vcc_lo
	s_delay_alu instid0(VALU_DEP_3) | instskip(SKIP_1) | instid1(VALU_DEP_2)
	v_add_co_u32 v4, vcc_lo, v13, v4
	v_add_co_ci_u32_e32 v6, vcc_lo, 0, v12, vcc_lo
	v_add_co_u32 v12, vcc_lo, v4, v5
	s_delay_alu instid0(VALU_DEP_2)
	v_add_co_ci_u32_e32 v13, vcc_lo, 0, v6, vcc_lo
	ds_load_b128 v[4:7], v17 offset:208
	s_waitcnt lgkmcnt(2)
	v_cmp_gt_i64_e32 vcc_lo, v[0:1], v[8:9]
	v_cndmask_b32_e64 v8, 0, 1, vcc_lo
	v_cmp_gt_i64_e32 vcc_lo, v[0:1], v[10:11]
	v_cndmask_b32_e64 v9, 0, 1, vcc_lo
	s_delay_alu instid0(VALU_DEP_3)
	v_add_co_u32 v8, vcc_lo, v12, v8
	v_add_co_ci_u32_e32 v10, vcc_lo, 0, v13, vcc_lo
	s_waitcnt lgkmcnt(1)
	v_cmp_gt_i64_e32 vcc_lo, v[0:1], v[18:19]
	v_cndmask_b32_e64 v12, 0, 1, vcc_lo
	v_add_co_u32 v13, vcc_lo, v8, v9
	v_add_co_ci_u32_e32 v18, vcc_lo, 0, v10, vcc_lo
	ds_load_b128 v[8:11], v17 offset:224
	v_add_co_u32 v12, vcc_lo, v13, v12
	v_add_co_ci_u32_e32 v13, vcc_lo, 0, v18, vcc_lo
	v_cmp_gt_i64_e32 vcc_lo, v[0:1], v[20:21]
	ds_load_b128 v[18:21], v17 offset:240
	v_cndmask_b32_e64 v22, 0, 1, vcc_lo
	s_waitcnt lgkmcnt(2)
	v_cmp_gt_i64_e32 vcc_lo, v[0:1], v[4:5]
	v_cndmask_b32_e64 v4, 0, 1, vcc_lo
	s_delay_alu instid0(VALU_DEP_3) | instskip(SKIP_3) | instid1(VALU_DEP_4)
	v_add_co_u32 v5, vcc_lo, v12, v22
	v_add_co_ci_u32_e32 v12, vcc_lo, 0, v13, vcc_lo
	v_cmp_gt_i64_e32 vcc_lo, v[0:1], v[6:7]
	v_cndmask_b32_e64 v6, 0, 1, vcc_lo
	v_add_co_u32 v4, vcc_lo, v5, v4
	s_delay_alu instid0(VALU_DEP_4)
	v_add_co_ci_u32_e32 v5, vcc_lo, 0, v12, vcc_lo
	s_waitcnt lgkmcnt(1)
	v_cmp_gt_i64_e32 vcc_lo, v[0:1], v[8:9]
	ds_load_b32 v8, v15
	v_cndmask_b32_e64 v7, 0, 1, vcc_lo
	v_add_co_u32 v4, vcc_lo, v4, v6
	v_add_co_ci_u32_e32 v5, vcc_lo, 0, v5, vcc_lo
	v_cmp_gt_i64_e32 vcc_lo, v[0:1], v[10:11]
	v_cndmask_b32_e64 v6, 0, 1, vcc_lo
	s_delay_alu instid0(VALU_DEP_4) | instskip(NEXT) | instid1(VALU_DEP_4)
	v_add_co_u32 v4, vcc_lo, v4, v7
	v_add_co_ci_u32_e32 v5, vcc_lo, 0, v5, vcc_lo
	s_waitcnt lgkmcnt(1)
	v_cmp_gt_i64_e32 vcc_lo, v[0:1], v[18:19]
	v_cndmask_b32_e64 v7, 0, 1, vcc_lo
	v_add_co_u32 v4, vcc_lo, v4, v6
	v_add_co_ci_u32_e32 v5, vcc_lo, 0, v5, vcc_lo
	v_cmp_gt_i64_e32 vcc_lo, v[0:1], v[20:21]
	v_cndmask_b32_e64 v6, 0, 1, vcc_lo
	s_delay_alu instid0(VALU_DEP_4) | instskip(NEXT) | instid1(VALU_DEP_4)
	v_add_co_u32 v4, vcc_lo, v4, v7
	v_add_co_ci_u32_e32 v5, vcc_lo, 0, v5, vcc_lo
	s_delay_alu instid0(VALU_DEP_2) | instskip(NEXT) | instid1(VALU_DEP_2)
	v_add_co_u32 v4, vcc_lo, v4, v6
	v_add_co_ci_u32_e32 v5, vcc_lo, 0, v5, vcc_lo
	v_add_co_u32 v0, vcc_lo, v0, s26
	v_add_co_ci_u32_e32 v1, vcc_lo, 0, v1, vcc_lo
	s_delay_alu instid0(VALU_DEP_3) | instskip(SKIP_1) | instid1(VALU_DEP_2)
	v_lshlrev_b64 v[6:7], 3, v[4:5]
	v_lshlrev_b64 v[4:5], 2, v[4:5]
	v_add_co_u32 v6, vcc_lo, s28, v6
	s_delay_alu instid0(VALU_DEP_3) | instskip(NEXT) | instid1(VALU_DEP_3)
	v_add_co_ci_u32_e32 v7, vcc_lo, s29, v7, vcc_lo
	v_add_co_u32 v4, vcc_lo, s30, v4
	s_delay_alu instid0(VALU_DEP_4)
	v_add_co_ci_u32_e32 v5, vcc_lo, s31, v5, vcc_lo
	global_store_b64 v[6:7], v[0:1], off
	s_waitcnt lgkmcnt(0)
	global_store_b32 v[4:5], v8, off
	s_branch .LBB92_49
.LBB92_52:
	s_nop 0
	s_sendmsg sendmsg(MSG_DEALLOC_VGPRS)
	s_endpgm
	.section	.rodata,"a",@progbits
	.p2align	6, 0x0
	.amdhsa_kernel _ZN9rocsparseL23csrgemm_fill_wf_per_rowILj256ELj16ELj32ELj137EllfEEvT4_S1_PKS1_S3_NS_24const_host_device_scalarIT5_EEPKT3_S3_PKS5_S9_S3_SB_S6_S9_S3_SB_S9_PS1_PS5_21rocsparse_index_base_SE_SE_SE_bbb
		.amdhsa_group_segment_fixed_size 6144
		.amdhsa_private_segment_fixed_size 0
		.amdhsa_kernarg_size 164
		.amdhsa_user_sgpr_count 15
		.amdhsa_user_sgpr_dispatch_ptr 0
		.amdhsa_user_sgpr_queue_ptr 0
		.amdhsa_user_sgpr_kernarg_segment_ptr 1
		.amdhsa_user_sgpr_dispatch_id 0
		.amdhsa_user_sgpr_private_segment_size 0
		.amdhsa_wavefront_size32 1
		.amdhsa_uses_dynamic_stack 0
		.amdhsa_enable_private_segment 0
		.amdhsa_system_sgpr_workgroup_id_x 1
		.amdhsa_system_sgpr_workgroup_id_y 0
		.amdhsa_system_sgpr_workgroup_id_z 0
		.amdhsa_system_sgpr_workgroup_info 0
		.amdhsa_system_vgpr_workitem_id 0
		.amdhsa_next_free_vgpr 42
		.amdhsa_next_free_sgpr 44
		.amdhsa_reserve_vcc 1
		.amdhsa_float_round_mode_32 0
		.amdhsa_float_round_mode_16_64 0
		.amdhsa_float_denorm_mode_32 3
		.amdhsa_float_denorm_mode_16_64 3
		.amdhsa_dx10_clamp 1
		.amdhsa_ieee_mode 1
		.amdhsa_fp16_overflow 0
		.amdhsa_workgroup_processor_mode 1
		.amdhsa_memory_ordered 1
		.amdhsa_forward_progress 0
		.amdhsa_shared_vgpr_count 0
		.amdhsa_exception_fp_ieee_invalid_op 0
		.amdhsa_exception_fp_denorm_src 0
		.amdhsa_exception_fp_ieee_div_zero 0
		.amdhsa_exception_fp_ieee_overflow 0
		.amdhsa_exception_fp_ieee_underflow 0
		.amdhsa_exception_fp_ieee_inexact 0
		.amdhsa_exception_int_div_zero 0
	.end_amdhsa_kernel
	.section	.text._ZN9rocsparseL23csrgemm_fill_wf_per_rowILj256ELj16ELj32ELj137EllfEEvT4_S1_PKS1_S3_NS_24const_host_device_scalarIT5_EEPKT3_S3_PKS5_S9_S3_SB_S6_S9_S3_SB_S9_PS1_PS5_21rocsparse_index_base_SE_SE_SE_bbb,"axG",@progbits,_ZN9rocsparseL23csrgemm_fill_wf_per_rowILj256ELj16ELj32ELj137EllfEEvT4_S1_PKS1_S3_NS_24const_host_device_scalarIT5_EEPKT3_S3_PKS5_S9_S3_SB_S6_S9_S3_SB_S9_PS1_PS5_21rocsparse_index_base_SE_SE_SE_bbb,comdat
.Lfunc_end92:
	.size	_ZN9rocsparseL23csrgemm_fill_wf_per_rowILj256ELj16ELj32ELj137EllfEEvT4_S1_PKS1_S3_NS_24const_host_device_scalarIT5_EEPKT3_S3_PKS5_S9_S3_SB_S6_S9_S3_SB_S9_PS1_PS5_21rocsparse_index_base_SE_SE_SE_bbb, .Lfunc_end92-_ZN9rocsparseL23csrgemm_fill_wf_per_rowILj256ELj16ELj32ELj137EllfEEvT4_S1_PKS1_S3_NS_24const_host_device_scalarIT5_EEPKT3_S3_PKS5_S9_S3_SB_S6_S9_S3_SB_S9_PS1_PS5_21rocsparse_index_base_SE_SE_SE_bbb
                                        ; -- End function
	.section	.AMDGPU.csdata,"",@progbits
; Kernel info:
; codeLenInByte = 3000
; NumSgprs: 46
; NumVgprs: 42
; ScratchSize: 0
; MemoryBound: 0
; FloatMode: 240
; IeeeMode: 1
; LDSByteSize: 6144 bytes/workgroup (compile time only)
; SGPRBlocks: 5
; VGPRBlocks: 5
; NumSGPRsForWavesPerEU: 46
; NumVGPRsForWavesPerEU: 42
; Occupancy: 16
; WaveLimiterHint : 1
; COMPUTE_PGM_RSRC2:SCRATCH_EN: 0
; COMPUTE_PGM_RSRC2:USER_SGPR: 15
; COMPUTE_PGM_RSRC2:TRAP_HANDLER: 0
; COMPUTE_PGM_RSRC2:TGID_X_EN: 1
; COMPUTE_PGM_RSRC2:TGID_Y_EN: 0
; COMPUTE_PGM_RSRC2:TGID_Z_EN: 0
; COMPUTE_PGM_RSRC2:TIDIG_COMP_CNT: 0
	.section	.text._ZN9rocsparseL26csrgemm_fill_block_per_rowILj128ELj16ELj256ELj137ELj32EllfEEvT5_PKS1_S3_NS_24const_host_device_scalarIT6_EEPKT4_S3_PKS5_S9_S3_SB_S6_S9_S3_SB_S9_PS1_PS5_21rocsparse_index_base_SE_SE_SE_bbb,"axG",@progbits,_ZN9rocsparseL26csrgemm_fill_block_per_rowILj128ELj16ELj256ELj137ELj32EllfEEvT5_PKS1_S3_NS_24const_host_device_scalarIT6_EEPKT4_S3_PKS5_S9_S3_SB_S6_S9_S3_SB_S9_PS1_PS5_21rocsparse_index_base_SE_SE_SE_bbb,comdat
	.globl	_ZN9rocsparseL26csrgemm_fill_block_per_rowILj128ELj16ELj256ELj137ELj32EllfEEvT5_PKS1_S3_NS_24const_host_device_scalarIT6_EEPKT4_S3_PKS5_S9_S3_SB_S6_S9_S3_SB_S9_PS1_PS5_21rocsparse_index_base_SE_SE_SE_bbb ; -- Begin function _ZN9rocsparseL26csrgemm_fill_block_per_rowILj128ELj16ELj256ELj137ELj32EllfEEvT5_PKS1_S3_NS_24const_host_device_scalarIT6_EEPKT4_S3_PKS5_S9_S3_SB_S6_S9_S3_SB_S9_PS1_PS5_21rocsparse_index_base_SE_SE_SE_bbb
	.p2align	8
	.type	_ZN9rocsparseL26csrgemm_fill_block_per_rowILj128ELj16ELj256ELj137ELj32EllfEEvT5_PKS1_S3_NS_24const_host_device_scalarIT6_EEPKT4_S3_PKS5_S9_S3_SB_S6_S9_S3_SB_S9_PS1_PS5_21rocsparse_index_base_SE_SE_SE_bbb,@function
_ZN9rocsparseL26csrgemm_fill_block_per_rowILj128ELj16ELj256ELj137ELj32EllfEEvT5_PKS1_S3_NS_24const_host_device_scalarIT6_EEPKT4_S3_PKS5_S9_S3_SB_S6_S9_S3_SB_S9_PS1_PS5_21rocsparse_index_base_SE_SE_SE_bbb: ; @_ZN9rocsparseL26csrgemm_fill_block_per_rowILj128ELj16ELj256ELj137ELj32EllfEEvT5_PKS1_S3_NS_24const_host_device_scalarIT6_EEPKT4_S3_PKS5_S9_S3_SB_S6_S9_S3_SB_S9_PS1_PS5_21rocsparse_index_base_SE_SE_SE_bbb
; %bb.0:
	s_clause 0x2
	s_load_b32 s3, s[0:1], 0x98
	s_load_b64 s[6:7], s[0:1], 0x18
	s_load_b64 s[4:5], s[0:1], 0x50
	s_mov_b32 s2, s15
	s_waitcnt lgkmcnt(0)
	s_bitcmp1_b32 s3, 0
	s_cselect_b32 s40, -1, 0
	s_bitcmp1_b32 s3, 16
	s_cselect_b32 s8, -1, 0
	s_xor_b32 s9, s40, -1
	s_delay_alu instid0(SALU_CYCLE_1) | instskip(NEXT) | instid1(SALU_CYCLE_1)
	s_or_b32 s9, s9, s8
	s_and_b32 vcc_lo, exec_lo, s9
	s_cbranch_vccnz .LBB93_2
; %bb.1:
	s_load_b32 s6, s[6:7], 0x0
	s_waitcnt lgkmcnt(0)
	v_mov_b32_e32 v15, s6
	s_branch .LBB93_3
.LBB93_2:
	v_cndmask_b32_e64 v15, 0, s6, s40
.LBB93_3:
	s_load_b128 s[20:23], s[0:1], 0x88
	s_bitcmp1_b32 s3, 8
	s_cselect_b32 s33, -1, 0
	s_delay_alu instid0(SALU_CYCLE_1) | instskip(NEXT) | instid1(SALU_CYCLE_1)
	s_xor_b32 s3, s33, -1
	s_or_b32 s3, s3, s8
	s_delay_alu instid0(SALU_CYCLE_1)
	s_and_b32 vcc_lo, exec_lo, s3
	s_cbranch_vccnz .LBB93_5
; %bb.4:
	s_load_b32 s3, s[4:5], 0x0
	s_waitcnt lgkmcnt(0)
	v_mov_b32_e32 v13, s3
	s_branch .LBB93_6
.LBB93_5:
	v_cndmask_b32_e64 v13, 0, s4, s33
.LBB93_6:
	s_clause 0x5
	s_load_b128 s[24:27], s[0:1], 0x78
	s_load_b256 s[4:11], s[0:1], 0x58
	s_load_b128 s[36:39], s[0:1], 0x40
	s_load_b128 s[28:31], s[0:1], 0x0
	s_load_b64 s[34:35], s[0:1], 0x10
	s_load_b256 s[12:19], s[0:1], 0x20
	v_cmp_gt_u32_e64 s0, 0x100, v0
	v_lshlrev_b32_e32 v14, 2, v0
	v_or_b32_e32 v11, 0xffffff80, v0
	v_lshl_add_u32 v12, v0, 3, 0
	s_delay_alu instid0(VALU_DEP_4)
	s_and_saveexec_b32 s1, s0
	s_cbranch_execz .LBB93_9
; %bb.7:
	v_add3_u32 v3, v14, 0, 0x800
	v_or_b32_e32 v4, 0xffffff80, v0
	v_lshl_add_u32 v5, v0, 3, 0
	s_waitcnt lgkmcnt(0)
	v_dual_mov_b32 v1, s28 :: v_dual_mov_b32 v2, s29
	v_mov_b32_e32 v6, 0
	s_mov_b32 s3, 0
.LBB93_8:                               ; =>This Inner Loop Header: Depth=1
	v_add_co_u32 v4, s41, 0x80, v4
	s_delay_alu instid0(VALU_DEP_1)
	s_xor_b32 s41, s41, -1
	ds_store_b64 v5, v[1:2]
	ds_store_b32 v3, v6
	v_add_nc_u32_e32 v3, 0x200, v3
	v_add_nc_u32_e32 v5, 0x400, v5
	s_and_b32 s41, exec_lo, s41
	s_delay_alu instid0(SALU_CYCLE_1) | instskip(NEXT) | instid1(SALU_CYCLE_1)
	s_or_b32 s3, s41, s3
	s_and_not1_b32 exec_lo, exec_lo, s3
	s_cbranch_execnz .LBB93_8
.LBB93_9:
	s_or_b32 exec_lo, exec_lo, s1
	s_waitcnt lgkmcnt(0)
	s_barrier
	buffer_gl0_inv
	s_load_b64 s[30:31], s[30:31], 0x0
	s_mov_b32 s3, 0
	s_waitcnt lgkmcnt(0)
	s_lshl_b64 s[30:31], s[30:31], 3
	s_delay_alu instid0(SALU_CYCLE_1) | instskip(SKIP_2) | instid1(SALU_CYCLE_1)
	s_add_u32 s1, s34, s30
	s_addc_u32 s30, s35, s31
	s_lshl_b64 s[2:3], s[2:3], 3
	s_add_u32 s2, s1, s2
	s_addc_u32 s3, s30, s3
	s_and_b32 vcc_lo, exec_lo, s40
	s_load_b64 s[30:31], s[2:3], 0x0
	s_cbranch_vccz .LBB93_29
; %bb.10:
	s_waitcnt lgkmcnt(0)
	s_lshl_b64 s[2:3], s[30:31], 3
	v_lshrrev_b32_e32 v1, 4, v0
	s_add_u32 s2, s12, s2
	s_addc_u32 s3, s13, s3
	s_load_b128 s[40:43], s[2:3], 0x0
	s_delay_alu instid0(VALU_DEP_1) | instskip(NEXT) | instid1(VALU_DEP_1)
	v_sub_co_u32 v1, s1, v1, s20
	v_sub_co_ci_u32_e64 v2, null, 0, 0, s1
	s_mov_b32 s1, exec_lo
	s_waitcnt lgkmcnt(0)
	s_delay_alu instid0(VALU_DEP_2) | instskip(NEXT) | instid1(VALU_DEP_2)
	v_add_co_u32 v1, vcc_lo, s40, v1
	v_add_co_ci_u32_e32 v2, vcc_lo, s41, v2, vcc_lo
	s_sub_u32 s2, s42, s20
	s_subb_u32 s3, s43, 0
	s_delay_alu instid0(VALU_DEP_1) | instid1(SALU_CYCLE_1)
	v_cmpx_gt_i64_e64 s[2:3], v[1:2]
	s_cbranch_execz .LBB93_28
; %bb.11:
	v_and_b32_e32 v3, 15, v0
	s_mov_b32 s13, s21
	s_delay_alu instid0(VALU_DEP_1) | instskip(NEXT) | instid1(VALU_DEP_1)
	v_sub_co_u32 v16, s12, v3, s21
	v_sub_co_ci_u32_e64 v17, null, 0, 0, s12
	s_mov_b32 s12, 0
	s_branch .LBB93_13
.LBB93_12:                              ;   in Loop: Header=BB93_13 Depth=1
	s_or_b32 exec_lo, exec_lo, s21
	v_add_co_u32 v1, vcc_lo, v1, 8
	v_add_co_ci_u32_e32 v2, vcc_lo, 0, v2, vcc_lo
	s_delay_alu instid0(VALU_DEP_1) | instskip(SKIP_1) | instid1(SALU_CYCLE_1)
	v_cmp_le_i64_e32 vcc_lo, s[2:3], v[1:2]
	s_or_b32 s12, vcc_lo, s12
	s_and_not1_b32 exec_lo, exec_lo, s12
	s_cbranch_execz .LBB93_28
.LBB93_13:                              ; =>This Loop Header: Depth=1
                                        ;     Child Loop BB93_16 Depth 2
                                        ;       Child Loop BB93_18 Depth 3
	v_lshlrev_b64 v[3:4], 3, v[1:2]
	s_mov_b32 s21, exec_lo
	s_delay_alu instid0(VALU_DEP_1) | instskip(NEXT) | instid1(VALU_DEP_2)
	v_add_co_u32 v3, vcc_lo, s14, v3
	v_add_co_ci_u32_e32 v4, vcc_lo, s15, v4, vcc_lo
	global_load_b64 v[3:4], v[3:4], off
	s_waitcnt vmcnt(0)
	v_sub_co_u32 v3, vcc_lo, v3, s20
	v_subrev_co_ci_u32_e32 v4, vcc_lo, 0, v4, vcc_lo
	s_delay_alu instid0(VALU_DEP_1) | instskip(NEXT) | instid1(VALU_DEP_1)
	v_lshlrev_b64 v[3:4], 3, v[3:4]
	v_add_co_u32 v3, vcc_lo, s18, v3
	s_delay_alu instid0(VALU_DEP_2)
	v_add_co_ci_u32_e32 v4, vcc_lo, s19, v4, vcc_lo
	global_load_b128 v[5:8], v[3:4], off
	s_waitcnt vmcnt(0)
	v_sub_co_u32 v3, vcc_lo, v7, s13
	v_subrev_co_ci_u32_e32 v4, vcc_lo, 0, v8, vcc_lo
	v_add_co_u32 v5, vcc_lo, v5, v16
	v_add_co_ci_u32_e32 v6, vcc_lo, v6, v17, vcc_lo
	s_delay_alu instid0(VALU_DEP_1)
	v_cmpx_lt_i64_e64 v[5:6], v[3:4]
	s_cbranch_execz .LBB93_12
; %bb.14:                               ;   in Loop: Header=BB93_13 Depth=1
	v_lshlrev_b64 v[7:8], 2, v[1:2]
	s_mov_b32 s34, 0
	s_delay_alu instid0(VALU_DEP_1) | instskip(NEXT) | instid1(VALU_DEP_2)
	v_add_co_u32 v7, vcc_lo, s16, v7
	v_add_co_ci_u32_e32 v8, vcc_lo, s17, v8, vcc_lo
	global_load_b32 v7, v[7:8], off
	s_waitcnt vmcnt(0)
	v_mul_f32_e32 v18, v15, v7
	s_branch .LBB93_16
.LBB93_15:                              ;   in Loop: Header=BB93_16 Depth=2
	s_or_b32 exec_lo, exec_lo, s35
	v_add_co_u32 v5, vcc_lo, v5, 16
	v_add_co_ci_u32_e32 v6, vcc_lo, 0, v6, vcc_lo
	s_delay_alu instid0(VALU_DEP_1) | instskip(SKIP_1) | instid1(SALU_CYCLE_1)
	v_cmp_ge_i64_e32 vcc_lo, v[5:6], v[3:4]
	s_or_b32 s34, vcc_lo, s34
	s_and_not1_b32 exec_lo, exec_lo, s34
	s_cbranch_execz .LBB93_12
.LBB93_16:                              ;   Parent Loop BB93_13 Depth=1
                                        ; =>  This Loop Header: Depth=2
                                        ;       Child Loop BB93_18 Depth 3
	v_lshlrev_b64 v[7:8], 3, v[5:6]
	v_lshlrev_b64 v[9:10], 2, v[5:6]
	s_mov_b32 s35, 0
	s_delay_alu instid0(VALU_DEP_2) | instskip(NEXT) | instid1(VALU_DEP_3)
	v_add_co_u32 v7, vcc_lo, s36, v7
	v_add_co_ci_u32_e32 v8, vcc_lo, s37, v8, vcc_lo
	s_delay_alu instid0(VALU_DEP_3) | instskip(NEXT) | instid1(VALU_DEP_4)
	v_add_co_u32 v9, vcc_lo, s38, v9
	v_add_co_ci_u32_e32 v10, vcc_lo, s39, v10, vcc_lo
	global_load_b64 v[7:8], v[7:8], off
	global_load_b32 v9, v[9:10], off
	s_waitcnt vmcnt(1)
	v_sub_co_u32 v7, vcc_lo, v7, s13
	v_subrev_co_ci_u32_e32 v8, vcc_lo, 0, v8, vcc_lo
	s_delay_alu instid0(VALU_DEP_2) | instskip(SKIP_1) | instid1(VALU_DEP_1)
	v_mul_lo_u32 v10, 0x89, v7
	s_waitcnt vmcnt(0)
	v_dual_mul_f32 v19, v18, v9 :: v_dual_and_b32 v20, 0xff, v10
	s_branch .LBB93_18
.LBB93_17:                              ;   in Loop: Header=BB93_18 Depth=3
	s_or_b32 exec_lo, exec_lo, s40
	s_xor_b32 s40, s41, -1
	s_delay_alu instid0(SALU_CYCLE_1) | instskip(NEXT) | instid1(SALU_CYCLE_1)
	s_and_b32 s40, exec_lo, s40
	s_or_b32 s35, s40, s35
	s_delay_alu instid0(SALU_CYCLE_1)
	s_and_not1_b32 exec_lo, exec_lo, s35
	s_cbranch_execz .LBB93_15
.LBB93_18:                              ;   Parent Loop BB93_13 Depth=1
                                        ;     Parent Loop BB93_16 Depth=2
                                        ; =>    This Inner Loop Header: Depth=3
	s_delay_alu instid0(VALU_DEP_1)
	v_lshl_add_u32 v21, v20, 3, 0
	s_mov_b32 s40, exec_lo
                                        ; implicit-def: $sgpr41
	ds_load_b64 v[9:10], v21
	s_waitcnt lgkmcnt(0)
	v_cmpx_ne_u64_e64 v[9:10], v[7:8]
	s_xor_b32 s40, exec_lo, s40
	s_cbranch_execz .LBB93_26
; %bb.19:                               ;   in Loop: Header=BB93_18 Depth=3
	s_mov_b32 s42, exec_lo
                                        ; implicit-def: $sgpr41
	v_cmpx_ne_u64_e64 s[28:29], v[9:10]
	s_xor_b32 s42, exec_lo, s42
; %bb.20:                               ;   in Loop: Header=BB93_18 Depth=3
	v_add_nc_u32_e32 v9, 1, v20
	s_mov_b32 s41, -1
                                        ; implicit-def: $vgpr21
	s_delay_alu instid0(VALU_DEP_1)
	v_and_b32_e32 v20, 0xff, v9
; %bb.21:                               ;   in Loop: Header=BB93_18 Depth=3
	s_and_not1_saveexec_b32 s42, s42
	s_cbranch_execz .LBB93_25
; %bb.22:                               ;   in Loop: Header=BB93_18 Depth=3
	v_dual_mov_b32 v9, s28 :: v_dual_mov_b32 v10, s29
	s_mov_b32 s43, -1
	s_mov_b32 s44, exec_lo
	ds_cmpstore_rtn_b64 v[9:10], v21, v[7:8], v[9:10]
	s_waitcnt lgkmcnt(0)
	v_cmpx_eq_u64_e64 s[28:29], v[9:10]
	s_cbranch_execz .LBB93_24
; %bb.23:                               ;   in Loop: Header=BB93_18 Depth=3
	v_lshlrev_b32_e32 v9, 2, v20
	s_xor_b32 s43, exec_lo, -1
	s_delay_alu instid0(VALU_DEP_1)
	v_sub_nc_u32_e32 v9, v21, v9
	ds_add_f32 v9, v19 offset:2048
.LBB93_24:                              ;   in Loop: Header=BB93_18 Depth=3
	s_or_b32 exec_lo, exec_lo, s44
	s_delay_alu instid0(SALU_CYCLE_1) | instskip(SKIP_1) | instid1(SALU_CYCLE_1)
	s_and_not1_b32 s41, s41, exec_lo
	s_and_b32 s43, s43, exec_lo
	s_or_b32 s41, s41, s43
.LBB93_25:                              ;   in Loop: Header=BB93_18 Depth=3
	s_or_b32 exec_lo, exec_lo, s42
	s_delay_alu instid0(SALU_CYCLE_1)
	s_and_b32 s41, s41, exec_lo
                                        ; implicit-def: $vgpr21
.LBB93_26:                              ;   in Loop: Header=BB93_18 Depth=3
	s_and_not1_saveexec_b32 s40, s40
	s_cbranch_execz .LBB93_17
; %bb.27:                               ;   in Loop: Header=BB93_18 Depth=3
	v_lshlrev_b32_e32 v9, 2, v20
	s_and_not1_b32 s41, s41, exec_lo
	s_delay_alu instid0(VALU_DEP_1)
	v_sub_nc_u32_e32 v9, v21, v9
	ds_add_f32 v9, v19 offset:2048
	s_branch .LBB93_17
.LBB93_28:
	s_or_b32 exec_lo, exec_lo, s1
.LBB93_29:
	s_delay_alu instid0(SALU_CYCLE_1)
	s_and_not1_b32 vcc_lo, exec_lo, s33
	s_cbranch_vccnz .LBB93_46
; %bb.30:
	s_waitcnt lgkmcnt(0)
	s_lshl_b64 s[2:3], s[30:31], 3
	v_sub_co_u32 v1, s1, v0, s23
	s_add_u32 s2, s4, s2
	s_addc_u32 s3, s5, s3
	v_sub_co_ci_u32_e64 v2, null, 0, 0, s1
	s_load_b128 s[12:15], s[2:3], 0x0
	s_mov_b32 s1, 0
	s_mov_b32 s4, exec_lo
	s_waitcnt lgkmcnt(0)
	v_add_co_u32 v1, vcc_lo, s12, v1
	v_add_co_ci_u32_e32 v2, vcc_lo, s13, v2, vcc_lo
	s_sub_u32 s2, s14, s23
	s_subb_u32 s3, s15, 0
	s_delay_alu instid0(VALU_DEP_1) | instid1(SALU_CYCLE_1)
	v_cmpx_gt_i64_e64 s[2:3], v[1:2]
	s_cbranch_execz .LBB93_45
; %bb.31:
	s_mov_b32 s5, s23
	s_branch .LBB93_33
.LBB93_32:                              ;   in Loop: Header=BB93_33 Depth=1
	s_or_b32 exec_lo, exec_lo, s12
	v_add_co_u32 v1, vcc_lo, 0x80, v1
	v_add_co_ci_u32_e32 v2, vcc_lo, 0, v2, vcc_lo
	s_delay_alu instid0(VALU_DEP_1) | instskip(SKIP_1) | instid1(SALU_CYCLE_1)
	v_cmp_le_i64_e32 vcc_lo, s[2:3], v[1:2]
	s_or_b32 s1, vcc_lo, s1
	s_and_not1_b32 exec_lo, exec_lo, s1
	s_cbranch_execz .LBB93_45
.LBB93_33:                              ; =>This Loop Header: Depth=1
                                        ;     Child Loop BB93_35 Depth 2
	v_lshlrev_b64 v[3:4], 3, v[1:2]
	v_lshlrev_b64 v[5:6], 2, v[1:2]
	s_mov_b32 s12, 0
	s_delay_alu instid0(VALU_DEP_2) | instskip(NEXT) | instid1(VALU_DEP_3)
	v_add_co_u32 v3, vcc_lo, s6, v3
	v_add_co_ci_u32_e32 v4, vcc_lo, s7, v4, vcc_lo
	s_delay_alu instid0(VALU_DEP_3) | instskip(NEXT) | instid1(VALU_DEP_4)
	v_add_co_u32 v5, vcc_lo, s8, v5
	v_add_co_ci_u32_e32 v6, vcc_lo, s9, v6, vcc_lo
	global_load_b64 v[3:4], v[3:4], off
	global_load_b32 v5, v[5:6], off
	s_waitcnt vmcnt(1)
	v_sub_co_u32 v3, vcc_lo, v3, s5
	v_subrev_co_ci_u32_e32 v4, vcc_lo, 0, v4, vcc_lo
	s_delay_alu instid0(VALU_DEP_2) | instskip(SKIP_1) | instid1(VALU_DEP_1)
	v_mul_lo_u32 v6, 0x89, v3
	s_waitcnt vmcnt(0)
	v_dual_mul_f32 v7, v13, v5 :: v_dual_and_b32 v8, 0xff, v6
	s_branch .LBB93_35
.LBB93_34:                              ;   in Loop: Header=BB93_35 Depth=2
	s_or_b32 exec_lo, exec_lo, s13
	s_xor_b32 s13, s14, -1
	s_delay_alu instid0(SALU_CYCLE_1) | instskip(NEXT) | instid1(SALU_CYCLE_1)
	s_and_b32 s13, exec_lo, s13
	s_or_b32 s12, s13, s12
	s_delay_alu instid0(SALU_CYCLE_1)
	s_and_not1_b32 exec_lo, exec_lo, s12
	s_cbranch_execz .LBB93_32
.LBB93_35:                              ;   Parent Loop BB93_33 Depth=1
                                        ; =>  This Inner Loop Header: Depth=2
	s_delay_alu instid0(VALU_DEP_1)
	v_lshl_add_u32 v9, v8, 3, 0
	s_mov_b32 s13, exec_lo
                                        ; implicit-def: $sgpr14
	ds_load_b64 v[5:6], v9
	s_waitcnt lgkmcnt(0)
	v_cmpx_ne_u64_e64 v[5:6], v[3:4]
	s_xor_b32 s13, exec_lo, s13
	s_cbranch_execz .LBB93_43
; %bb.36:                               ;   in Loop: Header=BB93_35 Depth=2
	s_mov_b32 s15, exec_lo
                                        ; implicit-def: $sgpr14
	v_cmpx_ne_u64_e64 s[28:29], v[5:6]
	s_xor_b32 s15, exec_lo, s15
; %bb.37:                               ;   in Loop: Header=BB93_35 Depth=2
	v_add_nc_u32_e32 v5, 1, v8
	s_mov_b32 s14, -1
                                        ; implicit-def: $vgpr9
	s_delay_alu instid0(VALU_DEP_1)
	v_and_b32_e32 v8, 0xff, v5
; %bb.38:                               ;   in Loop: Header=BB93_35 Depth=2
	s_and_not1_saveexec_b32 s15, s15
	s_cbranch_execz .LBB93_42
; %bb.39:                               ;   in Loop: Header=BB93_35 Depth=2
	v_dual_mov_b32 v5, s28 :: v_dual_mov_b32 v6, s29
	s_mov_b32 s16, -1
	s_mov_b32 s17, exec_lo
	ds_cmpstore_rtn_b64 v[5:6], v9, v[3:4], v[5:6]
	s_waitcnt lgkmcnt(0)
	v_cmpx_eq_u64_e64 s[28:29], v[5:6]
	s_cbranch_execz .LBB93_41
; %bb.40:                               ;   in Loop: Header=BB93_35 Depth=2
	v_lshlrev_b32_e32 v5, 2, v8
	s_xor_b32 s16, exec_lo, -1
	s_delay_alu instid0(VALU_DEP_1)
	v_sub_nc_u32_e32 v5, v9, v5
	ds_add_f32 v5, v7 offset:2048
.LBB93_41:                              ;   in Loop: Header=BB93_35 Depth=2
	s_or_b32 exec_lo, exec_lo, s17
	s_delay_alu instid0(SALU_CYCLE_1) | instskip(SKIP_1) | instid1(SALU_CYCLE_1)
	s_and_not1_b32 s14, s14, exec_lo
	s_and_b32 s16, s16, exec_lo
	s_or_b32 s14, s14, s16
.LBB93_42:                              ;   in Loop: Header=BB93_35 Depth=2
	s_or_b32 exec_lo, exec_lo, s15
	s_delay_alu instid0(SALU_CYCLE_1)
	s_and_b32 s14, s14, exec_lo
                                        ; implicit-def: $vgpr9
.LBB93_43:                              ;   in Loop: Header=BB93_35 Depth=2
	s_and_not1_saveexec_b32 s13, s13
	s_cbranch_execz .LBB93_34
; %bb.44:                               ;   in Loop: Header=BB93_35 Depth=2
	v_lshlrev_b32_e32 v5, 2, v8
	s_and_not1_b32 s14, s14, exec_lo
	s_delay_alu instid0(VALU_DEP_1)
	v_sub_nc_u32_e32 v5, v9, v5
	ds_add_f32 v5, v7 offset:2048
	s_branch .LBB93_34
.LBB93_45:
	s_or_b32 exec_lo, exec_lo, s4
.LBB93_46:
	s_waitcnt lgkmcnt(0)
	s_barrier
	buffer_gl0_inv
	s_and_saveexec_b32 s4, s0
	s_cbranch_execz .LBB93_59
; %bb.47:
	v_mbcnt_lo_u32_b32 v1, -1, 0
	v_lshrrev_b32_e32 v2, 2, v0
	v_cmp_eq_u32_e32 vcc_lo, 0x7f, v0
	v_cmp_lt_u32_e64 s0, 31, v0
	v_cmp_lt_u32_e64 s1, 63, v0
	v_xor_b32_e32 v1, 63, v1
	v_and_b32_e32 v3, 24, v2
	v_cmp_lt_u32_e64 s2, 0x5f, v0
	v_add3_u32 v10, v14, 0, 0x800
	v_mov_b32_e32 v5, 0
	v_lshrrev_b64 v[1:2], v1, -1
	v_dual_mov_b32 v2, 0 :: v_dual_add_nc_u32 v13, 0, v3
	v_mov_b32_e32 v3, 0
	s_mov_b32 s5, 0
	s_branch .LBB93_49
.LBB93_48:                              ;   in Loop: Header=BB93_49 Depth=1
	s_or_b32 exec_lo, exec_lo, s3
	s_waitcnt lgkmcnt(0)
	s_barrier
	buffer_gl0_inv
	ds_load_b64 v[6:7], v5 offset:3096
	v_add_co_u32 v11, s3, 0x80, v11
	s_delay_alu instid0(VALU_DEP_1) | instskip(SKIP_4) | instid1(VALU_DEP_1)
	s_xor_b32 s6, s3, -1
	v_add_nc_u32_e32 v10, 0x200, v10
	v_add_nc_u32_e32 v12, 0x400, v12
	s_waitcnt lgkmcnt(0)
	v_add_co_u32 v2, s3, v6, v2
	v_add_co_ci_u32_e64 v3, s3, v7, v3, s3
	s_and_b32 s3, exec_lo, s6
	s_delay_alu instid0(SALU_CYCLE_1) | instskip(NEXT) | instid1(SALU_CYCLE_1)
	s_or_b32 s5, s3, s5
	s_and_not1_b32 exec_lo, exec_lo, s5
	s_cbranch_execz .LBB93_59
.LBB93_49:                              ; =>This Inner Loop Header: Depth=1
	ds_load_b64 v[6:7], v12
	ds_load_b32 v14, v10
	s_waitcnt lgkmcnt(0)
	s_barrier
	buffer_gl0_inv
	v_cmp_gt_i64_e64 s3, s[28:29], v[6:7]
	s_delay_alu instid0(VALU_DEP_1) | instskip(SKIP_1) | instid1(SALU_CYCLE_1)
	v_and_b32_e32 v8, s3, v1
	s_bcnt1_i32_b32 s6, s3
	v_mov_b32_e32 v4, s6
	s_delay_alu instid0(VALU_DEP_2)
	v_bcnt_u32_b32 v8, v8, 0
	ds_store_b64 v13, v[4:5] offset:3072
	s_waitcnt lgkmcnt(0)
	s_barrier
	buffer_gl0_inv
	s_and_saveexec_b32 s6, s0
	s_cbranch_execnz .LBB93_54
; %bb.50:                               ;   in Loop: Header=BB93_49 Depth=1
	s_or_b32 exec_lo, exec_lo, s6
	s_and_saveexec_b32 s6, s1
	s_cbranch_execnz .LBB93_55
.LBB93_51:                              ;   in Loop: Header=BB93_49 Depth=1
	s_or_b32 exec_lo, exec_lo, s6
	s_and_saveexec_b32 s6, s2
	s_cbranch_execnz .LBB93_56
.LBB93_52:                              ;   in Loop: Header=BB93_49 Depth=1
	s_or_b32 exec_lo, exec_lo, s6
	v_ashrrev_i32_e32 v9, 31, v8
	s_and_saveexec_b32 s6, s3
	s_cbranch_execnz .LBB93_57
.LBB93_53:                              ;   in Loop: Header=BB93_49 Depth=1
	s_or_b32 exec_lo, exec_lo, s6
	s_and_saveexec_b32 s3, vcc_lo
	s_cbranch_execz .LBB93_48
	s_branch .LBB93_58
.LBB93_54:                              ;   in Loop: Header=BB93_49 Depth=1
	ds_load_b32 v4, v5 offset:3072
	s_waitcnt lgkmcnt(0)
	v_add_nc_u32_e32 v8, v4, v8
	s_or_b32 exec_lo, exec_lo, s6
	s_and_saveexec_b32 s6, s1
	s_cbranch_execz .LBB93_51
.LBB93_55:                              ;   in Loop: Header=BB93_49 Depth=1
	ds_load_b32 v4, v5 offset:3080
	s_waitcnt lgkmcnt(0)
	v_add_nc_u32_e32 v8, v8, v4
	s_or_b32 exec_lo, exec_lo, s6
	s_and_saveexec_b32 s6, s2
	s_cbranch_execz .LBB93_52
.LBB93_56:                              ;   in Loop: Header=BB93_49 Depth=1
	ds_load_b32 v4, v5 offset:3088
	s_waitcnt lgkmcnt(0)
	v_add_nc_u32_e32 v8, v8, v4
	s_or_b32 exec_lo, exec_lo, s6
	s_delay_alu instid0(VALU_DEP_1)
	v_ashrrev_i32_e32 v9, 31, v8
	s_and_saveexec_b32 s6, s3
	s_cbranch_execz .LBB93_53
.LBB93_57:                              ;   in Loop: Header=BB93_49 Depth=1
	v_add3_u32 v4, v2, -1, v8
	s_delay_alu instid0(VALU_DEP_1)
	v_lshl_add_u32 v15, v4, 3, 0
	v_lshl_add_u32 v4, v4, 2, 0
	ds_store_b64 v15, v[6:7]
	ds_store_b32 v4, v14 offset:2048
	s_or_b32 exec_lo, exec_lo, s6
	s_and_saveexec_b32 s3, vcc_lo
	s_cbranch_execz .LBB93_48
.LBB93_58:                              ;   in Loop: Header=BB93_49 Depth=1
	ds_store_b64 v5, v[8:9] offset:3096
	s_branch .LBB93_48
.LBB93_59:
	s_or_b32 exec_lo, exec_lo, s4
	s_lshl_b64 s[0:1], s[30:31], 3
	v_mov_b32_e32 v1, 0
	s_add_u32 s0, s10, s0
	s_addc_u32 s1, s11, s1
	s_mov_b32 s6, exec_lo
	s_load_b128 s[0:3], s[0:1], 0x0
	s_waitcnt lgkmcnt(0)
	s_sub_u32 s4, s2, s0
	s_subb_u32 s5, s3, s1
	s_delay_alu instid0(SALU_CYCLE_1)
	v_cmpx_gt_i64_e64 s[4:5], v[0:1]
	s_cbranch_execz .LBB93_69
; %bb.60:
	s_sub_u32 s8, s0, s22
	s_subb_u32 s9, s1, 0
	s_and_b32 s6, s4, 7
	s_sub_u32 s0, s0, s2
	s_subb_u32 s1, s1, s3
	s_mov_b32 s7, 0
	v_cmp_lt_u64_e64 s12, s[0:1], -7
	s_and_b32 s2, s4, -8
	s_cmp_lg_u64 s[6:7], 0
	s_mov_b32 s3, s5
	s_cselect_b32 s13, -1, 0
	s_mov_b32 s14, s7
	s_branch .LBB93_62
.LBB93_61:                              ;   in Loop: Header=BB93_62 Depth=1
	s_waitcnt lgkmcnt(1)
	v_add_co_u32 v2, vcc_lo, v2, s22
	v_lshlrev_b64 v[7:8], 3, v[4:5]
	v_add_co_ci_u32_e32 v3, vcc_lo, 0, v3, vcc_lo
	v_add_co_u32 v0, vcc_lo, 0x80, v0
	v_add_co_ci_u32_e32 v1, vcc_lo, 0, v1, vcc_lo
	v_lshlrev_b64 v[4:5], 2, v[4:5]
	v_add_co_u32 v7, vcc_lo, s24, v7
	v_add_co_ci_u32_e32 v8, vcc_lo, s25, v8, vcc_lo
	s_delay_alu instid0(VALU_DEP_4) | instskip(NEXT) | instid1(VALU_DEP_4)
	v_cmp_le_i64_e32 vcc_lo, s[4:5], v[0:1]
	v_add_co_u32 v4, s0, s26, v4
	s_delay_alu instid0(VALU_DEP_1) | instskip(SKIP_4) | instid1(SALU_CYCLE_1)
	v_add_co_ci_u32_e64 v5, s0, s27, v5, s0
	global_store_b64 v[7:8], v[2:3], off
	s_waitcnt lgkmcnt(0)
	global_store_b32 v[4:5], v6, off
	s_or_b32 s14, vcc_lo, s14
	s_and_not1_b32 exec_lo, exec_lo, s14
	s_cbranch_execz .LBB93_69
.LBB93_62:                              ; =>This Loop Header: Depth=1
                                        ;     Child Loop BB93_64 Depth 2
                                        ;     Child Loop BB93_68 Depth 2
	v_lshl_add_u32 v2, v0, 3, 0
	v_lshlrev_b32_e32 v3, 2, v0
	s_and_not1_b32 vcc_lo, exec_lo, s12
	s_mov_b64 s[0:1], 0
	s_delay_alu instid0(VALU_DEP_1)
	v_sub_nc_u32_e32 v4, v2, v3
	ds_load_b64 v[2:3], v2
	ds_load_b32 v6, v4 offset:2048
	v_dual_mov_b32 v4, s8 :: v_dual_mov_b32 v5, s9
	s_cbranch_vccnz .LBB93_66
; %bb.63:                               ;   in Loop: Header=BB93_62 Depth=1
	v_dual_mov_b32 v4, s8 :: v_dual_mov_b32 v5, s9
	s_mov_b64 s[10:11], 0
	s_mov_b32 s1, 0
.LBB93_64:                              ;   Parent Loop BB93_62 Depth=1
                                        ; =>  This Inner Loop Header: Depth=2
	s_delay_alu instid0(SALU_CYCLE_1)
	v_mov_b32_e32 v19, s1
	s_add_u32 s10, s10, 8
	s_addc_u32 s11, s11, 0
	s_add_i32 s1, s1, 64
	s_cmp_eq_u64 s[2:3], s[10:11]
	ds_load_2addr_b64 v[7:10], v19 offset1:1
	ds_load_2addr_b64 v[11:14], v19 offset0:2 offset1:3
	ds_load_2addr_b64 v[15:18], v19 offset0:4 offset1:5
	;; [unrolled: 1-line block ×3, first 2 shown]
	s_waitcnt lgkmcnt(3)
	v_cmp_gt_i64_e32 vcc_lo, v[2:3], v[7:8]
	v_cndmask_b32_e64 v7, 0, 1, vcc_lo
	v_cmp_gt_i64_e32 vcc_lo, v[2:3], v[9:10]
	v_cndmask_b32_e64 v8, 0, 1, vcc_lo
	s_waitcnt lgkmcnt(2)
	v_cmp_gt_i64_e32 vcc_lo, v[2:3], v[11:12]
	v_cndmask_b32_e64 v9, 0, 1, vcc_lo
	v_cmp_gt_i64_e32 vcc_lo, v[2:3], v[13:14]
	v_cndmask_b32_e64 v10, 0, 1, vcc_lo
	s_waitcnt lgkmcnt(1)
	v_cmp_gt_i64_e32 vcc_lo, v[2:3], v[15:16]
	v_cndmask_b32_e64 v11, 0, 1, vcc_lo
	v_add_co_u32 v4, vcc_lo, v4, v7
	v_add_co_ci_u32_e32 v5, vcc_lo, 0, v5, vcc_lo
	v_cmp_gt_i64_e32 vcc_lo, v[2:3], v[17:18]
	s_delay_alu instid0(VALU_DEP_3) | instskip(NEXT) | instid1(VALU_DEP_1)
	v_add_co_u32 v4, s0, v4, v8
	v_add_co_ci_u32_e64 v5, s0, 0, v5, s0
	v_cndmask_b32_e64 v7, 0, 1, vcc_lo
	s_delay_alu instid0(VALU_DEP_3) | instskip(NEXT) | instid1(VALU_DEP_3)
	v_add_co_u32 v4, vcc_lo, v4, v9
	v_add_co_ci_u32_e32 v5, vcc_lo, 0, v5, vcc_lo
	s_waitcnt lgkmcnt(0)
	v_cmp_gt_i64_e32 vcc_lo, v[2:3], v[19:20]
	s_delay_alu instid0(VALU_DEP_3) | instskip(NEXT) | instid1(VALU_DEP_1)
	v_add_co_u32 v4, s0, v4, v10
	v_add_co_ci_u32_e64 v5, s0, 0, v5, s0
	v_cndmask_b32_e64 v8, 0, 1, vcc_lo
	s_delay_alu instid0(VALU_DEP_3) | instskip(NEXT) | instid1(VALU_DEP_3)
	v_add_co_u32 v4, vcc_lo, v4, v11
	v_add_co_ci_u32_e32 v5, vcc_lo, 0, v5, vcc_lo
	v_cmp_gt_i64_e32 vcc_lo, v[2:3], v[21:22]
	s_delay_alu instid0(VALU_DEP_3) | instskip(NEXT) | instid1(VALU_DEP_1)
	v_add_co_u32 v4, s0, v4, v7
	v_add_co_ci_u32_e64 v5, s0, 0, v5, s0
	v_cndmask_b32_e64 v7, 0, 1, vcc_lo
	s_delay_alu instid0(VALU_DEP_3) | instskip(NEXT) | instid1(VALU_DEP_3)
	v_add_co_u32 v4, vcc_lo, v4, v8
	v_add_co_ci_u32_e32 v5, vcc_lo, 0, v5, vcc_lo
	s_delay_alu instid0(VALU_DEP_2) | instskip(NEXT) | instid1(VALU_DEP_2)
	v_add_co_u32 v4, vcc_lo, v4, v7
	v_add_co_ci_u32_e32 v5, vcc_lo, 0, v5, vcc_lo
	s_cbranch_scc0 .LBB93_64
; %bb.65:                               ;   in Loop: Header=BB93_62 Depth=1
	s_mov_b64 s[0:1], s[2:3]
.LBB93_66:                              ;   in Loop: Header=BB93_62 Depth=1
	s_and_not1_b32 vcc_lo, exec_lo, s13
	s_cbranch_vccnz .LBB93_61
; %bb.67:                               ;   in Loop: Header=BB93_62 Depth=1
	s_lshl_b32 s0, s0, 3
	s_delay_alu instid0(SALU_CYCLE_1)
	s_add_i32 s10, s0, 0
	s_mov_b64 s[0:1], s[6:7]
.LBB93_68:                              ;   Parent Loop BB93_62 Depth=1
                                        ; =>  This Inner Loop Header: Depth=2
	v_mov_b32_e32 v7, s10
	s_add_i32 s10, s10, 8
	s_add_u32 s0, s0, -1
	s_addc_u32 s1, s1, -1
	s_delay_alu instid0(SALU_CYCLE_1) | instskip(SKIP_4) | instid1(VALU_DEP_1)
	s_cmp_lg_u64 s[0:1], 0
	ds_load_b64 v[7:8], v7
	s_waitcnt lgkmcnt(0)
	v_cmp_gt_i64_e32 vcc_lo, v[2:3], v[7:8]
	v_cndmask_b32_e64 v7, 0, 1, vcc_lo
	v_add_co_u32 v4, vcc_lo, v4, v7
	v_add_co_ci_u32_e32 v5, vcc_lo, 0, v5, vcc_lo
	s_cbranch_scc1 .LBB93_68
	s_branch .LBB93_61
.LBB93_69:
	s_nop 0
	s_sendmsg sendmsg(MSG_DEALLOC_VGPRS)
	s_endpgm
	.section	.rodata,"a",@progbits
	.p2align	6, 0x0
	.amdhsa_kernel _ZN9rocsparseL26csrgemm_fill_block_per_rowILj128ELj16ELj256ELj137ELj32EllfEEvT5_PKS1_S3_NS_24const_host_device_scalarIT6_EEPKT4_S3_PKS5_S9_S3_SB_S6_S9_S3_SB_S9_PS1_PS5_21rocsparse_index_base_SE_SE_SE_bbb
		.amdhsa_group_segment_fixed_size 0
		.amdhsa_private_segment_fixed_size 0
		.amdhsa_kernarg_size 156
		.amdhsa_user_sgpr_count 15
		.amdhsa_user_sgpr_dispatch_ptr 0
		.amdhsa_user_sgpr_queue_ptr 0
		.amdhsa_user_sgpr_kernarg_segment_ptr 1
		.amdhsa_user_sgpr_dispatch_id 0
		.amdhsa_user_sgpr_private_segment_size 0
		.amdhsa_wavefront_size32 1
		.amdhsa_uses_dynamic_stack 0
		.amdhsa_enable_private_segment 0
		.amdhsa_system_sgpr_workgroup_id_x 1
		.amdhsa_system_sgpr_workgroup_id_y 0
		.amdhsa_system_sgpr_workgroup_id_z 0
		.amdhsa_system_sgpr_workgroup_info 0
		.amdhsa_system_vgpr_workitem_id 0
		.amdhsa_next_free_vgpr 23
		.amdhsa_next_free_sgpr 45
		.amdhsa_reserve_vcc 1
		.amdhsa_float_round_mode_32 0
		.amdhsa_float_round_mode_16_64 0
		.amdhsa_float_denorm_mode_32 3
		.amdhsa_float_denorm_mode_16_64 3
		.amdhsa_dx10_clamp 1
		.amdhsa_ieee_mode 1
		.amdhsa_fp16_overflow 0
		.amdhsa_workgroup_processor_mode 1
		.amdhsa_memory_ordered 1
		.amdhsa_forward_progress 0
		.amdhsa_shared_vgpr_count 0
		.amdhsa_exception_fp_ieee_invalid_op 0
		.amdhsa_exception_fp_denorm_src 0
		.amdhsa_exception_fp_ieee_div_zero 0
		.amdhsa_exception_fp_ieee_overflow 0
		.amdhsa_exception_fp_ieee_underflow 0
		.amdhsa_exception_fp_ieee_inexact 0
		.amdhsa_exception_int_div_zero 0
	.end_amdhsa_kernel
	.section	.text._ZN9rocsparseL26csrgemm_fill_block_per_rowILj128ELj16ELj256ELj137ELj32EllfEEvT5_PKS1_S3_NS_24const_host_device_scalarIT6_EEPKT4_S3_PKS5_S9_S3_SB_S6_S9_S3_SB_S9_PS1_PS5_21rocsparse_index_base_SE_SE_SE_bbb,"axG",@progbits,_ZN9rocsparseL26csrgemm_fill_block_per_rowILj128ELj16ELj256ELj137ELj32EllfEEvT5_PKS1_S3_NS_24const_host_device_scalarIT6_EEPKT4_S3_PKS5_S9_S3_SB_S6_S9_S3_SB_S9_PS1_PS5_21rocsparse_index_base_SE_SE_SE_bbb,comdat
.Lfunc_end93:
	.size	_ZN9rocsparseL26csrgemm_fill_block_per_rowILj128ELj16ELj256ELj137ELj32EllfEEvT5_PKS1_S3_NS_24const_host_device_scalarIT6_EEPKT4_S3_PKS5_S9_S3_SB_S6_S9_S3_SB_S9_PS1_PS5_21rocsparse_index_base_SE_SE_SE_bbb, .Lfunc_end93-_ZN9rocsparseL26csrgemm_fill_block_per_rowILj128ELj16ELj256ELj137ELj32EllfEEvT5_PKS1_S3_NS_24const_host_device_scalarIT6_EEPKT4_S3_PKS5_S9_S3_SB_S6_S9_S3_SB_S9_PS1_PS5_21rocsparse_index_base_SE_SE_SE_bbb
                                        ; -- End function
	.section	.AMDGPU.csdata,"",@progbits
; Kernel info:
; codeLenInByte = 3016
; NumSgprs: 47
; NumVgprs: 23
; ScratchSize: 0
; MemoryBound: 0
; FloatMode: 240
; IeeeMode: 1
; LDSByteSize: 0 bytes/workgroup (compile time only)
; SGPRBlocks: 5
; VGPRBlocks: 2
; NumSGPRsForWavesPerEU: 47
; NumVGPRsForWavesPerEU: 23
; Occupancy: 16
; WaveLimiterHint : 1
; COMPUTE_PGM_RSRC2:SCRATCH_EN: 0
; COMPUTE_PGM_RSRC2:USER_SGPR: 15
; COMPUTE_PGM_RSRC2:TRAP_HANDLER: 0
; COMPUTE_PGM_RSRC2:TGID_X_EN: 1
; COMPUTE_PGM_RSRC2:TGID_Y_EN: 0
; COMPUTE_PGM_RSRC2:TGID_Z_EN: 0
; COMPUTE_PGM_RSRC2:TIDIG_COMP_CNT: 0
	.section	.text._ZN9rocsparseL26csrgemm_fill_block_per_rowILj128ELj16ELj256ELj137ELj64EllfEEvT5_PKS1_S3_NS_24const_host_device_scalarIT6_EEPKT4_S3_PKS5_S9_S3_SB_S6_S9_S3_SB_S9_PS1_PS5_21rocsparse_index_base_SE_SE_SE_bbb,"axG",@progbits,_ZN9rocsparseL26csrgemm_fill_block_per_rowILj128ELj16ELj256ELj137ELj64EllfEEvT5_PKS1_S3_NS_24const_host_device_scalarIT6_EEPKT4_S3_PKS5_S9_S3_SB_S6_S9_S3_SB_S9_PS1_PS5_21rocsparse_index_base_SE_SE_SE_bbb,comdat
	.globl	_ZN9rocsparseL26csrgemm_fill_block_per_rowILj128ELj16ELj256ELj137ELj64EllfEEvT5_PKS1_S3_NS_24const_host_device_scalarIT6_EEPKT4_S3_PKS5_S9_S3_SB_S6_S9_S3_SB_S9_PS1_PS5_21rocsparse_index_base_SE_SE_SE_bbb ; -- Begin function _ZN9rocsparseL26csrgemm_fill_block_per_rowILj128ELj16ELj256ELj137ELj64EllfEEvT5_PKS1_S3_NS_24const_host_device_scalarIT6_EEPKT4_S3_PKS5_S9_S3_SB_S6_S9_S3_SB_S9_PS1_PS5_21rocsparse_index_base_SE_SE_SE_bbb
	.p2align	8
	.type	_ZN9rocsparseL26csrgemm_fill_block_per_rowILj128ELj16ELj256ELj137ELj64EllfEEvT5_PKS1_S3_NS_24const_host_device_scalarIT6_EEPKT4_S3_PKS5_S9_S3_SB_S6_S9_S3_SB_S9_PS1_PS5_21rocsparse_index_base_SE_SE_SE_bbb,@function
_ZN9rocsparseL26csrgemm_fill_block_per_rowILj128ELj16ELj256ELj137ELj64EllfEEvT5_PKS1_S3_NS_24const_host_device_scalarIT6_EEPKT4_S3_PKS5_S9_S3_SB_S6_S9_S3_SB_S9_PS1_PS5_21rocsparse_index_base_SE_SE_SE_bbb: ; @_ZN9rocsparseL26csrgemm_fill_block_per_rowILj128ELj16ELj256ELj137ELj64EllfEEvT5_PKS1_S3_NS_24const_host_device_scalarIT6_EEPKT4_S3_PKS5_S9_S3_SB_S6_S9_S3_SB_S9_PS1_PS5_21rocsparse_index_base_SE_SE_SE_bbb
; %bb.0:
	s_clause 0x2
	s_load_b32 s3, s[0:1], 0x98
	s_load_b64 s[6:7], s[0:1], 0x18
	s_load_b64 s[4:5], s[0:1], 0x50
	s_mov_b32 s2, s15
	s_waitcnt lgkmcnt(0)
	s_bitcmp1_b32 s3, 0
	s_cselect_b32 s40, -1, 0
	s_bitcmp1_b32 s3, 16
	s_cselect_b32 s8, -1, 0
	s_xor_b32 s9, s40, -1
	s_delay_alu instid0(SALU_CYCLE_1) | instskip(NEXT) | instid1(SALU_CYCLE_1)
	s_or_b32 s9, s9, s8
	s_and_b32 vcc_lo, exec_lo, s9
	s_cbranch_vccnz .LBB94_2
; %bb.1:
	s_load_b32 s6, s[6:7], 0x0
	s_waitcnt lgkmcnt(0)
	v_mov_b32_e32 v15, s6
	s_branch .LBB94_3
.LBB94_2:
	v_cndmask_b32_e64 v15, 0, s6, s40
.LBB94_3:
	s_load_b128 s[20:23], s[0:1], 0x88
	s_bitcmp1_b32 s3, 8
	s_cselect_b32 s33, -1, 0
	s_delay_alu instid0(SALU_CYCLE_1) | instskip(NEXT) | instid1(SALU_CYCLE_1)
	s_xor_b32 s3, s33, -1
	s_or_b32 s3, s3, s8
	s_delay_alu instid0(SALU_CYCLE_1)
	s_and_b32 vcc_lo, exec_lo, s3
	s_cbranch_vccnz .LBB94_5
; %bb.4:
	s_load_b32 s3, s[4:5], 0x0
	s_waitcnt lgkmcnt(0)
	v_mov_b32_e32 v13, s3
	s_branch .LBB94_6
.LBB94_5:
	v_cndmask_b32_e64 v13, 0, s4, s33
.LBB94_6:
	s_clause 0x5
	s_load_b128 s[24:27], s[0:1], 0x78
	s_load_b256 s[4:11], s[0:1], 0x58
	s_load_b128 s[36:39], s[0:1], 0x40
	s_load_b128 s[28:31], s[0:1], 0x0
	s_load_b64 s[34:35], s[0:1], 0x10
	s_load_b256 s[12:19], s[0:1], 0x20
	v_cmp_gt_u32_e64 s0, 0x100, v0
	v_lshlrev_b32_e32 v14, 2, v0
	v_or_b32_e32 v11, 0xffffff80, v0
	v_lshl_add_u32 v12, v0, 3, 0
	s_delay_alu instid0(VALU_DEP_4)
	s_and_saveexec_b32 s1, s0
	s_cbranch_execz .LBB94_9
; %bb.7:
	v_add3_u32 v3, v14, 0, 0x800
	v_or_b32_e32 v4, 0xffffff80, v0
	v_lshl_add_u32 v5, v0, 3, 0
	s_waitcnt lgkmcnt(0)
	v_dual_mov_b32 v1, s28 :: v_dual_mov_b32 v2, s29
	v_mov_b32_e32 v6, 0
	s_mov_b32 s3, 0
.LBB94_8:                               ; =>This Inner Loop Header: Depth=1
	v_add_co_u32 v4, s41, 0x80, v4
	s_delay_alu instid0(VALU_DEP_1)
	s_xor_b32 s41, s41, -1
	ds_store_b64 v5, v[1:2]
	ds_store_b32 v3, v6
	v_add_nc_u32_e32 v3, 0x200, v3
	v_add_nc_u32_e32 v5, 0x400, v5
	s_and_b32 s41, exec_lo, s41
	s_delay_alu instid0(SALU_CYCLE_1) | instskip(NEXT) | instid1(SALU_CYCLE_1)
	s_or_b32 s3, s41, s3
	s_and_not1_b32 exec_lo, exec_lo, s3
	s_cbranch_execnz .LBB94_8
.LBB94_9:
	s_or_b32 exec_lo, exec_lo, s1
	s_waitcnt lgkmcnt(0)
	s_barrier
	buffer_gl0_inv
	s_load_b64 s[30:31], s[30:31], 0x0
	s_mov_b32 s3, 0
	s_waitcnt lgkmcnt(0)
	s_lshl_b64 s[30:31], s[30:31], 3
	s_delay_alu instid0(SALU_CYCLE_1) | instskip(SKIP_2) | instid1(SALU_CYCLE_1)
	s_add_u32 s1, s34, s30
	s_addc_u32 s30, s35, s31
	s_lshl_b64 s[2:3], s[2:3], 3
	s_add_u32 s2, s1, s2
	s_addc_u32 s3, s30, s3
	s_and_b32 vcc_lo, exec_lo, s40
	s_load_b64 s[30:31], s[2:3], 0x0
	s_cbranch_vccz .LBB94_29
; %bb.10:
	s_waitcnt lgkmcnt(0)
	s_lshl_b64 s[2:3], s[30:31], 3
	v_lshrrev_b32_e32 v1, 4, v0
	s_add_u32 s2, s12, s2
	s_addc_u32 s3, s13, s3
	s_load_b128 s[40:43], s[2:3], 0x0
	s_delay_alu instid0(VALU_DEP_1) | instskip(NEXT) | instid1(VALU_DEP_1)
	v_sub_co_u32 v1, s1, v1, s20
	v_sub_co_ci_u32_e64 v2, null, 0, 0, s1
	s_mov_b32 s1, exec_lo
	s_waitcnt lgkmcnt(0)
	s_delay_alu instid0(VALU_DEP_2) | instskip(NEXT) | instid1(VALU_DEP_2)
	v_add_co_u32 v1, vcc_lo, s40, v1
	v_add_co_ci_u32_e32 v2, vcc_lo, s41, v2, vcc_lo
	s_sub_u32 s2, s42, s20
	s_subb_u32 s3, s43, 0
	s_delay_alu instid0(VALU_DEP_1) | instid1(SALU_CYCLE_1)
	v_cmpx_gt_i64_e64 s[2:3], v[1:2]
	s_cbranch_execz .LBB94_28
; %bb.11:
	v_and_b32_e32 v3, 15, v0
	s_mov_b32 s13, s21
	s_delay_alu instid0(VALU_DEP_1) | instskip(NEXT) | instid1(VALU_DEP_1)
	v_sub_co_u32 v16, s12, v3, s21
	v_sub_co_ci_u32_e64 v17, null, 0, 0, s12
	s_mov_b32 s12, 0
	s_branch .LBB94_13
.LBB94_12:                              ;   in Loop: Header=BB94_13 Depth=1
	s_or_b32 exec_lo, exec_lo, s21
	v_add_co_u32 v1, vcc_lo, v1, 8
	v_add_co_ci_u32_e32 v2, vcc_lo, 0, v2, vcc_lo
	s_delay_alu instid0(VALU_DEP_1) | instskip(SKIP_1) | instid1(SALU_CYCLE_1)
	v_cmp_le_i64_e32 vcc_lo, s[2:3], v[1:2]
	s_or_b32 s12, vcc_lo, s12
	s_and_not1_b32 exec_lo, exec_lo, s12
	s_cbranch_execz .LBB94_28
.LBB94_13:                              ; =>This Loop Header: Depth=1
                                        ;     Child Loop BB94_16 Depth 2
                                        ;       Child Loop BB94_18 Depth 3
	v_lshlrev_b64 v[3:4], 3, v[1:2]
	s_mov_b32 s21, exec_lo
	s_delay_alu instid0(VALU_DEP_1) | instskip(NEXT) | instid1(VALU_DEP_2)
	v_add_co_u32 v3, vcc_lo, s14, v3
	v_add_co_ci_u32_e32 v4, vcc_lo, s15, v4, vcc_lo
	global_load_b64 v[3:4], v[3:4], off
	s_waitcnt vmcnt(0)
	v_sub_co_u32 v3, vcc_lo, v3, s20
	v_subrev_co_ci_u32_e32 v4, vcc_lo, 0, v4, vcc_lo
	s_delay_alu instid0(VALU_DEP_1) | instskip(NEXT) | instid1(VALU_DEP_1)
	v_lshlrev_b64 v[3:4], 3, v[3:4]
	v_add_co_u32 v3, vcc_lo, s18, v3
	s_delay_alu instid0(VALU_DEP_2)
	v_add_co_ci_u32_e32 v4, vcc_lo, s19, v4, vcc_lo
	global_load_b128 v[5:8], v[3:4], off
	s_waitcnt vmcnt(0)
	v_sub_co_u32 v3, vcc_lo, v7, s13
	v_subrev_co_ci_u32_e32 v4, vcc_lo, 0, v8, vcc_lo
	v_add_co_u32 v5, vcc_lo, v5, v16
	v_add_co_ci_u32_e32 v6, vcc_lo, v6, v17, vcc_lo
	s_delay_alu instid0(VALU_DEP_1)
	v_cmpx_lt_i64_e64 v[5:6], v[3:4]
	s_cbranch_execz .LBB94_12
; %bb.14:                               ;   in Loop: Header=BB94_13 Depth=1
	v_lshlrev_b64 v[7:8], 2, v[1:2]
	s_mov_b32 s34, 0
	s_delay_alu instid0(VALU_DEP_1) | instskip(NEXT) | instid1(VALU_DEP_2)
	v_add_co_u32 v7, vcc_lo, s16, v7
	v_add_co_ci_u32_e32 v8, vcc_lo, s17, v8, vcc_lo
	global_load_b32 v7, v[7:8], off
	s_waitcnt vmcnt(0)
	v_mul_f32_e32 v18, v15, v7
	s_branch .LBB94_16
.LBB94_15:                              ;   in Loop: Header=BB94_16 Depth=2
	s_or_b32 exec_lo, exec_lo, s35
	v_add_co_u32 v5, vcc_lo, v5, 16
	v_add_co_ci_u32_e32 v6, vcc_lo, 0, v6, vcc_lo
	s_delay_alu instid0(VALU_DEP_1) | instskip(SKIP_1) | instid1(SALU_CYCLE_1)
	v_cmp_ge_i64_e32 vcc_lo, v[5:6], v[3:4]
	s_or_b32 s34, vcc_lo, s34
	s_and_not1_b32 exec_lo, exec_lo, s34
	s_cbranch_execz .LBB94_12
.LBB94_16:                              ;   Parent Loop BB94_13 Depth=1
                                        ; =>  This Loop Header: Depth=2
                                        ;       Child Loop BB94_18 Depth 3
	v_lshlrev_b64 v[7:8], 3, v[5:6]
	v_lshlrev_b64 v[9:10], 2, v[5:6]
	s_mov_b32 s35, 0
	s_delay_alu instid0(VALU_DEP_2) | instskip(NEXT) | instid1(VALU_DEP_3)
	v_add_co_u32 v7, vcc_lo, s36, v7
	v_add_co_ci_u32_e32 v8, vcc_lo, s37, v8, vcc_lo
	s_delay_alu instid0(VALU_DEP_3) | instskip(NEXT) | instid1(VALU_DEP_4)
	v_add_co_u32 v9, vcc_lo, s38, v9
	v_add_co_ci_u32_e32 v10, vcc_lo, s39, v10, vcc_lo
	global_load_b64 v[7:8], v[7:8], off
	global_load_b32 v9, v[9:10], off
	s_waitcnt vmcnt(1)
	v_sub_co_u32 v7, vcc_lo, v7, s13
	v_subrev_co_ci_u32_e32 v8, vcc_lo, 0, v8, vcc_lo
	s_delay_alu instid0(VALU_DEP_2) | instskip(SKIP_1) | instid1(VALU_DEP_1)
	v_mul_lo_u32 v10, 0x89, v7
	s_waitcnt vmcnt(0)
	v_dual_mul_f32 v19, v18, v9 :: v_dual_and_b32 v20, 0xff, v10
	s_branch .LBB94_18
.LBB94_17:                              ;   in Loop: Header=BB94_18 Depth=3
	s_or_b32 exec_lo, exec_lo, s40
	s_xor_b32 s40, s41, -1
	s_delay_alu instid0(SALU_CYCLE_1) | instskip(NEXT) | instid1(SALU_CYCLE_1)
	s_and_b32 s40, exec_lo, s40
	s_or_b32 s35, s40, s35
	s_delay_alu instid0(SALU_CYCLE_1)
	s_and_not1_b32 exec_lo, exec_lo, s35
	s_cbranch_execz .LBB94_15
.LBB94_18:                              ;   Parent Loop BB94_13 Depth=1
                                        ;     Parent Loop BB94_16 Depth=2
                                        ; =>    This Inner Loop Header: Depth=3
	s_delay_alu instid0(VALU_DEP_1)
	v_lshl_add_u32 v21, v20, 3, 0
	s_mov_b32 s40, exec_lo
                                        ; implicit-def: $sgpr41
	ds_load_b64 v[9:10], v21
	s_waitcnt lgkmcnt(0)
	v_cmpx_ne_u64_e64 v[9:10], v[7:8]
	s_xor_b32 s40, exec_lo, s40
	s_cbranch_execz .LBB94_26
; %bb.19:                               ;   in Loop: Header=BB94_18 Depth=3
	s_mov_b32 s42, exec_lo
                                        ; implicit-def: $sgpr41
	v_cmpx_ne_u64_e64 s[28:29], v[9:10]
	s_xor_b32 s42, exec_lo, s42
; %bb.20:                               ;   in Loop: Header=BB94_18 Depth=3
	v_add_nc_u32_e32 v9, 1, v20
	s_mov_b32 s41, -1
                                        ; implicit-def: $vgpr21
	s_delay_alu instid0(VALU_DEP_1)
	v_and_b32_e32 v20, 0xff, v9
; %bb.21:                               ;   in Loop: Header=BB94_18 Depth=3
	s_and_not1_saveexec_b32 s42, s42
	s_cbranch_execz .LBB94_25
; %bb.22:                               ;   in Loop: Header=BB94_18 Depth=3
	v_dual_mov_b32 v9, s28 :: v_dual_mov_b32 v10, s29
	s_mov_b32 s43, -1
	s_mov_b32 s44, exec_lo
	ds_cmpstore_rtn_b64 v[9:10], v21, v[7:8], v[9:10]
	s_waitcnt lgkmcnt(0)
	v_cmpx_eq_u64_e64 s[28:29], v[9:10]
	s_cbranch_execz .LBB94_24
; %bb.23:                               ;   in Loop: Header=BB94_18 Depth=3
	v_lshlrev_b32_e32 v9, 2, v20
	s_xor_b32 s43, exec_lo, -1
	s_delay_alu instid0(VALU_DEP_1)
	v_sub_nc_u32_e32 v9, v21, v9
	ds_add_f32 v9, v19 offset:2048
.LBB94_24:                              ;   in Loop: Header=BB94_18 Depth=3
	s_or_b32 exec_lo, exec_lo, s44
	s_delay_alu instid0(SALU_CYCLE_1) | instskip(SKIP_1) | instid1(SALU_CYCLE_1)
	s_and_not1_b32 s41, s41, exec_lo
	s_and_b32 s43, s43, exec_lo
	s_or_b32 s41, s41, s43
.LBB94_25:                              ;   in Loop: Header=BB94_18 Depth=3
	s_or_b32 exec_lo, exec_lo, s42
	s_delay_alu instid0(SALU_CYCLE_1)
	s_and_b32 s41, s41, exec_lo
                                        ; implicit-def: $vgpr21
.LBB94_26:                              ;   in Loop: Header=BB94_18 Depth=3
	s_and_not1_saveexec_b32 s40, s40
	s_cbranch_execz .LBB94_17
; %bb.27:                               ;   in Loop: Header=BB94_18 Depth=3
	v_lshlrev_b32_e32 v9, 2, v20
	s_and_not1_b32 s41, s41, exec_lo
	s_delay_alu instid0(VALU_DEP_1)
	v_sub_nc_u32_e32 v9, v21, v9
	ds_add_f32 v9, v19 offset:2048
	s_branch .LBB94_17
.LBB94_28:
	s_or_b32 exec_lo, exec_lo, s1
.LBB94_29:
	s_delay_alu instid0(SALU_CYCLE_1)
	s_and_not1_b32 vcc_lo, exec_lo, s33
	s_cbranch_vccnz .LBB94_46
; %bb.30:
	s_waitcnt lgkmcnt(0)
	s_lshl_b64 s[2:3], s[30:31], 3
	v_sub_co_u32 v1, s1, v0, s23
	s_add_u32 s2, s4, s2
	s_addc_u32 s3, s5, s3
	v_sub_co_ci_u32_e64 v2, null, 0, 0, s1
	s_load_b128 s[12:15], s[2:3], 0x0
	s_mov_b32 s1, 0
	s_mov_b32 s4, exec_lo
	s_waitcnt lgkmcnt(0)
	v_add_co_u32 v1, vcc_lo, s12, v1
	v_add_co_ci_u32_e32 v2, vcc_lo, s13, v2, vcc_lo
	s_sub_u32 s2, s14, s23
	s_subb_u32 s3, s15, 0
	s_delay_alu instid0(VALU_DEP_1) | instid1(SALU_CYCLE_1)
	v_cmpx_gt_i64_e64 s[2:3], v[1:2]
	s_cbranch_execz .LBB94_45
; %bb.31:
	s_mov_b32 s5, s23
	s_branch .LBB94_33
.LBB94_32:                              ;   in Loop: Header=BB94_33 Depth=1
	s_or_b32 exec_lo, exec_lo, s12
	v_add_co_u32 v1, vcc_lo, 0x80, v1
	v_add_co_ci_u32_e32 v2, vcc_lo, 0, v2, vcc_lo
	s_delay_alu instid0(VALU_DEP_1) | instskip(SKIP_1) | instid1(SALU_CYCLE_1)
	v_cmp_le_i64_e32 vcc_lo, s[2:3], v[1:2]
	s_or_b32 s1, vcc_lo, s1
	s_and_not1_b32 exec_lo, exec_lo, s1
	s_cbranch_execz .LBB94_45
.LBB94_33:                              ; =>This Loop Header: Depth=1
                                        ;     Child Loop BB94_35 Depth 2
	v_lshlrev_b64 v[3:4], 3, v[1:2]
	v_lshlrev_b64 v[5:6], 2, v[1:2]
	s_mov_b32 s12, 0
	s_delay_alu instid0(VALU_DEP_2) | instskip(NEXT) | instid1(VALU_DEP_3)
	v_add_co_u32 v3, vcc_lo, s6, v3
	v_add_co_ci_u32_e32 v4, vcc_lo, s7, v4, vcc_lo
	s_delay_alu instid0(VALU_DEP_3) | instskip(NEXT) | instid1(VALU_DEP_4)
	v_add_co_u32 v5, vcc_lo, s8, v5
	v_add_co_ci_u32_e32 v6, vcc_lo, s9, v6, vcc_lo
	global_load_b64 v[3:4], v[3:4], off
	global_load_b32 v5, v[5:6], off
	s_waitcnt vmcnt(1)
	v_sub_co_u32 v3, vcc_lo, v3, s5
	v_subrev_co_ci_u32_e32 v4, vcc_lo, 0, v4, vcc_lo
	s_delay_alu instid0(VALU_DEP_2) | instskip(SKIP_1) | instid1(VALU_DEP_1)
	v_mul_lo_u32 v6, 0x89, v3
	s_waitcnt vmcnt(0)
	v_dual_mul_f32 v7, v13, v5 :: v_dual_and_b32 v8, 0xff, v6
	s_branch .LBB94_35
.LBB94_34:                              ;   in Loop: Header=BB94_35 Depth=2
	s_or_b32 exec_lo, exec_lo, s13
	s_xor_b32 s13, s14, -1
	s_delay_alu instid0(SALU_CYCLE_1) | instskip(NEXT) | instid1(SALU_CYCLE_1)
	s_and_b32 s13, exec_lo, s13
	s_or_b32 s12, s13, s12
	s_delay_alu instid0(SALU_CYCLE_1)
	s_and_not1_b32 exec_lo, exec_lo, s12
	s_cbranch_execz .LBB94_32
.LBB94_35:                              ;   Parent Loop BB94_33 Depth=1
                                        ; =>  This Inner Loop Header: Depth=2
	s_delay_alu instid0(VALU_DEP_1)
	v_lshl_add_u32 v9, v8, 3, 0
	s_mov_b32 s13, exec_lo
                                        ; implicit-def: $sgpr14
	ds_load_b64 v[5:6], v9
	s_waitcnt lgkmcnt(0)
	v_cmpx_ne_u64_e64 v[5:6], v[3:4]
	s_xor_b32 s13, exec_lo, s13
	s_cbranch_execz .LBB94_43
; %bb.36:                               ;   in Loop: Header=BB94_35 Depth=2
	s_mov_b32 s15, exec_lo
                                        ; implicit-def: $sgpr14
	v_cmpx_ne_u64_e64 s[28:29], v[5:6]
	s_xor_b32 s15, exec_lo, s15
; %bb.37:                               ;   in Loop: Header=BB94_35 Depth=2
	v_add_nc_u32_e32 v5, 1, v8
	s_mov_b32 s14, -1
                                        ; implicit-def: $vgpr9
	s_delay_alu instid0(VALU_DEP_1)
	v_and_b32_e32 v8, 0xff, v5
; %bb.38:                               ;   in Loop: Header=BB94_35 Depth=2
	s_and_not1_saveexec_b32 s15, s15
	s_cbranch_execz .LBB94_42
; %bb.39:                               ;   in Loop: Header=BB94_35 Depth=2
	v_dual_mov_b32 v5, s28 :: v_dual_mov_b32 v6, s29
	s_mov_b32 s16, -1
	s_mov_b32 s17, exec_lo
	ds_cmpstore_rtn_b64 v[5:6], v9, v[3:4], v[5:6]
	s_waitcnt lgkmcnt(0)
	v_cmpx_eq_u64_e64 s[28:29], v[5:6]
	s_cbranch_execz .LBB94_41
; %bb.40:                               ;   in Loop: Header=BB94_35 Depth=2
	v_lshlrev_b32_e32 v5, 2, v8
	s_xor_b32 s16, exec_lo, -1
	s_delay_alu instid0(VALU_DEP_1)
	v_sub_nc_u32_e32 v5, v9, v5
	ds_add_f32 v5, v7 offset:2048
.LBB94_41:                              ;   in Loop: Header=BB94_35 Depth=2
	s_or_b32 exec_lo, exec_lo, s17
	s_delay_alu instid0(SALU_CYCLE_1) | instskip(SKIP_1) | instid1(SALU_CYCLE_1)
	s_and_not1_b32 s14, s14, exec_lo
	s_and_b32 s16, s16, exec_lo
	s_or_b32 s14, s14, s16
.LBB94_42:                              ;   in Loop: Header=BB94_35 Depth=2
	s_or_b32 exec_lo, exec_lo, s15
	s_delay_alu instid0(SALU_CYCLE_1)
	s_and_b32 s14, s14, exec_lo
                                        ; implicit-def: $vgpr9
.LBB94_43:                              ;   in Loop: Header=BB94_35 Depth=2
	s_and_not1_saveexec_b32 s13, s13
	s_cbranch_execz .LBB94_34
; %bb.44:                               ;   in Loop: Header=BB94_35 Depth=2
	v_lshlrev_b32_e32 v5, 2, v8
	s_and_not1_b32 s14, s14, exec_lo
	s_delay_alu instid0(VALU_DEP_1)
	v_sub_nc_u32_e32 v5, v9, v5
	ds_add_f32 v5, v7 offset:2048
	s_branch .LBB94_34
.LBB94_45:
	s_or_b32 exec_lo, exec_lo, s4
.LBB94_46:
	s_waitcnt lgkmcnt(0)
	s_barrier
	buffer_gl0_inv
	s_and_saveexec_b32 s3, s0
	s_cbranch_execz .LBB94_55
; %bb.47:
	v_mbcnt_lo_u32_b32 v1, -1, 0
	v_lshrrev_b32_e32 v2, 3, v0
	v_cmp_lt_u32_e32 vcc_lo, 63, v0
	v_cmp_eq_u32_e64 s0, 0x7f, v0
	v_add3_u32 v10, v14, 0, 0x800
	v_xor_b32_e32 v1, 63, v1
	v_and_b32_e32 v3, 8, v2
	v_mov_b32_e32 v5, 0
	s_mov_b32 s4, 0
	s_delay_alu instid0(VALU_DEP_3) | instskip(NEXT) | instid1(VALU_DEP_3)
	v_lshrrev_b64 v[1:2], v1, -1
	v_dual_mov_b32 v2, 0 :: v_dual_add_nc_u32 v13, 0, v3
	v_mov_b32_e32 v3, 0
	s_branch .LBB94_49
.LBB94_48:                              ;   in Loop: Header=BB94_49 Depth=1
	s_or_b32 exec_lo, exec_lo, s1
	s_waitcnt lgkmcnt(0)
	s_barrier
	buffer_gl0_inv
	ds_load_b64 v[6:7], v5 offset:3080
	v_add_co_u32 v11, s1, 0x80, v11
	s_delay_alu instid0(VALU_DEP_1) | instskip(SKIP_4) | instid1(VALU_DEP_1)
	s_xor_b32 s2, s1, -1
	v_add_nc_u32_e32 v10, 0x200, v10
	v_add_nc_u32_e32 v12, 0x400, v12
	s_waitcnt lgkmcnt(0)
	v_add_co_u32 v2, s1, v6, v2
	v_add_co_ci_u32_e64 v3, s1, v7, v3, s1
	s_and_b32 s1, exec_lo, s2
	s_delay_alu instid0(SALU_CYCLE_1) | instskip(NEXT) | instid1(SALU_CYCLE_1)
	s_or_b32 s4, s1, s4
	s_and_not1_b32 exec_lo, exec_lo, s4
	s_cbranch_execz .LBB94_55
.LBB94_49:                              ; =>This Inner Loop Header: Depth=1
	ds_load_b64 v[6:7], v12
	ds_load_b32 v9, v10
	s_waitcnt lgkmcnt(0)
	s_barrier
	buffer_gl0_inv
	v_cmp_gt_i64_e64 s1, s[28:29], v[6:7]
	s_delay_alu instid0(VALU_DEP_1) | instskip(SKIP_1) | instid1(SALU_CYCLE_1)
	v_and_b32_e32 v8, s1, v1
	s_bcnt1_i32_b32 s2, s1
	v_mov_b32_e32 v4, s2
	s_delay_alu instid0(VALU_DEP_2)
	v_bcnt_u32_b32 v8, v8, 0
	ds_store_b64 v13, v[4:5] offset:3072
	s_waitcnt lgkmcnt(0)
	s_barrier
	buffer_gl0_inv
	s_and_saveexec_b32 s5, vcc_lo
	s_cbranch_execnz .LBB94_52
; %bb.50:                               ;   in Loop: Header=BB94_49 Depth=1
	s_or_b32 exec_lo, exec_lo, s5
	s_and_saveexec_b32 s2, s1
	s_cbranch_execnz .LBB94_53
.LBB94_51:                              ;   in Loop: Header=BB94_49 Depth=1
	s_or_b32 exec_lo, exec_lo, s2
	s_and_saveexec_b32 s1, s0
	s_cbranch_execz .LBB94_48
	s_branch .LBB94_54
.LBB94_52:                              ;   in Loop: Header=BB94_49 Depth=1
	ds_load_b64 v[14:15], v5 offset:3072
	s_waitcnt lgkmcnt(0)
	v_add_co_u32 v8, s2, v14, v8
	s_or_b32 exec_lo, exec_lo, s5
	s_and_saveexec_b32 s2, s1
	s_cbranch_execz .LBB94_51
.LBB94_53:                              ;   in Loop: Header=BB94_49 Depth=1
	s_delay_alu instid0(VALU_DEP_1) | instskip(NEXT) | instid1(VALU_DEP_1)
	v_add3_u32 v4, v2, -1, v8
	v_lshl_add_u32 v14, v4, 3, 0
	v_lshl_add_u32 v4, v4, 2, 0
	ds_store_b64 v14, v[6:7]
	ds_store_b32 v4, v9 offset:2048
	s_or_b32 exec_lo, exec_lo, s2
	s_and_saveexec_b32 s1, s0
	s_cbranch_execz .LBB94_48
.LBB94_54:                              ;   in Loop: Header=BB94_49 Depth=1
	v_ashrrev_i32_e32 v9, 31, v8
	ds_store_b64 v5, v[8:9] offset:3080
	s_branch .LBB94_48
.LBB94_55:
	s_or_b32 exec_lo, exec_lo, s3
	s_lshl_b64 s[0:1], s[30:31], 3
	v_mov_b32_e32 v1, 0
	s_add_u32 s0, s10, s0
	s_addc_u32 s1, s11, s1
	s_mov_b32 s6, exec_lo
	s_load_b128 s[0:3], s[0:1], 0x0
	s_waitcnt lgkmcnt(0)
	s_sub_u32 s4, s2, s0
	s_subb_u32 s5, s3, s1
	s_delay_alu instid0(SALU_CYCLE_1)
	v_cmpx_gt_i64_e64 s[4:5], v[0:1]
	s_cbranch_execz .LBB94_65
; %bb.56:
	s_sub_u32 s8, s0, s22
	s_subb_u32 s9, s1, 0
	s_and_b32 s6, s4, 7
	s_sub_u32 s0, s0, s2
	s_subb_u32 s1, s1, s3
	s_mov_b32 s7, 0
	v_cmp_lt_u64_e64 s12, s[0:1], -7
	s_and_b32 s2, s4, -8
	s_cmp_lg_u64 s[6:7], 0
	s_mov_b32 s3, s5
	s_cselect_b32 s13, -1, 0
	s_mov_b32 s14, s7
	s_branch .LBB94_58
.LBB94_57:                              ;   in Loop: Header=BB94_58 Depth=1
	s_waitcnt lgkmcnt(1)
	v_add_co_u32 v2, vcc_lo, v2, s22
	v_lshlrev_b64 v[7:8], 3, v[4:5]
	v_add_co_ci_u32_e32 v3, vcc_lo, 0, v3, vcc_lo
	v_add_co_u32 v0, vcc_lo, 0x80, v0
	v_add_co_ci_u32_e32 v1, vcc_lo, 0, v1, vcc_lo
	v_lshlrev_b64 v[4:5], 2, v[4:5]
	v_add_co_u32 v7, vcc_lo, s24, v7
	v_add_co_ci_u32_e32 v8, vcc_lo, s25, v8, vcc_lo
	s_delay_alu instid0(VALU_DEP_4) | instskip(NEXT) | instid1(VALU_DEP_4)
	v_cmp_le_i64_e32 vcc_lo, s[4:5], v[0:1]
	v_add_co_u32 v4, s0, s26, v4
	s_delay_alu instid0(VALU_DEP_1) | instskip(SKIP_4) | instid1(SALU_CYCLE_1)
	v_add_co_ci_u32_e64 v5, s0, s27, v5, s0
	global_store_b64 v[7:8], v[2:3], off
	s_waitcnt lgkmcnt(0)
	global_store_b32 v[4:5], v6, off
	s_or_b32 s14, vcc_lo, s14
	s_and_not1_b32 exec_lo, exec_lo, s14
	s_cbranch_execz .LBB94_65
.LBB94_58:                              ; =>This Loop Header: Depth=1
                                        ;     Child Loop BB94_60 Depth 2
                                        ;     Child Loop BB94_64 Depth 2
	v_lshl_add_u32 v2, v0, 3, 0
	v_lshlrev_b32_e32 v3, 2, v0
	s_and_not1_b32 vcc_lo, exec_lo, s12
	s_mov_b64 s[0:1], 0
	s_delay_alu instid0(VALU_DEP_1)
	v_sub_nc_u32_e32 v4, v2, v3
	ds_load_b64 v[2:3], v2
	ds_load_b32 v6, v4 offset:2048
	v_dual_mov_b32 v4, s8 :: v_dual_mov_b32 v5, s9
	s_cbranch_vccnz .LBB94_62
; %bb.59:                               ;   in Loop: Header=BB94_58 Depth=1
	v_dual_mov_b32 v4, s8 :: v_dual_mov_b32 v5, s9
	s_mov_b64 s[10:11], 0
	s_mov_b32 s1, 0
.LBB94_60:                              ;   Parent Loop BB94_58 Depth=1
                                        ; =>  This Inner Loop Header: Depth=2
	s_delay_alu instid0(SALU_CYCLE_1)
	v_mov_b32_e32 v19, s1
	s_add_u32 s10, s10, 8
	s_addc_u32 s11, s11, 0
	s_add_i32 s1, s1, 64
	s_cmp_eq_u64 s[2:3], s[10:11]
	ds_load_2addr_b64 v[7:10], v19 offset1:1
	ds_load_2addr_b64 v[11:14], v19 offset0:2 offset1:3
	ds_load_2addr_b64 v[15:18], v19 offset0:4 offset1:5
	;; [unrolled: 1-line block ×3, first 2 shown]
	s_waitcnt lgkmcnt(3)
	v_cmp_gt_i64_e32 vcc_lo, v[2:3], v[7:8]
	v_cndmask_b32_e64 v7, 0, 1, vcc_lo
	v_cmp_gt_i64_e32 vcc_lo, v[2:3], v[9:10]
	v_cndmask_b32_e64 v8, 0, 1, vcc_lo
	s_waitcnt lgkmcnt(2)
	v_cmp_gt_i64_e32 vcc_lo, v[2:3], v[11:12]
	v_cndmask_b32_e64 v9, 0, 1, vcc_lo
	v_cmp_gt_i64_e32 vcc_lo, v[2:3], v[13:14]
	v_cndmask_b32_e64 v10, 0, 1, vcc_lo
	s_waitcnt lgkmcnt(1)
	v_cmp_gt_i64_e32 vcc_lo, v[2:3], v[15:16]
	v_cndmask_b32_e64 v11, 0, 1, vcc_lo
	v_add_co_u32 v4, vcc_lo, v4, v7
	v_add_co_ci_u32_e32 v5, vcc_lo, 0, v5, vcc_lo
	v_cmp_gt_i64_e32 vcc_lo, v[2:3], v[17:18]
	s_delay_alu instid0(VALU_DEP_3) | instskip(NEXT) | instid1(VALU_DEP_1)
	v_add_co_u32 v4, s0, v4, v8
	v_add_co_ci_u32_e64 v5, s0, 0, v5, s0
	v_cndmask_b32_e64 v7, 0, 1, vcc_lo
	s_delay_alu instid0(VALU_DEP_3) | instskip(NEXT) | instid1(VALU_DEP_3)
	v_add_co_u32 v4, vcc_lo, v4, v9
	v_add_co_ci_u32_e32 v5, vcc_lo, 0, v5, vcc_lo
	s_waitcnt lgkmcnt(0)
	v_cmp_gt_i64_e32 vcc_lo, v[2:3], v[19:20]
	s_delay_alu instid0(VALU_DEP_3) | instskip(NEXT) | instid1(VALU_DEP_1)
	v_add_co_u32 v4, s0, v4, v10
	v_add_co_ci_u32_e64 v5, s0, 0, v5, s0
	v_cndmask_b32_e64 v8, 0, 1, vcc_lo
	s_delay_alu instid0(VALU_DEP_3) | instskip(NEXT) | instid1(VALU_DEP_3)
	v_add_co_u32 v4, vcc_lo, v4, v11
	v_add_co_ci_u32_e32 v5, vcc_lo, 0, v5, vcc_lo
	v_cmp_gt_i64_e32 vcc_lo, v[2:3], v[21:22]
	s_delay_alu instid0(VALU_DEP_3) | instskip(NEXT) | instid1(VALU_DEP_1)
	v_add_co_u32 v4, s0, v4, v7
	v_add_co_ci_u32_e64 v5, s0, 0, v5, s0
	v_cndmask_b32_e64 v7, 0, 1, vcc_lo
	s_delay_alu instid0(VALU_DEP_3) | instskip(NEXT) | instid1(VALU_DEP_3)
	v_add_co_u32 v4, vcc_lo, v4, v8
	v_add_co_ci_u32_e32 v5, vcc_lo, 0, v5, vcc_lo
	s_delay_alu instid0(VALU_DEP_2) | instskip(NEXT) | instid1(VALU_DEP_2)
	v_add_co_u32 v4, vcc_lo, v4, v7
	v_add_co_ci_u32_e32 v5, vcc_lo, 0, v5, vcc_lo
	s_cbranch_scc0 .LBB94_60
; %bb.61:                               ;   in Loop: Header=BB94_58 Depth=1
	s_mov_b64 s[0:1], s[2:3]
.LBB94_62:                              ;   in Loop: Header=BB94_58 Depth=1
	s_and_not1_b32 vcc_lo, exec_lo, s13
	s_cbranch_vccnz .LBB94_57
; %bb.63:                               ;   in Loop: Header=BB94_58 Depth=1
	s_lshl_b32 s0, s0, 3
	s_delay_alu instid0(SALU_CYCLE_1)
	s_add_i32 s10, s0, 0
	s_mov_b64 s[0:1], s[6:7]
.LBB94_64:                              ;   Parent Loop BB94_58 Depth=1
                                        ; =>  This Inner Loop Header: Depth=2
	v_mov_b32_e32 v7, s10
	s_add_i32 s10, s10, 8
	s_add_u32 s0, s0, -1
	s_addc_u32 s1, s1, -1
	s_delay_alu instid0(SALU_CYCLE_1) | instskip(SKIP_4) | instid1(VALU_DEP_1)
	s_cmp_lg_u64 s[0:1], 0
	ds_load_b64 v[7:8], v7
	s_waitcnt lgkmcnt(0)
	v_cmp_gt_i64_e32 vcc_lo, v[2:3], v[7:8]
	v_cndmask_b32_e64 v7, 0, 1, vcc_lo
	v_add_co_u32 v4, vcc_lo, v4, v7
	v_add_co_ci_u32_e32 v5, vcc_lo, 0, v5, vcc_lo
	s_cbranch_scc1 .LBB94_64
	s_branch .LBB94_57
.LBB94_65:
	s_nop 0
	s_sendmsg sendmsg(MSG_DEALLOC_VGPRS)
	s_endpgm
	.section	.rodata,"a",@progbits
	.p2align	6, 0x0
	.amdhsa_kernel _ZN9rocsparseL26csrgemm_fill_block_per_rowILj128ELj16ELj256ELj137ELj64EllfEEvT5_PKS1_S3_NS_24const_host_device_scalarIT6_EEPKT4_S3_PKS5_S9_S3_SB_S6_S9_S3_SB_S9_PS1_PS5_21rocsparse_index_base_SE_SE_SE_bbb
		.amdhsa_group_segment_fixed_size 0
		.amdhsa_private_segment_fixed_size 0
		.amdhsa_kernarg_size 156
		.amdhsa_user_sgpr_count 15
		.amdhsa_user_sgpr_dispatch_ptr 0
		.amdhsa_user_sgpr_queue_ptr 0
		.amdhsa_user_sgpr_kernarg_segment_ptr 1
		.amdhsa_user_sgpr_dispatch_id 0
		.amdhsa_user_sgpr_private_segment_size 0
		.amdhsa_wavefront_size32 1
		.amdhsa_uses_dynamic_stack 0
		.amdhsa_enable_private_segment 0
		.amdhsa_system_sgpr_workgroup_id_x 1
		.amdhsa_system_sgpr_workgroup_id_y 0
		.amdhsa_system_sgpr_workgroup_id_z 0
		.amdhsa_system_sgpr_workgroup_info 0
		.amdhsa_system_vgpr_workitem_id 0
		.amdhsa_next_free_vgpr 23
		.amdhsa_next_free_sgpr 45
		.amdhsa_reserve_vcc 1
		.amdhsa_float_round_mode_32 0
		.amdhsa_float_round_mode_16_64 0
		.amdhsa_float_denorm_mode_32 3
		.amdhsa_float_denorm_mode_16_64 3
		.amdhsa_dx10_clamp 1
		.amdhsa_ieee_mode 1
		.amdhsa_fp16_overflow 0
		.amdhsa_workgroup_processor_mode 1
		.amdhsa_memory_ordered 1
		.amdhsa_forward_progress 0
		.amdhsa_shared_vgpr_count 0
		.amdhsa_exception_fp_ieee_invalid_op 0
		.amdhsa_exception_fp_denorm_src 0
		.amdhsa_exception_fp_ieee_div_zero 0
		.amdhsa_exception_fp_ieee_overflow 0
		.amdhsa_exception_fp_ieee_underflow 0
		.amdhsa_exception_fp_ieee_inexact 0
		.amdhsa_exception_int_div_zero 0
	.end_amdhsa_kernel
	.section	.text._ZN9rocsparseL26csrgemm_fill_block_per_rowILj128ELj16ELj256ELj137ELj64EllfEEvT5_PKS1_S3_NS_24const_host_device_scalarIT6_EEPKT4_S3_PKS5_S9_S3_SB_S6_S9_S3_SB_S9_PS1_PS5_21rocsparse_index_base_SE_SE_SE_bbb,"axG",@progbits,_ZN9rocsparseL26csrgemm_fill_block_per_rowILj128ELj16ELj256ELj137ELj64EllfEEvT5_PKS1_S3_NS_24const_host_device_scalarIT6_EEPKT4_S3_PKS5_S9_S3_SB_S6_S9_S3_SB_S9_PS1_PS5_21rocsparse_index_base_SE_SE_SE_bbb,comdat
.Lfunc_end94:
	.size	_ZN9rocsparseL26csrgemm_fill_block_per_rowILj128ELj16ELj256ELj137ELj64EllfEEvT5_PKS1_S3_NS_24const_host_device_scalarIT6_EEPKT4_S3_PKS5_S9_S3_SB_S6_S9_S3_SB_S9_PS1_PS5_21rocsparse_index_base_SE_SE_SE_bbb, .Lfunc_end94-_ZN9rocsparseL26csrgemm_fill_block_per_rowILj128ELj16ELj256ELj137ELj64EllfEEvT5_PKS1_S3_NS_24const_host_device_scalarIT6_EEPKT4_S3_PKS5_S9_S3_SB_S6_S9_S3_SB_S9_PS1_PS5_21rocsparse_index_base_SE_SE_SE_bbb
                                        ; -- End function
	.section	.AMDGPU.csdata,"",@progbits
; Kernel info:
; codeLenInByte = 2916
; NumSgprs: 47
; NumVgprs: 23
; ScratchSize: 0
; MemoryBound: 0
; FloatMode: 240
; IeeeMode: 1
; LDSByteSize: 0 bytes/workgroup (compile time only)
; SGPRBlocks: 5
; VGPRBlocks: 2
; NumSGPRsForWavesPerEU: 47
; NumVGPRsForWavesPerEU: 23
; Occupancy: 16
; WaveLimiterHint : 1
; COMPUTE_PGM_RSRC2:SCRATCH_EN: 0
; COMPUTE_PGM_RSRC2:USER_SGPR: 15
; COMPUTE_PGM_RSRC2:TRAP_HANDLER: 0
; COMPUTE_PGM_RSRC2:TGID_X_EN: 1
; COMPUTE_PGM_RSRC2:TGID_Y_EN: 0
; COMPUTE_PGM_RSRC2:TGID_Z_EN: 0
; COMPUTE_PGM_RSRC2:TIDIG_COMP_CNT: 0
	.section	.text._ZN9rocsparseL26csrgemm_fill_block_per_rowILj256ELj32ELj512ELj137ELj32EllfEEvT5_PKS1_S3_NS_24const_host_device_scalarIT6_EEPKT4_S3_PKS5_S9_S3_SB_S6_S9_S3_SB_S9_PS1_PS5_21rocsparse_index_base_SE_SE_SE_bbb,"axG",@progbits,_ZN9rocsparseL26csrgemm_fill_block_per_rowILj256ELj32ELj512ELj137ELj32EllfEEvT5_PKS1_S3_NS_24const_host_device_scalarIT6_EEPKT4_S3_PKS5_S9_S3_SB_S6_S9_S3_SB_S9_PS1_PS5_21rocsparse_index_base_SE_SE_SE_bbb,comdat
	.globl	_ZN9rocsparseL26csrgemm_fill_block_per_rowILj256ELj32ELj512ELj137ELj32EllfEEvT5_PKS1_S3_NS_24const_host_device_scalarIT6_EEPKT4_S3_PKS5_S9_S3_SB_S6_S9_S3_SB_S9_PS1_PS5_21rocsparse_index_base_SE_SE_SE_bbb ; -- Begin function _ZN9rocsparseL26csrgemm_fill_block_per_rowILj256ELj32ELj512ELj137ELj32EllfEEvT5_PKS1_S3_NS_24const_host_device_scalarIT6_EEPKT4_S3_PKS5_S9_S3_SB_S6_S9_S3_SB_S9_PS1_PS5_21rocsparse_index_base_SE_SE_SE_bbb
	.p2align	8
	.type	_ZN9rocsparseL26csrgemm_fill_block_per_rowILj256ELj32ELj512ELj137ELj32EllfEEvT5_PKS1_S3_NS_24const_host_device_scalarIT6_EEPKT4_S3_PKS5_S9_S3_SB_S6_S9_S3_SB_S9_PS1_PS5_21rocsparse_index_base_SE_SE_SE_bbb,@function
_ZN9rocsparseL26csrgemm_fill_block_per_rowILj256ELj32ELj512ELj137ELj32EllfEEvT5_PKS1_S3_NS_24const_host_device_scalarIT6_EEPKT4_S3_PKS5_S9_S3_SB_S6_S9_S3_SB_S9_PS1_PS5_21rocsparse_index_base_SE_SE_SE_bbb: ; @_ZN9rocsparseL26csrgemm_fill_block_per_rowILj256ELj32ELj512ELj137ELj32EllfEEvT5_PKS1_S3_NS_24const_host_device_scalarIT6_EEPKT4_S3_PKS5_S9_S3_SB_S6_S9_S3_SB_S9_PS1_PS5_21rocsparse_index_base_SE_SE_SE_bbb
; %bb.0:
	s_clause 0x2
	s_load_b32 s3, s[0:1], 0x98
	s_load_b64 s[6:7], s[0:1], 0x18
	s_load_b64 s[4:5], s[0:1], 0x50
	s_mov_b32 s2, s15
	s_waitcnt lgkmcnt(0)
	s_bitcmp1_b32 s3, 0
	s_cselect_b32 s40, -1, 0
	s_bitcmp1_b32 s3, 16
	s_cselect_b32 s8, -1, 0
	s_xor_b32 s9, s40, -1
	s_delay_alu instid0(SALU_CYCLE_1) | instskip(NEXT) | instid1(SALU_CYCLE_1)
	s_or_b32 s9, s9, s8
	s_and_b32 vcc_lo, exec_lo, s9
	s_cbranch_vccnz .LBB95_2
; %bb.1:
	s_load_b32 s6, s[6:7], 0x0
	s_waitcnt lgkmcnt(0)
	v_mov_b32_e32 v16, s6
	s_branch .LBB95_3
.LBB95_2:
	v_cndmask_b32_e64 v16, 0, s6, s40
.LBB95_3:
	s_load_b128 s[20:23], s[0:1], 0x88
	s_bitcmp1_b32 s3, 8
	s_cselect_b32 s33, -1, 0
	s_delay_alu instid0(SALU_CYCLE_1) | instskip(NEXT) | instid1(SALU_CYCLE_1)
	s_xor_b32 s3, s33, -1
	s_or_b32 s3, s3, s8
	s_delay_alu instid0(SALU_CYCLE_1)
	s_and_b32 vcc_lo, exec_lo, s3
	s_cbranch_vccnz .LBB95_5
; %bb.4:
	s_load_b32 s3, s[4:5], 0x0
	s_waitcnt lgkmcnt(0)
	v_mov_b32_e32 v13, s3
	s_branch .LBB95_6
.LBB95_5:
	v_cndmask_b32_e64 v13, 0, s4, s33
.LBB95_6:
	s_clause 0x5
	s_load_b128 s[24:27], s[0:1], 0x78
	s_load_b256 s[4:11], s[0:1], 0x58
	s_load_b128 s[36:39], s[0:1], 0x40
	s_load_b128 s[28:31], s[0:1], 0x0
	s_load_b64 s[34:35], s[0:1], 0x10
	s_load_b256 s[12:19], s[0:1], 0x20
	v_cmp_gt_u32_e64 s0, 0x200, v0
	v_lshlrev_b32_e32 v14, 2, v0
	v_or_b32_e32 v11, 0xffffff00, v0
	v_lshl_add_u32 v12, v0, 3, 0
	s_delay_alu instid0(VALU_DEP_4)
	s_and_saveexec_b32 s1, s0
	s_cbranch_execz .LBB95_9
; %bb.7:
	v_add3_u32 v3, v14, 0, 0x1000
	v_or_b32_e32 v4, 0xffffff00, v0
	v_lshl_add_u32 v5, v0, 3, 0
	s_waitcnt lgkmcnt(0)
	v_dual_mov_b32 v1, s28 :: v_dual_mov_b32 v2, s29
	v_mov_b32_e32 v6, 0
	s_mov_b32 s3, 0
.LBB95_8:                               ; =>This Inner Loop Header: Depth=1
	v_add_co_u32 v4, s41, 0x100, v4
	s_delay_alu instid0(VALU_DEP_1)
	s_xor_b32 s41, s41, -1
	ds_store_b64 v5, v[1:2]
	ds_store_b32 v3, v6
	v_add_nc_u32_e32 v3, 0x400, v3
	v_add_nc_u32_e32 v5, 0x800, v5
	s_and_b32 s41, exec_lo, s41
	s_delay_alu instid0(SALU_CYCLE_1) | instskip(NEXT) | instid1(SALU_CYCLE_1)
	s_or_b32 s3, s41, s3
	s_and_not1_b32 exec_lo, exec_lo, s3
	s_cbranch_execnz .LBB95_8
.LBB95_9:
	s_or_b32 exec_lo, exec_lo, s1
	s_waitcnt lgkmcnt(0)
	s_barrier
	buffer_gl0_inv
	s_load_b64 s[30:31], s[30:31], 0x0
	s_mov_b32 s3, 0
	v_lshrrev_b32_e32 v15, 5, v0
	s_waitcnt lgkmcnt(0)
	s_lshl_b64 s[30:31], s[30:31], 3
	s_delay_alu instid0(SALU_CYCLE_1) | instskip(SKIP_2) | instid1(SALU_CYCLE_1)
	s_add_u32 s1, s34, s30
	s_addc_u32 s30, s35, s31
	s_lshl_b64 s[2:3], s[2:3], 3
	s_add_u32 s2, s1, s2
	s_addc_u32 s3, s30, s3
	s_and_b32 vcc_lo, exec_lo, s40
	s_load_b64 s[30:31], s[2:3], 0x0
	s_cbranch_vccz .LBB95_29
; %bb.10:
	s_waitcnt lgkmcnt(0)
	s_lshl_b64 s[2:3], s[30:31], 3
	v_sub_co_u32 v1, s1, v15, s20
	s_add_u32 s2, s12, s2
	s_addc_u32 s3, s13, s3
	v_sub_co_ci_u32_e64 v2, null, 0, 0, s1
	s_load_b128 s[40:43], s[2:3], 0x0
	s_mov_b32 s1, exec_lo
	s_waitcnt lgkmcnt(0)
	v_add_co_u32 v1, vcc_lo, s40, v1
	v_add_co_ci_u32_e32 v2, vcc_lo, s41, v2, vcc_lo
	s_sub_u32 s2, s42, s20
	s_subb_u32 s3, s43, 0
	s_delay_alu instid0(VALU_DEP_1) | instid1(SALU_CYCLE_1)
	v_cmpx_gt_i64_e64 s[2:3], v[1:2]
	s_cbranch_execz .LBB95_28
; %bb.11:
	v_and_b32_e32 v3, 31, v0
	s_mov_b32 s13, s21
	s_delay_alu instid0(VALU_DEP_1) | instskip(NEXT) | instid1(VALU_DEP_1)
	v_sub_co_u32 v17, s12, v3, s21
	v_sub_co_ci_u32_e64 v18, null, 0, 0, s12
	s_mov_b32 s12, 0
	s_branch .LBB95_13
.LBB95_12:                              ;   in Loop: Header=BB95_13 Depth=1
	s_or_b32 exec_lo, exec_lo, s21
	v_add_co_u32 v1, vcc_lo, v1, 8
	v_add_co_ci_u32_e32 v2, vcc_lo, 0, v2, vcc_lo
	s_delay_alu instid0(VALU_DEP_1) | instskip(SKIP_1) | instid1(SALU_CYCLE_1)
	v_cmp_le_i64_e32 vcc_lo, s[2:3], v[1:2]
	s_or_b32 s12, vcc_lo, s12
	s_and_not1_b32 exec_lo, exec_lo, s12
	s_cbranch_execz .LBB95_28
.LBB95_13:                              ; =>This Loop Header: Depth=1
                                        ;     Child Loop BB95_16 Depth 2
                                        ;       Child Loop BB95_18 Depth 3
	v_lshlrev_b64 v[3:4], 3, v[1:2]
	s_mov_b32 s21, exec_lo
	s_delay_alu instid0(VALU_DEP_1) | instskip(NEXT) | instid1(VALU_DEP_2)
	v_add_co_u32 v3, vcc_lo, s14, v3
	v_add_co_ci_u32_e32 v4, vcc_lo, s15, v4, vcc_lo
	global_load_b64 v[3:4], v[3:4], off
	s_waitcnt vmcnt(0)
	v_sub_co_u32 v3, vcc_lo, v3, s20
	v_subrev_co_ci_u32_e32 v4, vcc_lo, 0, v4, vcc_lo
	s_delay_alu instid0(VALU_DEP_1) | instskip(NEXT) | instid1(VALU_DEP_1)
	v_lshlrev_b64 v[3:4], 3, v[3:4]
	v_add_co_u32 v3, vcc_lo, s18, v3
	s_delay_alu instid0(VALU_DEP_2)
	v_add_co_ci_u32_e32 v4, vcc_lo, s19, v4, vcc_lo
	global_load_b128 v[5:8], v[3:4], off
	s_waitcnt vmcnt(0)
	v_sub_co_u32 v3, vcc_lo, v7, s13
	v_subrev_co_ci_u32_e32 v4, vcc_lo, 0, v8, vcc_lo
	v_add_co_u32 v5, vcc_lo, v5, v17
	v_add_co_ci_u32_e32 v6, vcc_lo, v6, v18, vcc_lo
	s_delay_alu instid0(VALU_DEP_1)
	v_cmpx_lt_i64_e64 v[5:6], v[3:4]
	s_cbranch_execz .LBB95_12
; %bb.14:                               ;   in Loop: Header=BB95_13 Depth=1
	v_lshlrev_b64 v[7:8], 2, v[1:2]
	s_mov_b32 s34, 0
	s_delay_alu instid0(VALU_DEP_1) | instskip(NEXT) | instid1(VALU_DEP_2)
	v_add_co_u32 v7, vcc_lo, s16, v7
	v_add_co_ci_u32_e32 v8, vcc_lo, s17, v8, vcc_lo
	global_load_b32 v7, v[7:8], off
	s_waitcnt vmcnt(0)
	v_mul_f32_e32 v19, v16, v7
	s_branch .LBB95_16
.LBB95_15:                              ;   in Loop: Header=BB95_16 Depth=2
	s_or_b32 exec_lo, exec_lo, s35
	v_add_co_u32 v5, vcc_lo, v5, 32
	v_add_co_ci_u32_e32 v6, vcc_lo, 0, v6, vcc_lo
	s_delay_alu instid0(VALU_DEP_1) | instskip(SKIP_1) | instid1(SALU_CYCLE_1)
	v_cmp_ge_i64_e32 vcc_lo, v[5:6], v[3:4]
	s_or_b32 s34, vcc_lo, s34
	s_and_not1_b32 exec_lo, exec_lo, s34
	s_cbranch_execz .LBB95_12
.LBB95_16:                              ;   Parent Loop BB95_13 Depth=1
                                        ; =>  This Loop Header: Depth=2
                                        ;       Child Loop BB95_18 Depth 3
	v_lshlrev_b64 v[7:8], 3, v[5:6]
	v_lshlrev_b64 v[9:10], 2, v[5:6]
	s_mov_b32 s35, 0
	s_delay_alu instid0(VALU_DEP_2) | instskip(NEXT) | instid1(VALU_DEP_3)
	v_add_co_u32 v7, vcc_lo, s36, v7
	v_add_co_ci_u32_e32 v8, vcc_lo, s37, v8, vcc_lo
	s_delay_alu instid0(VALU_DEP_3) | instskip(NEXT) | instid1(VALU_DEP_4)
	v_add_co_u32 v9, vcc_lo, s38, v9
	v_add_co_ci_u32_e32 v10, vcc_lo, s39, v10, vcc_lo
	global_load_b64 v[7:8], v[7:8], off
	global_load_b32 v9, v[9:10], off
	s_waitcnt vmcnt(1)
	v_sub_co_u32 v7, vcc_lo, v7, s13
	v_subrev_co_ci_u32_e32 v8, vcc_lo, 0, v8, vcc_lo
	s_delay_alu instid0(VALU_DEP_2) | instskip(SKIP_1) | instid1(VALU_DEP_1)
	v_mul_lo_u32 v10, 0x89, v7
	s_waitcnt vmcnt(0)
	v_dual_mul_f32 v20, v19, v9 :: v_dual_and_b32 v21, 0x1ff, v10
	s_branch .LBB95_18
.LBB95_17:                              ;   in Loop: Header=BB95_18 Depth=3
	s_or_b32 exec_lo, exec_lo, s40
	s_xor_b32 s40, s41, -1
	s_delay_alu instid0(SALU_CYCLE_1) | instskip(NEXT) | instid1(SALU_CYCLE_1)
	s_and_b32 s40, exec_lo, s40
	s_or_b32 s35, s40, s35
	s_delay_alu instid0(SALU_CYCLE_1)
	s_and_not1_b32 exec_lo, exec_lo, s35
	s_cbranch_execz .LBB95_15
.LBB95_18:                              ;   Parent Loop BB95_13 Depth=1
                                        ;     Parent Loop BB95_16 Depth=2
                                        ; =>    This Inner Loop Header: Depth=3
	s_delay_alu instid0(VALU_DEP_1)
	v_lshl_add_u32 v22, v21, 3, 0
	s_mov_b32 s40, exec_lo
                                        ; implicit-def: $sgpr41
	ds_load_b64 v[9:10], v22
	s_waitcnt lgkmcnt(0)
	v_cmpx_ne_u64_e64 v[9:10], v[7:8]
	s_xor_b32 s40, exec_lo, s40
	s_cbranch_execz .LBB95_26
; %bb.19:                               ;   in Loop: Header=BB95_18 Depth=3
	s_mov_b32 s42, exec_lo
                                        ; implicit-def: $sgpr41
	v_cmpx_ne_u64_e64 s[28:29], v[9:10]
	s_xor_b32 s42, exec_lo, s42
; %bb.20:                               ;   in Loop: Header=BB95_18 Depth=3
	v_add_nc_u32_e32 v9, 1, v21
	s_mov_b32 s41, -1
                                        ; implicit-def: $vgpr22
	s_delay_alu instid0(VALU_DEP_1)
	v_and_b32_e32 v21, 0x1ff, v9
; %bb.21:                               ;   in Loop: Header=BB95_18 Depth=3
	s_and_not1_saveexec_b32 s42, s42
	s_cbranch_execz .LBB95_25
; %bb.22:                               ;   in Loop: Header=BB95_18 Depth=3
	v_dual_mov_b32 v9, s28 :: v_dual_mov_b32 v10, s29
	s_mov_b32 s43, -1
	s_mov_b32 s44, exec_lo
	ds_cmpstore_rtn_b64 v[9:10], v22, v[7:8], v[9:10]
	s_waitcnt lgkmcnt(0)
	v_cmpx_eq_u64_e64 s[28:29], v[9:10]
	s_cbranch_execz .LBB95_24
; %bb.23:                               ;   in Loop: Header=BB95_18 Depth=3
	v_lshlrev_b32_e32 v9, 2, v21
	s_xor_b32 s43, exec_lo, -1
	s_delay_alu instid0(VALU_DEP_1)
	v_sub_nc_u32_e32 v9, v22, v9
	ds_add_f32 v9, v20 offset:4096
.LBB95_24:                              ;   in Loop: Header=BB95_18 Depth=3
	s_or_b32 exec_lo, exec_lo, s44
	s_delay_alu instid0(SALU_CYCLE_1) | instskip(SKIP_1) | instid1(SALU_CYCLE_1)
	s_and_not1_b32 s41, s41, exec_lo
	s_and_b32 s43, s43, exec_lo
	s_or_b32 s41, s41, s43
.LBB95_25:                              ;   in Loop: Header=BB95_18 Depth=3
	s_or_b32 exec_lo, exec_lo, s42
	s_delay_alu instid0(SALU_CYCLE_1)
	s_and_b32 s41, s41, exec_lo
                                        ; implicit-def: $vgpr22
.LBB95_26:                              ;   in Loop: Header=BB95_18 Depth=3
	s_and_not1_saveexec_b32 s40, s40
	s_cbranch_execz .LBB95_17
; %bb.27:                               ;   in Loop: Header=BB95_18 Depth=3
	v_lshlrev_b32_e32 v9, 2, v21
	s_and_not1_b32 s41, s41, exec_lo
	s_delay_alu instid0(VALU_DEP_1)
	v_sub_nc_u32_e32 v9, v22, v9
	ds_add_f32 v9, v20 offset:4096
	s_branch .LBB95_17
.LBB95_28:
	s_or_b32 exec_lo, exec_lo, s1
.LBB95_29:
	s_delay_alu instid0(SALU_CYCLE_1)
	s_and_not1_b32 vcc_lo, exec_lo, s33
	s_cbranch_vccnz .LBB95_46
; %bb.30:
	s_waitcnt lgkmcnt(0)
	s_lshl_b64 s[2:3], s[30:31], 3
	v_sub_co_u32 v1, s1, v0, s23
	s_add_u32 s2, s4, s2
	s_addc_u32 s3, s5, s3
	v_sub_co_ci_u32_e64 v2, null, 0, 0, s1
	s_load_b128 s[12:15], s[2:3], 0x0
	s_mov_b32 s1, 0
	s_mov_b32 s4, exec_lo
	s_waitcnt lgkmcnt(0)
	v_add_co_u32 v1, vcc_lo, s12, v1
	v_add_co_ci_u32_e32 v2, vcc_lo, s13, v2, vcc_lo
	s_sub_u32 s2, s14, s23
	s_subb_u32 s3, s15, 0
	s_delay_alu instid0(VALU_DEP_1) | instid1(SALU_CYCLE_1)
	v_cmpx_gt_i64_e64 s[2:3], v[1:2]
	s_cbranch_execz .LBB95_45
; %bb.31:
	s_mov_b32 s5, s23
	s_branch .LBB95_33
.LBB95_32:                              ;   in Loop: Header=BB95_33 Depth=1
	s_or_b32 exec_lo, exec_lo, s12
	v_add_co_u32 v1, vcc_lo, 0x100, v1
	v_add_co_ci_u32_e32 v2, vcc_lo, 0, v2, vcc_lo
	s_delay_alu instid0(VALU_DEP_1) | instskip(SKIP_1) | instid1(SALU_CYCLE_1)
	v_cmp_le_i64_e32 vcc_lo, s[2:3], v[1:2]
	s_or_b32 s1, vcc_lo, s1
	s_and_not1_b32 exec_lo, exec_lo, s1
	s_cbranch_execz .LBB95_45
.LBB95_33:                              ; =>This Loop Header: Depth=1
                                        ;     Child Loop BB95_35 Depth 2
	v_lshlrev_b64 v[3:4], 3, v[1:2]
	v_lshlrev_b64 v[5:6], 2, v[1:2]
	s_mov_b32 s12, 0
	s_delay_alu instid0(VALU_DEP_2) | instskip(NEXT) | instid1(VALU_DEP_3)
	v_add_co_u32 v3, vcc_lo, s6, v3
	v_add_co_ci_u32_e32 v4, vcc_lo, s7, v4, vcc_lo
	s_delay_alu instid0(VALU_DEP_3) | instskip(NEXT) | instid1(VALU_DEP_4)
	v_add_co_u32 v5, vcc_lo, s8, v5
	v_add_co_ci_u32_e32 v6, vcc_lo, s9, v6, vcc_lo
	global_load_b64 v[3:4], v[3:4], off
	global_load_b32 v5, v[5:6], off
	s_waitcnt vmcnt(1)
	v_sub_co_u32 v3, vcc_lo, v3, s5
	v_subrev_co_ci_u32_e32 v4, vcc_lo, 0, v4, vcc_lo
	s_delay_alu instid0(VALU_DEP_2) | instskip(SKIP_1) | instid1(VALU_DEP_1)
	v_mul_lo_u32 v6, 0x89, v3
	s_waitcnt vmcnt(0)
	v_dual_mul_f32 v7, v13, v5 :: v_dual_and_b32 v8, 0x1ff, v6
	s_branch .LBB95_35
.LBB95_34:                              ;   in Loop: Header=BB95_35 Depth=2
	s_or_b32 exec_lo, exec_lo, s13
	s_xor_b32 s13, s14, -1
	s_delay_alu instid0(SALU_CYCLE_1) | instskip(NEXT) | instid1(SALU_CYCLE_1)
	s_and_b32 s13, exec_lo, s13
	s_or_b32 s12, s13, s12
	s_delay_alu instid0(SALU_CYCLE_1)
	s_and_not1_b32 exec_lo, exec_lo, s12
	s_cbranch_execz .LBB95_32
.LBB95_35:                              ;   Parent Loop BB95_33 Depth=1
                                        ; =>  This Inner Loop Header: Depth=2
	s_delay_alu instid0(VALU_DEP_1)
	v_lshl_add_u32 v9, v8, 3, 0
	s_mov_b32 s13, exec_lo
                                        ; implicit-def: $sgpr14
	ds_load_b64 v[5:6], v9
	s_waitcnt lgkmcnt(0)
	v_cmpx_ne_u64_e64 v[5:6], v[3:4]
	s_xor_b32 s13, exec_lo, s13
	s_cbranch_execz .LBB95_43
; %bb.36:                               ;   in Loop: Header=BB95_35 Depth=2
	s_mov_b32 s15, exec_lo
                                        ; implicit-def: $sgpr14
	v_cmpx_ne_u64_e64 s[28:29], v[5:6]
	s_xor_b32 s15, exec_lo, s15
; %bb.37:                               ;   in Loop: Header=BB95_35 Depth=2
	v_add_nc_u32_e32 v5, 1, v8
	s_mov_b32 s14, -1
                                        ; implicit-def: $vgpr9
	s_delay_alu instid0(VALU_DEP_1)
	v_and_b32_e32 v8, 0x1ff, v5
; %bb.38:                               ;   in Loop: Header=BB95_35 Depth=2
	s_and_not1_saveexec_b32 s15, s15
	s_cbranch_execz .LBB95_42
; %bb.39:                               ;   in Loop: Header=BB95_35 Depth=2
	v_dual_mov_b32 v5, s28 :: v_dual_mov_b32 v6, s29
	s_mov_b32 s16, -1
	s_mov_b32 s17, exec_lo
	ds_cmpstore_rtn_b64 v[5:6], v9, v[3:4], v[5:6]
	s_waitcnt lgkmcnt(0)
	v_cmpx_eq_u64_e64 s[28:29], v[5:6]
	s_cbranch_execz .LBB95_41
; %bb.40:                               ;   in Loop: Header=BB95_35 Depth=2
	v_lshlrev_b32_e32 v5, 2, v8
	s_xor_b32 s16, exec_lo, -1
	s_delay_alu instid0(VALU_DEP_1)
	v_sub_nc_u32_e32 v5, v9, v5
	ds_add_f32 v5, v7 offset:4096
.LBB95_41:                              ;   in Loop: Header=BB95_35 Depth=2
	s_or_b32 exec_lo, exec_lo, s17
	s_delay_alu instid0(SALU_CYCLE_1) | instskip(SKIP_1) | instid1(SALU_CYCLE_1)
	s_and_not1_b32 s14, s14, exec_lo
	s_and_b32 s16, s16, exec_lo
	s_or_b32 s14, s14, s16
.LBB95_42:                              ;   in Loop: Header=BB95_35 Depth=2
	s_or_b32 exec_lo, exec_lo, s15
	s_delay_alu instid0(SALU_CYCLE_1)
	s_and_b32 s14, s14, exec_lo
                                        ; implicit-def: $vgpr9
.LBB95_43:                              ;   in Loop: Header=BB95_35 Depth=2
	s_and_not1_saveexec_b32 s13, s13
	s_cbranch_execz .LBB95_34
; %bb.44:                               ;   in Loop: Header=BB95_35 Depth=2
	v_lshlrev_b32_e32 v5, 2, v8
	s_and_not1_b32 s14, s14, exec_lo
	s_delay_alu instid0(VALU_DEP_1)
	v_sub_nc_u32_e32 v5, v9, v5
	ds_add_f32 v5, v7 offset:4096
	s_branch .LBB95_34
.LBB95_45:
	s_or_b32 exec_lo, exec_lo, s4
.LBB95_46:
	s_waitcnt lgkmcnt(0)
	s_barrier
	buffer_gl0_inv
	s_and_saveexec_b32 s8, s0
	s_cbranch_execz .LBB95_67
; %bb.47:
	v_mbcnt_lo_u32_b32 v1, -1, 0
	v_lshl_add_u32 v10, v15, 3, 0
	v_cmp_eq_u32_e32 vcc_lo, 0xff, v0
	v_cmp_lt_u32_e64 s0, 31, v0
	v_cmp_lt_u32_e64 s1, 63, v0
	v_xor_b32_e32 v1, 63, v1
	v_cmp_lt_u32_e64 s2, 0x5f, v0
	v_cmp_lt_u32_e64 s3, 0x7f, v0
	;; [unrolled: 1-line block ×4, first 2 shown]
	v_lshrrev_b64 v[1:2], v1, -1
	v_dual_mov_b32 v2, 0 :: v_dual_mov_b32 v5, 0
	v_cmp_lt_u32_e64 s6, 0xdf, v0
	v_add3_u32 v13, v14, 0, 0x1000
	v_mov_b32_e32 v3, 0
	s_mov_b32 s9, 0
	s_branch .LBB95_49
.LBB95_48:                              ;   in Loop: Header=BB95_49 Depth=1
	s_or_b32 exec_lo, exec_lo, s7
	s_waitcnt lgkmcnt(0)
	s_barrier
	buffer_gl0_inv
	ds_load_b64 v[6:7], v5 offset:6200
	v_add_co_u32 v11, s7, 0x100, v11
	s_delay_alu instid0(VALU_DEP_1) | instskip(SKIP_4) | instid1(VALU_DEP_1)
	s_xor_b32 s12, s7, -1
	v_add_nc_u32_e32 v13, 0x400, v13
	v_add_nc_u32_e32 v12, 0x800, v12
	s_waitcnt lgkmcnt(0)
	v_add_co_u32 v2, s7, v6, v2
	v_add_co_ci_u32_e64 v3, s7, v7, v3, s7
	s_and_b32 s7, exec_lo, s12
	s_delay_alu instid0(SALU_CYCLE_1) | instskip(NEXT) | instid1(SALU_CYCLE_1)
	s_or_b32 s9, s7, s9
	s_and_not1_b32 exec_lo, exec_lo, s9
	s_cbranch_execz .LBB95_67
.LBB95_49:                              ; =>This Inner Loop Header: Depth=1
	ds_load_b64 v[6:7], v12
	ds_load_b32 v14, v13
	s_waitcnt lgkmcnt(0)
	s_barrier
	buffer_gl0_inv
	v_cmp_gt_i64_e64 s7, s[28:29], v[6:7]
	s_delay_alu instid0(VALU_DEP_1) | instskip(SKIP_1) | instid1(SALU_CYCLE_1)
	v_and_b32_e32 v8, s7, v1
	s_bcnt1_i32_b32 s12, s7
	v_mov_b32_e32 v4, s12
	s_delay_alu instid0(VALU_DEP_2)
	v_bcnt_u32_b32 v8, v8, 0
	ds_store_b64 v10, v[4:5] offset:6144
	s_waitcnt lgkmcnt(0)
	s_barrier
	buffer_gl0_inv
	s_and_saveexec_b32 s12, s0
	s_cbranch_execnz .LBB95_58
; %bb.50:                               ;   in Loop: Header=BB95_49 Depth=1
	s_or_b32 exec_lo, exec_lo, s12
	s_and_saveexec_b32 s12, s1
	s_cbranch_execnz .LBB95_59
.LBB95_51:                              ;   in Loop: Header=BB95_49 Depth=1
	s_or_b32 exec_lo, exec_lo, s12
	s_and_saveexec_b32 s12, s2
	s_cbranch_execnz .LBB95_60
.LBB95_52:                              ;   in Loop: Header=BB95_49 Depth=1
	s_or_b32 exec_lo, exec_lo, s12
	s_and_saveexec_b32 s12, s3
	s_cbranch_execnz .LBB95_61
.LBB95_53:                              ;   in Loop: Header=BB95_49 Depth=1
	s_or_b32 exec_lo, exec_lo, s12
	s_and_saveexec_b32 s12, s4
	s_cbranch_execnz .LBB95_62
.LBB95_54:                              ;   in Loop: Header=BB95_49 Depth=1
	s_or_b32 exec_lo, exec_lo, s12
	s_and_saveexec_b32 s12, s5
	s_cbranch_execnz .LBB95_63
.LBB95_55:                              ;   in Loop: Header=BB95_49 Depth=1
	s_or_b32 exec_lo, exec_lo, s12
	s_and_saveexec_b32 s12, s6
	s_cbranch_execnz .LBB95_64
.LBB95_56:                              ;   in Loop: Header=BB95_49 Depth=1
	s_or_b32 exec_lo, exec_lo, s12
	v_ashrrev_i32_e32 v9, 31, v8
	s_and_saveexec_b32 s12, s7
	s_cbranch_execnz .LBB95_65
.LBB95_57:                              ;   in Loop: Header=BB95_49 Depth=1
	s_or_b32 exec_lo, exec_lo, s12
	s_and_saveexec_b32 s7, vcc_lo
	s_cbranch_execz .LBB95_48
	s_branch .LBB95_66
.LBB95_58:                              ;   in Loop: Header=BB95_49 Depth=1
	ds_load_b32 v4, v5 offset:6144
	s_waitcnt lgkmcnt(0)
	v_add_nc_u32_e32 v8, v4, v8
	s_or_b32 exec_lo, exec_lo, s12
	s_and_saveexec_b32 s12, s1
	s_cbranch_execz .LBB95_51
.LBB95_59:                              ;   in Loop: Header=BB95_49 Depth=1
	ds_load_b32 v4, v5 offset:6152
	s_waitcnt lgkmcnt(0)
	v_add_nc_u32_e32 v8, v8, v4
	s_or_b32 exec_lo, exec_lo, s12
	s_and_saveexec_b32 s12, s2
	s_cbranch_execz .LBB95_52
.LBB95_60:                              ;   in Loop: Header=BB95_49 Depth=1
	ds_load_b32 v4, v5 offset:6160
	s_waitcnt lgkmcnt(0)
	v_add_nc_u32_e32 v8, v8, v4
	s_or_b32 exec_lo, exec_lo, s12
	s_and_saveexec_b32 s12, s3
	s_cbranch_execz .LBB95_53
.LBB95_61:                              ;   in Loop: Header=BB95_49 Depth=1
	ds_load_b32 v4, v5 offset:6168
	s_waitcnt lgkmcnt(0)
	v_add_nc_u32_e32 v8, v8, v4
	s_or_b32 exec_lo, exec_lo, s12
	s_and_saveexec_b32 s12, s4
	s_cbranch_execz .LBB95_54
.LBB95_62:                              ;   in Loop: Header=BB95_49 Depth=1
	ds_load_b32 v4, v5 offset:6176
	s_waitcnt lgkmcnt(0)
	v_add_nc_u32_e32 v8, v8, v4
	s_or_b32 exec_lo, exec_lo, s12
	s_and_saveexec_b32 s12, s5
	s_cbranch_execz .LBB95_55
.LBB95_63:                              ;   in Loop: Header=BB95_49 Depth=1
	ds_load_b32 v4, v5 offset:6184
	s_waitcnt lgkmcnt(0)
	v_add_nc_u32_e32 v8, v8, v4
	s_or_b32 exec_lo, exec_lo, s12
	s_and_saveexec_b32 s12, s6
	s_cbranch_execz .LBB95_56
.LBB95_64:                              ;   in Loop: Header=BB95_49 Depth=1
	ds_load_b32 v4, v5 offset:6192
	s_waitcnt lgkmcnt(0)
	v_add_nc_u32_e32 v8, v8, v4
	s_or_b32 exec_lo, exec_lo, s12
	s_delay_alu instid0(VALU_DEP_1)
	v_ashrrev_i32_e32 v9, 31, v8
	s_and_saveexec_b32 s12, s7
	s_cbranch_execz .LBB95_57
.LBB95_65:                              ;   in Loop: Header=BB95_49 Depth=1
	v_add3_u32 v4, v2, -1, v8
	s_delay_alu instid0(VALU_DEP_1)
	v_lshl_add_u32 v15, v4, 3, 0
	v_lshl_add_u32 v4, v4, 2, 0
	ds_store_b64 v15, v[6:7]
	ds_store_b32 v4, v14 offset:4096
	s_or_b32 exec_lo, exec_lo, s12
	s_and_saveexec_b32 s7, vcc_lo
	s_cbranch_execz .LBB95_48
.LBB95_66:                              ;   in Loop: Header=BB95_49 Depth=1
	ds_store_b64 v5, v[8:9] offset:6200
	s_branch .LBB95_48
.LBB95_67:
	s_or_b32 exec_lo, exec_lo, s8
	s_lshl_b64 s[0:1], s[30:31], 3
	v_mov_b32_e32 v1, 0
	s_add_u32 s0, s10, s0
	s_addc_u32 s1, s11, s1
	s_mov_b32 s6, exec_lo
	s_load_b128 s[0:3], s[0:1], 0x0
	s_waitcnt lgkmcnt(0)
	s_sub_u32 s4, s2, s0
	s_subb_u32 s5, s3, s1
	s_delay_alu instid0(SALU_CYCLE_1)
	v_cmpx_gt_i64_e64 s[4:5], v[0:1]
	s_cbranch_execz .LBB95_77
; %bb.68:
	s_sub_u32 s8, s0, s22
	s_subb_u32 s9, s1, 0
	s_and_b32 s6, s4, 7
	s_sub_u32 s0, s0, s2
	s_subb_u32 s1, s1, s3
	s_mov_b32 s7, 0
	v_cmp_lt_u64_e64 s12, s[0:1], -7
	s_and_b32 s2, s4, -8
	s_cmp_lg_u64 s[6:7], 0
	s_mov_b32 s3, s5
	s_cselect_b32 s13, -1, 0
	s_mov_b32 s14, s7
	s_branch .LBB95_70
.LBB95_69:                              ;   in Loop: Header=BB95_70 Depth=1
	s_waitcnt lgkmcnt(1)
	v_add_co_u32 v2, vcc_lo, v2, s22
	v_lshlrev_b64 v[7:8], 3, v[4:5]
	v_add_co_ci_u32_e32 v3, vcc_lo, 0, v3, vcc_lo
	v_add_co_u32 v0, vcc_lo, 0x100, v0
	v_add_co_ci_u32_e32 v1, vcc_lo, 0, v1, vcc_lo
	v_lshlrev_b64 v[4:5], 2, v[4:5]
	v_add_co_u32 v7, vcc_lo, s24, v7
	v_add_co_ci_u32_e32 v8, vcc_lo, s25, v8, vcc_lo
	s_delay_alu instid0(VALU_DEP_4) | instskip(NEXT) | instid1(VALU_DEP_4)
	v_cmp_le_i64_e32 vcc_lo, s[4:5], v[0:1]
	v_add_co_u32 v4, s0, s26, v4
	s_delay_alu instid0(VALU_DEP_1) | instskip(SKIP_4) | instid1(SALU_CYCLE_1)
	v_add_co_ci_u32_e64 v5, s0, s27, v5, s0
	global_store_b64 v[7:8], v[2:3], off
	s_waitcnt lgkmcnt(0)
	global_store_b32 v[4:5], v6, off
	s_or_b32 s14, vcc_lo, s14
	s_and_not1_b32 exec_lo, exec_lo, s14
	s_cbranch_execz .LBB95_77
.LBB95_70:                              ; =>This Loop Header: Depth=1
                                        ;     Child Loop BB95_72 Depth 2
                                        ;     Child Loop BB95_76 Depth 2
	v_lshl_add_u32 v2, v0, 3, 0
	v_lshlrev_b32_e32 v3, 2, v0
	s_and_not1_b32 vcc_lo, exec_lo, s12
	s_mov_b64 s[0:1], 0
	s_delay_alu instid0(VALU_DEP_1)
	v_sub_nc_u32_e32 v4, v2, v3
	ds_load_b64 v[2:3], v2
	ds_load_b32 v6, v4 offset:4096
	v_dual_mov_b32 v4, s8 :: v_dual_mov_b32 v5, s9
	s_cbranch_vccnz .LBB95_74
; %bb.71:                               ;   in Loop: Header=BB95_70 Depth=1
	v_dual_mov_b32 v4, s8 :: v_dual_mov_b32 v5, s9
	s_mov_b64 s[10:11], 0
	s_mov_b32 s1, 0
.LBB95_72:                              ;   Parent Loop BB95_70 Depth=1
                                        ; =>  This Inner Loop Header: Depth=2
	s_delay_alu instid0(SALU_CYCLE_1)
	v_mov_b32_e32 v19, s1
	s_add_u32 s10, s10, 8
	s_addc_u32 s11, s11, 0
	s_add_i32 s1, s1, 64
	s_cmp_eq_u64 s[2:3], s[10:11]
	ds_load_2addr_b64 v[7:10], v19 offset1:1
	ds_load_2addr_b64 v[11:14], v19 offset0:2 offset1:3
	ds_load_2addr_b64 v[15:18], v19 offset0:4 offset1:5
	;; [unrolled: 1-line block ×3, first 2 shown]
	s_waitcnt lgkmcnt(3)
	v_cmp_gt_i64_e32 vcc_lo, v[2:3], v[7:8]
	v_cndmask_b32_e64 v7, 0, 1, vcc_lo
	v_cmp_gt_i64_e32 vcc_lo, v[2:3], v[9:10]
	v_cndmask_b32_e64 v8, 0, 1, vcc_lo
	s_waitcnt lgkmcnt(2)
	v_cmp_gt_i64_e32 vcc_lo, v[2:3], v[11:12]
	v_cndmask_b32_e64 v9, 0, 1, vcc_lo
	v_cmp_gt_i64_e32 vcc_lo, v[2:3], v[13:14]
	v_cndmask_b32_e64 v10, 0, 1, vcc_lo
	s_waitcnt lgkmcnt(1)
	v_cmp_gt_i64_e32 vcc_lo, v[2:3], v[15:16]
	v_cndmask_b32_e64 v11, 0, 1, vcc_lo
	v_add_co_u32 v4, vcc_lo, v4, v7
	v_add_co_ci_u32_e32 v5, vcc_lo, 0, v5, vcc_lo
	v_cmp_gt_i64_e32 vcc_lo, v[2:3], v[17:18]
	s_delay_alu instid0(VALU_DEP_3) | instskip(NEXT) | instid1(VALU_DEP_1)
	v_add_co_u32 v4, s0, v4, v8
	v_add_co_ci_u32_e64 v5, s0, 0, v5, s0
	v_cndmask_b32_e64 v7, 0, 1, vcc_lo
	s_delay_alu instid0(VALU_DEP_3) | instskip(NEXT) | instid1(VALU_DEP_3)
	v_add_co_u32 v4, vcc_lo, v4, v9
	v_add_co_ci_u32_e32 v5, vcc_lo, 0, v5, vcc_lo
	s_waitcnt lgkmcnt(0)
	v_cmp_gt_i64_e32 vcc_lo, v[2:3], v[19:20]
	s_delay_alu instid0(VALU_DEP_3) | instskip(NEXT) | instid1(VALU_DEP_1)
	v_add_co_u32 v4, s0, v4, v10
	v_add_co_ci_u32_e64 v5, s0, 0, v5, s0
	v_cndmask_b32_e64 v8, 0, 1, vcc_lo
	s_delay_alu instid0(VALU_DEP_3) | instskip(NEXT) | instid1(VALU_DEP_3)
	v_add_co_u32 v4, vcc_lo, v4, v11
	v_add_co_ci_u32_e32 v5, vcc_lo, 0, v5, vcc_lo
	v_cmp_gt_i64_e32 vcc_lo, v[2:3], v[21:22]
	s_delay_alu instid0(VALU_DEP_3) | instskip(NEXT) | instid1(VALU_DEP_1)
	v_add_co_u32 v4, s0, v4, v7
	v_add_co_ci_u32_e64 v5, s0, 0, v5, s0
	v_cndmask_b32_e64 v7, 0, 1, vcc_lo
	s_delay_alu instid0(VALU_DEP_3) | instskip(NEXT) | instid1(VALU_DEP_3)
	v_add_co_u32 v4, vcc_lo, v4, v8
	v_add_co_ci_u32_e32 v5, vcc_lo, 0, v5, vcc_lo
	s_delay_alu instid0(VALU_DEP_2) | instskip(NEXT) | instid1(VALU_DEP_2)
	v_add_co_u32 v4, vcc_lo, v4, v7
	v_add_co_ci_u32_e32 v5, vcc_lo, 0, v5, vcc_lo
	s_cbranch_scc0 .LBB95_72
; %bb.73:                               ;   in Loop: Header=BB95_70 Depth=1
	s_mov_b64 s[0:1], s[2:3]
.LBB95_74:                              ;   in Loop: Header=BB95_70 Depth=1
	s_and_not1_b32 vcc_lo, exec_lo, s13
	s_cbranch_vccnz .LBB95_69
; %bb.75:                               ;   in Loop: Header=BB95_70 Depth=1
	s_lshl_b32 s0, s0, 3
	s_delay_alu instid0(SALU_CYCLE_1)
	s_add_i32 s10, s0, 0
	s_mov_b64 s[0:1], s[6:7]
.LBB95_76:                              ;   Parent Loop BB95_70 Depth=1
                                        ; =>  This Inner Loop Header: Depth=2
	v_mov_b32_e32 v7, s10
	s_add_i32 s10, s10, 8
	s_add_u32 s0, s0, -1
	s_addc_u32 s1, s1, -1
	s_delay_alu instid0(SALU_CYCLE_1) | instskip(SKIP_4) | instid1(VALU_DEP_1)
	s_cmp_lg_u64 s[0:1], 0
	ds_load_b64 v[7:8], v7
	s_waitcnt lgkmcnt(0)
	v_cmp_gt_i64_e32 vcc_lo, v[2:3], v[7:8]
	v_cndmask_b32_e64 v7, 0, 1, vcc_lo
	v_add_co_u32 v4, vcc_lo, v4, v7
	v_add_co_ci_u32_e32 v5, vcc_lo, 0, v5, vcc_lo
	s_cbranch_scc1 .LBB95_76
	s_branch .LBB95_69
.LBB95_77:
	s_nop 0
	s_sendmsg sendmsg(MSG_DEALLOC_VGPRS)
	s_endpgm
	.section	.rodata,"a",@progbits
	.p2align	6, 0x0
	.amdhsa_kernel _ZN9rocsparseL26csrgemm_fill_block_per_rowILj256ELj32ELj512ELj137ELj32EllfEEvT5_PKS1_S3_NS_24const_host_device_scalarIT6_EEPKT4_S3_PKS5_S9_S3_SB_S6_S9_S3_SB_S9_PS1_PS5_21rocsparse_index_base_SE_SE_SE_bbb
		.amdhsa_group_segment_fixed_size 0
		.amdhsa_private_segment_fixed_size 0
		.amdhsa_kernarg_size 156
		.amdhsa_user_sgpr_count 15
		.amdhsa_user_sgpr_dispatch_ptr 0
		.amdhsa_user_sgpr_queue_ptr 0
		.amdhsa_user_sgpr_kernarg_segment_ptr 1
		.amdhsa_user_sgpr_dispatch_id 0
		.amdhsa_user_sgpr_private_segment_size 0
		.amdhsa_wavefront_size32 1
		.amdhsa_uses_dynamic_stack 0
		.amdhsa_enable_private_segment 0
		.amdhsa_system_sgpr_workgroup_id_x 1
		.amdhsa_system_sgpr_workgroup_id_y 0
		.amdhsa_system_sgpr_workgroup_id_z 0
		.amdhsa_system_sgpr_workgroup_info 0
		.amdhsa_system_vgpr_workitem_id 0
		.amdhsa_next_free_vgpr 23
		.amdhsa_next_free_sgpr 45
		.amdhsa_reserve_vcc 1
		.amdhsa_float_round_mode_32 0
		.amdhsa_float_round_mode_16_64 0
		.amdhsa_float_denorm_mode_32 3
		.amdhsa_float_denorm_mode_16_64 3
		.amdhsa_dx10_clamp 1
		.amdhsa_ieee_mode 1
		.amdhsa_fp16_overflow 0
		.amdhsa_workgroup_processor_mode 1
		.amdhsa_memory_ordered 1
		.amdhsa_forward_progress 0
		.amdhsa_shared_vgpr_count 0
		.amdhsa_exception_fp_ieee_invalid_op 0
		.amdhsa_exception_fp_denorm_src 0
		.amdhsa_exception_fp_ieee_div_zero 0
		.amdhsa_exception_fp_ieee_overflow 0
		.amdhsa_exception_fp_ieee_underflow 0
		.amdhsa_exception_fp_ieee_inexact 0
		.amdhsa_exception_int_div_zero 0
	.end_amdhsa_kernel
	.section	.text._ZN9rocsparseL26csrgemm_fill_block_per_rowILj256ELj32ELj512ELj137ELj32EllfEEvT5_PKS1_S3_NS_24const_host_device_scalarIT6_EEPKT4_S3_PKS5_S9_S3_SB_S6_S9_S3_SB_S9_PS1_PS5_21rocsparse_index_base_SE_SE_SE_bbb,"axG",@progbits,_ZN9rocsparseL26csrgemm_fill_block_per_rowILj256ELj32ELj512ELj137ELj32EllfEEvT5_PKS1_S3_NS_24const_host_device_scalarIT6_EEPKT4_S3_PKS5_S9_S3_SB_S6_S9_S3_SB_S9_PS1_PS5_21rocsparse_index_base_SE_SE_SE_bbb,comdat
.Lfunc_end95:
	.size	_ZN9rocsparseL26csrgemm_fill_block_per_rowILj256ELj32ELj512ELj137ELj32EllfEEvT5_PKS1_S3_NS_24const_host_device_scalarIT6_EEPKT4_S3_PKS5_S9_S3_SB_S6_S9_S3_SB_S9_PS1_PS5_21rocsparse_index_base_SE_SE_SE_bbb, .Lfunc_end95-_ZN9rocsparseL26csrgemm_fill_block_per_rowILj256ELj32ELj512ELj137ELj32EllfEEvT5_PKS1_S3_NS_24const_host_device_scalarIT6_EEPKT4_S3_PKS5_S9_S3_SB_S6_S9_S3_SB_S9_PS1_PS5_21rocsparse_index_base_SE_SE_SE_bbb
                                        ; -- End function
	.section	.AMDGPU.csdata,"",@progbits
; Kernel info:
; codeLenInByte = 3212
; NumSgprs: 47
; NumVgprs: 23
; ScratchSize: 0
; MemoryBound: 0
; FloatMode: 240
; IeeeMode: 1
; LDSByteSize: 0 bytes/workgroup (compile time only)
; SGPRBlocks: 5
; VGPRBlocks: 2
; NumSGPRsForWavesPerEU: 47
; NumVGPRsForWavesPerEU: 23
; Occupancy: 16
; WaveLimiterHint : 1
; COMPUTE_PGM_RSRC2:SCRATCH_EN: 0
; COMPUTE_PGM_RSRC2:USER_SGPR: 15
; COMPUTE_PGM_RSRC2:TRAP_HANDLER: 0
; COMPUTE_PGM_RSRC2:TGID_X_EN: 1
; COMPUTE_PGM_RSRC2:TGID_Y_EN: 0
; COMPUTE_PGM_RSRC2:TGID_Z_EN: 0
; COMPUTE_PGM_RSRC2:TIDIG_COMP_CNT: 0
	.section	.text._ZN9rocsparseL26csrgemm_fill_block_per_rowILj256ELj32ELj512ELj137ELj64EllfEEvT5_PKS1_S3_NS_24const_host_device_scalarIT6_EEPKT4_S3_PKS5_S9_S3_SB_S6_S9_S3_SB_S9_PS1_PS5_21rocsparse_index_base_SE_SE_SE_bbb,"axG",@progbits,_ZN9rocsparseL26csrgemm_fill_block_per_rowILj256ELj32ELj512ELj137ELj64EllfEEvT5_PKS1_S3_NS_24const_host_device_scalarIT6_EEPKT4_S3_PKS5_S9_S3_SB_S6_S9_S3_SB_S9_PS1_PS5_21rocsparse_index_base_SE_SE_SE_bbb,comdat
	.globl	_ZN9rocsparseL26csrgemm_fill_block_per_rowILj256ELj32ELj512ELj137ELj64EllfEEvT5_PKS1_S3_NS_24const_host_device_scalarIT6_EEPKT4_S3_PKS5_S9_S3_SB_S6_S9_S3_SB_S9_PS1_PS5_21rocsparse_index_base_SE_SE_SE_bbb ; -- Begin function _ZN9rocsparseL26csrgemm_fill_block_per_rowILj256ELj32ELj512ELj137ELj64EllfEEvT5_PKS1_S3_NS_24const_host_device_scalarIT6_EEPKT4_S3_PKS5_S9_S3_SB_S6_S9_S3_SB_S9_PS1_PS5_21rocsparse_index_base_SE_SE_SE_bbb
	.p2align	8
	.type	_ZN9rocsparseL26csrgemm_fill_block_per_rowILj256ELj32ELj512ELj137ELj64EllfEEvT5_PKS1_S3_NS_24const_host_device_scalarIT6_EEPKT4_S3_PKS5_S9_S3_SB_S6_S9_S3_SB_S9_PS1_PS5_21rocsparse_index_base_SE_SE_SE_bbb,@function
_ZN9rocsparseL26csrgemm_fill_block_per_rowILj256ELj32ELj512ELj137ELj64EllfEEvT5_PKS1_S3_NS_24const_host_device_scalarIT6_EEPKT4_S3_PKS5_S9_S3_SB_S6_S9_S3_SB_S9_PS1_PS5_21rocsparse_index_base_SE_SE_SE_bbb: ; @_ZN9rocsparseL26csrgemm_fill_block_per_rowILj256ELj32ELj512ELj137ELj64EllfEEvT5_PKS1_S3_NS_24const_host_device_scalarIT6_EEPKT4_S3_PKS5_S9_S3_SB_S6_S9_S3_SB_S9_PS1_PS5_21rocsparse_index_base_SE_SE_SE_bbb
; %bb.0:
	s_clause 0x2
	s_load_b32 s3, s[0:1], 0x98
	s_load_b64 s[6:7], s[0:1], 0x18
	s_load_b64 s[4:5], s[0:1], 0x50
	s_mov_b32 s2, s15
	s_waitcnt lgkmcnt(0)
	s_bitcmp1_b32 s3, 0
	s_cselect_b32 s40, -1, 0
	s_bitcmp1_b32 s3, 16
	s_cselect_b32 s8, -1, 0
	s_xor_b32 s9, s40, -1
	s_delay_alu instid0(SALU_CYCLE_1) | instskip(NEXT) | instid1(SALU_CYCLE_1)
	s_or_b32 s9, s9, s8
	s_and_b32 vcc_lo, exec_lo, s9
	s_cbranch_vccnz .LBB96_2
; %bb.1:
	s_load_b32 s6, s[6:7], 0x0
	s_waitcnt lgkmcnt(0)
	v_mov_b32_e32 v15, s6
	s_branch .LBB96_3
.LBB96_2:
	v_cndmask_b32_e64 v15, 0, s6, s40
.LBB96_3:
	s_load_b128 s[20:23], s[0:1], 0x88
	s_bitcmp1_b32 s3, 8
	s_cselect_b32 s33, -1, 0
	s_delay_alu instid0(SALU_CYCLE_1) | instskip(NEXT) | instid1(SALU_CYCLE_1)
	s_xor_b32 s3, s33, -1
	s_or_b32 s3, s3, s8
	s_delay_alu instid0(SALU_CYCLE_1)
	s_and_b32 vcc_lo, exec_lo, s3
	s_cbranch_vccnz .LBB96_5
; %bb.4:
	s_load_b32 s3, s[4:5], 0x0
	s_waitcnt lgkmcnt(0)
	v_mov_b32_e32 v13, s3
	s_branch .LBB96_6
.LBB96_5:
	v_cndmask_b32_e64 v13, 0, s4, s33
.LBB96_6:
	s_clause 0x5
	s_load_b128 s[24:27], s[0:1], 0x78
	s_load_b256 s[4:11], s[0:1], 0x58
	s_load_b128 s[36:39], s[0:1], 0x40
	s_load_b128 s[28:31], s[0:1], 0x0
	s_load_b64 s[34:35], s[0:1], 0x10
	s_load_b256 s[12:19], s[0:1], 0x20
	v_cmp_gt_u32_e64 s0, 0x200, v0
	v_lshlrev_b32_e32 v14, 2, v0
	v_or_b32_e32 v11, 0xffffff00, v0
	v_lshl_add_u32 v12, v0, 3, 0
	s_delay_alu instid0(VALU_DEP_4)
	s_and_saveexec_b32 s1, s0
	s_cbranch_execz .LBB96_9
; %bb.7:
	v_add3_u32 v3, v14, 0, 0x1000
	v_or_b32_e32 v4, 0xffffff00, v0
	v_lshl_add_u32 v5, v0, 3, 0
	s_waitcnt lgkmcnt(0)
	v_dual_mov_b32 v1, s28 :: v_dual_mov_b32 v2, s29
	v_mov_b32_e32 v6, 0
	s_mov_b32 s3, 0
.LBB96_8:                               ; =>This Inner Loop Header: Depth=1
	v_add_co_u32 v4, s41, 0x100, v4
	s_delay_alu instid0(VALU_DEP_1)
	s_xor_b32 s41, s41, -1
	ds_store_b64 v5, v[1:2]
	ds_store_b32 v3, v6
	v_add_nc_u32_e32 v3, 0x400, v3
	v_add_nc_u32_e32 v5, 0x800, v5
	s_and_b32 s41, exec_lo, s41
	s_delay_alu instid0(SALU_CYCLE_1) | instskip(NEXT) | instid1(SALU_CYCLE_1)
	s_or_b32 s3, s41, s3
	s_and_not1_b32 exec_lo, exec_lo, s3
	s_cbranch_execnz .LBB96_8
.LBB96_9:
	s_or_b32 exec_lo, exec_lo, s1
	s_waitcnt lgkmcnt(0)
	s_barrier
	buffer_gl0_inv
	s_load_b64 s[30:31], s[30:31], 0x0
	s_mov_b32 s3, 0
	s_waitcnt lgkmcnt(0)
	s_lshl_b64 s[30:31], s[30:31], 3
	s_delay_alu instid0(SALU_CYCLE_1) | instskip(SKIP_2) | instid1(SALU_CYCLE_1)
	s_add_u32 s1, s34, s30
	s_addc_u32 s30, s35, s31
	s_lshl_b64 s[2:3], s[2:3], 3
	s_add_u32 s2, s1, s2
	s_addc_u32 s3, s30, s3
	s_and_b32 vcc_lo, exec_lo, s40
	s_load_b64 s[30:31], s[2:3], 0x0
	s_cbranch_vccz .LBB96_29
; %bb.10:
	s_waitcnt lgkmcnt(0)
	s_lshl_b64 s[2:3], s[30:31], 3
	v_lshrrev_b32_e32 v1, 5, v0
	s_add_u32 s2, s12, s2
	s_addc_u32 s3, s13, s3
	s_load_b128 s[40:43], s[2:3], 0x0
	s_delay_alu instid0(VALU_DEP_1) | instskip(NEXT) | instid1(VALU_DEP_1)
	v_sub_co_u32 v1, s1, v1, s20
	v_sub_co_ci_u32_e64 v2, null, 0, 0, s1
	s_mov_b32 s1, exec_lo
	s_waitcnt lgkmcnt(0)
	s_delay_alu instid0(VALU_DEP_2) | instskip(NEXT) | instid1(VALU_DEP_2)
	v_add_co_u32 v1, vcc_lo, s40, v1
	v_add_co_ci_u32_e32 v2, vcc_lo, s41, v2, vcc_lo
	s_sub_u32 s2, s42, s20
	s_subb_u32 s3, s43, 0
	s_delay_alu instid0(VALU_DEP_1) | instid1(SALU_CYCLE_1)
	v_cmpx_gt_i64_e64 s[2:3], v[1:2]
	s_cbranch_execz .LBB96_28
; %bb.11:
	v_and_b32_e32 v3, 31, v0
	s_mov_b32 s13, s21
	s_delay_alu instid0(VALU_DEP_1) | instskip(NEXT) | instid1(VALU_DEP_1)
	v_sub_co_u32 v16, s12, v3, s21
	v_sub_co_ci_u32_e64 v17, null, 0, 0, s12
	s_mov_b32 s12, 0
	s_branch .LBB96_13
.LBB96_12:                              ;   in Loop: Header=BB96_13 Depth=1
	s_or_b32 exec_lo, exec_lo, s21
	v_add_co_u32 v1, vcc_lo, v1, 8
	v_add_co_ci_u32_e32 v2, vcc_lo, 0, v2, vcc_lo
	s_delay_alu instid0(VALU_DEP_1) | instskip(SKIP_1) | instid1(SALU_CYCLE_1)
	v_cmp_le_i64_e32 vcc_lo, s[2:3], v[1:2]
	s_or_b32 s12, vcc_lo, s12
	s_and_not1_b32 exec_lo, exec_lo, s12
	s_cbranch_execz .LBB96_28
.LBB96_13:                              ; =>This Loop Header: Depth=1
                                        ;     Child Loop BB96_16 Depth 2
                                        ;       Child Loop BB96_18 Depth 3
	v_lshlrev_b64 v[3:4], 3, v[1:2]
	s_mov_b32 s21, exec_lo
	s_delay_alu instid0(VALU_DEP_1) | instskip(NEXT) | instid1(VALU_DEP_2)
	v_add_co_u32 v3, vcc_lo, s14, v3
	v_add_co_ci_u32_e32 v4, vcc_lo, s15, v4, vcc_lo
	global_load_b64 v[3:4], v[3:4], off
	s_waitcnt vmcnt(0)
	v_sub_co_u32 v3, vcc_lo, v3, s20
	v_subrev_co_ci_u32_e32 v4, vcc_lo, 0, v4, vcc_lo
	s_delay_alu instid0(VALU_DEP_1) | instskip(NEXT) | instid1(VALU_DEP_1)
	v_lshlrev_b64 v[3:4], 3, v[3:4]
	v_add_co_u32 v3, vcc_lo, s18, v3
	s_delay_alu instid0(VALU_DEP_2)
	v_add_co_ci_u32_e32 v4, vcc_lo, s19, v4, vcc_lo
	global_load_b128 v[5:8], v[3:4], off
	s_waitcnt vmcnt(0)
	v_sub_co_u32 v3, vcc_lo, v7, s13
	v_subrev_co_ci_u32_e32 v4, vcc_lo, 0, v8, vcc_lo
	v_add_co_u32 v5, vcc_lo, v5, v16
	v_add_co_ci_u32_e32 v6, vcc_lo, v6, v17, vcc_lo
	s_delay_alu instid0(VALU_DEP_1)
	v_cmpx_lt_i64_e64 v[5:6], v[3:4]
	s_cbranch_execz .LBB96_12
; %bb.14:                               ;   in Loop: Header=BB96_13 Depth=1
	v_lshlrev_b64 v[7:8], 2, v[1:2]
	s_mov_b32 s34, 0
	s_delay_alu instid0(VALU_DEP_1) | instskip(NEXT) | instid1(VALU_DEP_2)
	v_add_co_u32 v7, vcc_lo, s16, v7
	v_add_co_ci_u32_e32 v8, vcc_lo, s17, v8, vcc_lo
	global_load_b32 v7, v[7:8], off
	s_waitcnt vmcnt(0)
	v_mul_f32_e32 v18, v15, v7
	s_branch .LBB96_16
.LBB96_15:                              ;   in Loop: Header=BB96_16 Depth=2
	s_or_b32 exec_lo, exec_lo, s35
	v_add_co_u32 v5, vcc_lo, v5, 32
	v_add_co_ci_u32_e32 v6, vcc_lo, 0, v6, vcc_lo
	s_delay_alu instid0(VALU_DEP_1) | instskip(SKIP_1) | instid1(SALU_CYCLE_1)
	v_cmp_ge_i64_e32 vcc_lo, v[5:6], v[3:4]
	s_or_b32 s34, vcc_lo, s34
	s_and_not1_b32 exec_lo, exec_lo, s34
	s_cbranch_execz .LBB96_12
.LBB96_16:                              ;   Parent Loop BB96_13 Depth=1
                                        ; =>  This Loop Header: Depth=2
                                        ;       Child Loop BB96_18 Depth 3
	v_lshlrev_b64 v[7:8], 3, v[5:6]
	v_lshlrev_b64 v[9:10], 2, v[5:6]
	s_mov_b32 s35, 0
	s_delay_alu instid0(VALU_DEP_2) | instskip(NEXT) | instid1(VALU_DEP_3)
	v_add_co_u32 v7, vcc_lo, s36, v7
	v_add_co_ci_u32_e32 v8, vcc_lo, s37, v8, vcc_lo
	s_delay_alu instid0(VALU_DEP_3) | instskip(NEXT) | instid1(VALU_DEP_4)
	v_add_co_u32 v9, vcc_lo, s38, v9
	v_add_co_ci_u32_e32 v10, vcc_lo, s39, v10, vcc_lo
	global_load_b64 v[7:8], v[7:8], off
	global_load_b32 v9, v[9:10], off
	s_waitcnt vmcnt(1)
	v_sub_co_u32 v7, vcc_lo, v7, s13
	v_subrev_co_ci_u32_e32 v8, vcc_lo, 0, v8, vcc_lo
	s_delay_alu instid0(VALU_DEP_2) | instskip(SKIP_1) | instid1(VALU_DEP_1)
	v_mul_lo_u32 v10, 0x89, v7
	s_waitcnt vmcnt(0)
	v_dual_mul_f32 v19, v18, v9 :: v_dual_and_b32 v20, 0x1ff, v10
	s_branch .LBB96_18
.LBB96_17:                              ;   in Loop: Header=BB96_18 Depth=3
	s_or_b32 exec_lo, exec_lo, s40
	s_xor_b32 s40, s41, -1
	s_delay_alu instid0(SALU_CYCLE_1) | instskip(NEXT) | instid1(SALU_CYCLE_1)
	s_and_b32 s40, exec_lo, s40
	s_or_b32 s35, s40, s35
	s_delay_alu instid0(SALU_CYCLE_1)
	s_and_not1_b32 exec_lo, exec_lo, s35
	s_cbranch_execz .LBB96_15
.LBB96_18:                              ;   Parent Loop BB96_13 Depth=1
                                        ;     Parent Loop BB96_16 Depth=2
                                        ; =>    This Inner Loop Header: Depth=3
	s_delay_alu instid0(VALU_DEP_1)
	v_lshl_add_u32 v21, v20, 3, 0
	s_mov_b32 s40, exec_lo
                                        ; implicit-def: $sgpr41
	ds_load_b64 v[9:10], v21
	s_waitcnt lgkmcnt(0)
	v_cmpx_ne_u64_e64 v[9:10], v[7:8]
	s_xor_b32 s40, exec_lo, s40
	s_cbranch_execz .LBB96_26
; %bb.19:                               ;   in Loop: Header=BB96_18 Depth=3
	s_mov_b32 s42, exec_lo
                                        ; implicit-def: $sgpr41
	v_cmpx_ne_u64_e64 s[28:29], v[9:10]
	s_xor_b32 s42, exec_lo, s42
; %bb.20:                               ;   in Loop: Header=BB96_18 Depth=3
	v_add_nc_u32_e32 v9, 1, v20
	s_mov_b32 s41, -1
                                        ; implicit-def: $vgpr21
	s_delay_alu instid0(VALU_DEP_1)
	v_and_b32_e32 v20, 0x1ff, v9
; %bb.21:                               ;   in Loop: Header=BB96_18 Depth=3
	s_and_not1_saveexec_b32 s42, s42
	s_cbranch_execz .LBB96_25
; %bb.22:                               ;   in Loop: Header=BB96_18 Depth=3
	v_dual_mov_b32 v9, s28 :: v_dual_mov_b32 v10, s29
	s_mov_b32 s43, -1
	s_mov_b32 s44, exec_lo
	ds_cmpstore_rtn_b64 v[9:10], v21, v[7:8], v[9:10]
	s_waitcnt lgkmcnt(0)
	v_cmpx_eq_u64_e64 s[28:29], v[9:10]
	s_cbranch_execz .LBB96_24
; %bb.23:                               ;   in Loop: Header=BB96_18 Depth=3
	v_lshlrev_b32_e32 v9, 2, v20
	s_xor_b32 s43, exec_lo, -1
	s_delay_alu instid0(VALU_DEP_1)
	v_sub_nc_u32_e32 v9, v21, v9
	ds_add_f32 v9, v19 offset:4096
.LBB96_24:                              ;   in Loop: Header=BB96_18 Depth=3
	s_or_b32 exec_lo, exec_lo, s44
	s_delay_alu instid0(SALU_CYCLE_1) | instskip(SKIP_1) | instid1(SALU_CYCLE_1)
	s_and_not1_b32 s41, s41, exec_lo
	s_and_b32 s43, s43, exec_lo
	s_or_b32 s41, s41, s43
.LBB96_25:                              ;   in Loop: Header=BB96_18 Depth=3
	s_or_b32 exec_lo, exec_lo, s42
	s_delay_alu instid0(SALU_CYCLE_1)
	s_and_b32 s41, s41, exec_lo
                                        ; implicit-def: $vgpr21
.LBB96_26:                              ;   in Loop: Header=BB96_18 Depth=3
	s_and_not1_saveexec_b32 s40, s40
	s_cbranch_execz .LBB96_17
; %bb.27:                               ;   in Loop: Header=BB96_18 Depth=3
	v_lshlrev_b32_e32 v9, 2, v20
	s_and_not1_b32 s41, s41, exec_lo
	s_delay_alu instid0(VALU_DEP_1)
	v_sub_nc_u32_e32 v9, v21, v9
	ds_add_f32 v9, v19 offset:4096
	s_branch .LBB96_17
.LBB96_28:
	s_or_b32 exec_lo, exec_lo, s1
.LBB96_29:
	s_delay_alu instid0(SALU_CYCLE_1)
	s_and_not1_b32 vcc_lo, exec_lo, s33
	s_cbranch_vccnz .LBB96_46
; %bb.30:
	s_waitcnt lgkmcnt(0)
	s_lshl_b64 s[2:3], s[30:31], 3
	v_sub_co_u32 v1, s1, v0, s23
	s_add_u32 s2, s4, s2
	s_addc_u32 s3, s5, s3
	v_sub_co_ci_u32_e64 v2, null, 0, 0, s1
	s_load_b128 s[12:15], s[2:3], 0x0
	s_mov_b32 s1, 0
	s_mov_b32 s4, exec_lo
	s_waitcnt lgkmcnt(0)
	v_add_co_u32 v1, vcc_lo, s12, v1
	v_add_co_ci_u32_e32 v2, vcc_lo, s13, v2, vcc_lo
	s_sub_u32 s2, s14, s23
	s_subb_u32 s3, s15, 0
	s_delay_alu instid0(VALU_DEP_1) | instid1(SALU_CYCLE_1)
	v_cmpx_gt_i64_e64 s[2:3], v[1:2]
	s_cbranch_execz .LBB96_45
; %bb.31:
	s_mov_b32 s5, s23
	s_branch .LBB96_33
.LBB96_32:                              ;   in Loop: Header=BB96_33 Depth=1
	s_or_b32 exec_lo, exec_lo, s12
	v_add_co_u32 v1, vcc_lo, 0x100, v1
	v_add_co_ci_u32_e32 v2, vcc_lo, 0, v2, vcc_lo
	s_delay_alu instid0(VALU_DEP_1) | instskip(SKIP_1) | instid1(SALU_CYCLE_1)
	v_cmp_le_i64_e32 vcc_lo, s[2:3], v[1:2]
	s_or_b32 s1, vcc_lo, s1
	s_and_not1_b32 exec_lo, exec_lo, s1
	s_cbranch_execz .LBB96_45
.LBB96_33:                              ; =>This Loop Header: Depth=1
                                        ;     Child Loop BB96_35 Depth 2
	v_lshlrev_b64 v[3:4], 3, v[1:2]
	v_lshlrev_b64 v[5:6], 2, v[1:2]
	s_mov_b32 s12, 0
	s_delay_alu instid0(VALU_DEP_2) | instskip(NEXT) | instid1(VALU_DEP_3)
	v_add_co_u32 v3, vcc_lo, s6, v3
	v_add_co_ci_u32_e32 v4, vcc_lo, s7, v4, vcc_lo
	s_delay_alu instid0(VALU_DEP_3) | instskip(NEXT) | instid1(VALU_DEP_4)
	v_add_co_u32 v5, vcc_lo, s8, v5
	v_add_co_ci_u32_e32 v6, vcc_lo, s9, v6, vcc_lo
	global_load_b64 v[3:4], v[3:4], off
	global_load_b32 v5, v[5:6], off
	s_waitcnt vmcnt(1)
	v_sub_co_u32 v3, vcc_lo, v3, s5
	v_subrev_co_ci_u32_e32 v4, vcc_lo, 0, v4, vcc_lo
	s_delay_alu instid0(VALU_DEP_2) | instskip(SKIP_1) | instid1(VALU_DEP_1)
	v_mul_lo_u32 v6, 0x89, v3
	s_waitcnt vmcnt(0)
	v_dual_mul_f32 v7, v13, v5 :: v_dual_and_b32 v8, 0x1ff, v6
	s_branch .LBB96_35
.LBB96_34:                              ;   in Loop: Header=BB96_35 Depth=2
	s_or_b32 exec_lo, exec_lo, s13
	s_xor_b32 s13, s14, -1
	s_delay_alu instid0(SALU_CYCLE_1) | instskip(NEXT) | instid1(SALU_CYCLE_1)
	s_and_b32 s13, exec_lo, s13
	s_or_b32 s12, s13, s12
	s_delay_alu instid0(SALU_CYCLE_1)
	s_and_not1_b32 exec_lo, exec_lo, s12
	s_cbranch_execz .LBB96_32
.LBB96_35:                              ;   Parent Loop BB96_33 Depth=1
                                        ; =>  This Inner Loop Header: Depth=2
	s_delay_alu instid0(VALU_DEP_1)
	v_lshl_add_u32 v9, v8, 3, 0
	s_mov_b32 s13, exec_lo
                                        ; implicit-def: $sgpr14
	ds_load_b64 v[5:6], v9
	s_waitcnt lgkmcnt(0)
	v_cmpx_ne_u64_e64 v[5:6], v[3:4]
	s_xor_b32 s13, exec_lo, s13
	s_cbranch_execz .LBB96_43
; %bb.36:                               ;   in Loop: Header=BB96_35 Depth=2
	s_mov_b32 s15, exec_lo
                                        ; implicit-def: $sgpr14
	v_cmpx_ne_u64_e64 s[28:29], v[5:6]
	s_xor_b32 s15, exec_lo, s15
; %bb.37:                               ;   in Loop: Header=BB96_35 Depth=2
	v_add_nc_u32_e32 v5, 1, v8
	s_mov_b32 s14, -1
                                        ; implicit-def: $vgpr9
	s_delay_alu instid0(VALU_DEP_1)
	v_and_b32_e32 v8, 0x1ff, v5
; %bb.38:                               ;   in Loop: Header=BB96_35 Depth=2
	s_and_not1_saveexec_b32 s15, s15
	s_cbranch_execz .LBB96_42
; %bb.39:                               ;   in Loop: Header=BB96_35 Depth=2
	v_dual_mov_b32 v5, s28 :: v_dual_mov_b32 v6, s29
	s_mov_b32 s16, -1
	s_mov_b32 s17, exec_lo
	ds_cmpstore_rtn_b64 v[5:6], v9, v[3:4], v[5:6]
	s_waitcnt lgkmcnt(0)
	v_cmpx_eq_u64_e64 s[28:29], v[5:6]
	s_cbranch_execz .LBB96_41
; %bb.40:                               ;   in Loop: Header=BB96_35 Depth=2
	v_lshlrev_b32_e32 v5, 2, v8
	s_xor_b32 s16, exec_lo, -1
	s_delay_alu instid0(VALU_DEP_1)
	v_sub_nc_u32_e32 v5, v9, v5
	ds_add_f32 v5, v7 offset:4096
.LBB96_41:                              ;   in Loop: Header=BB96_35 Depth=2
	s_or_b32 exec_lo, exec_lo, s17
	s_delay_alu instid0(SALU_CYCLE_1) | instskip(SKIP_1) | instid1(SALU_CYCLE_1)
	s_and_not1_b32 s14, s14, exec_lo
	s_and_b32 s16, s16, exec_lo
	s_or_b32 s14, s14, s16
.LBB96_42:                              ;   in Loop: Header=BB96_35 Depth=2
	s_or_b32 exec_lo, exec_lo, s15
	s_delay_alu instid0(SALU_CYCLE_1)
	s_and_b32 s14, s14, exec_lo
                                        ; implicit-def: $vgpr9
.LBB96_43:                              ;   in Loop: Header=BB96_35 Depth=2
	s_and_not1_saveexec_b32 s13, s13
	s_cbranch_execz .LBB96_34
; %bb.44:                               ;   in Loop: Header=BB96_35 Depth=2
	v_lshlrev_b32_e32 v5, 2, v8
	s_and_not1_b32 s14, s14, exec_lo
	s_delay_alu instid0(VALU_DEP_1)
	v_sub_nc_u32_e32 v5, v9, v5
	ds_add_f32 v5, v7 offset:4096
	s_branch .LBB96_34
.LBB96_45:
	s_or_b32 exec_lo, exec_lo, s4
.LBB96_46:
	s_waitcnt lgkmcnt(0)
	s_barrier
	buffer_gl0_inv
	s_and_saveexec_b32 s4, s0
	s_cbranch_execz .LBB96_59
; %bb.47:
	v_mbcnt_lo_u32_b32 v1, -1, 0
	v_lshrrev_b32_e32 v2, 3, v0
	v_cmp_eq_u32_e32 vcc_lo, 0xff, v0
	v_cmp_lt_u32_e64 s0, 63, v0
	v_cmp_lt_u32_e64 s1, 0x7f, v0
	v_xor_b32_e32 v1, 63, v1
	v_and_b32_e32 v3, 24, v2
	v_cmp_lt_u32_e64 s2, 0xbf, v0
	v_add3_u32 v10, v14, 0, 0x1000
	v_mov_b32_e32 v5, 0
	v_lshrrev_b64 v[1:2], v1, -1
	v_dual_mov_b32 v2, 0 :: v_dual_add_nc_u32 v13, 0, v3
	v_mov_b32_e32 v3, 0
	s_mov_b32 s5, 0
	s_branch .LBB96_49
.LBB96_48:                              ;   in Loop: Header=BB96_49 Depth=1
	s_or_b32 exec_lo, exec_lo, s3
	s_waitcnt lgkmcnt(0)
	s_barrier
	buffer_gl0_inv
	ds_load_b64 v[6:7], v5 offset:6168
	v_add_co_u32 v11, s3, 0x100, v11
	s_delay_alu instid0(VALU_DEP_1) | instskip(SKIP_4) | instid1(VALU_DEP_1)
	s_xor_b32 s6, s3, -1
	v_add_nc_u32_e32 v10, 0x400, v10
	v_add_nc_u32_e32 v12, 0x800, v12
	s_waitcnt lgkmcnt(0)
	v_add_co_u32 v2, s3, v6, v2
	v_add_co_ci_u32_e64 v3, s3, v7, v3, s3
	s_and_b32 s3, exec_lo, s6
	s_delay_alu instid0(SALU_CYCLE_1) | instskip(NEXT) | instid1(SALU_CYCLE_1)
	s_or_b32 s5, s3, s5
	s_and_not1_b32 exec_lo, exec_lo, s5
	s_cbranch_execz .LBB96_59
.LBB96_49:                              ; =>This Inner Loop Header: Depth=1
	ds_load_b64 v[6:7], v12
	ds_load_b32 v14, v10
	s_waitcnt lgkmcnt(0)
	s_barrier
	buffer_gl0_inv
	v_cmp_gt_i64_e64 s3, s[28:29], v[6:7]
	s_delay_alu instid0(VALU_DEP_1) | instskip(SKIP_1) | instid1(SALU_CYCLE_1)
	v_and_b32_e32 v8, s3, v1
	s_bcnt1_i32_b32 s6, s3
	v_mov_b32_e32 v4, s6
	s_delay_alu instid0(VALU_DEP_2)
	v_bcnt_u32_b32 v8, v8, 0
	ds_store_b64 v13, v[4:5] offset:6144
	s_waitcnt lgkmcnt(0)
	s_barrier
	buffer_gl0_inv
	s_and_saveexec_b32 s6, s0
	s_cbranch_execnz .LBB96_54
; %bb.50:                               ;   in Loop: Header=BB96_49 Depth=1
	s_or_b32 exec_lo, exec_lo, s6
	s_and_saveexec_b32 s6, s1
	s_cbranch_execnz .LBB96_55
.LBB96_51:                              ;   in Loop: Header=BB96_49 Depth=1
	s_or_b32 exec_lo, exec_lo, s6
	s_and_saveexec_b32 s6, s2
	s_cbranch_execnz .LBB96_56
.LBB96_52:                              ;   in Loop: Header=BB96_49 Depth=1
	s_or_b32 exec_lo, exec_lo, s6
	v_ashrrev_i32_e32 v9, 31, v8
	s_and_saveexec_b32 s6, s3
	s_cbranch_execnz .LBB96_57
.LBB96_53:                              ;   in Loop: Header=BB96_49 Depth=1
	s_or_b32 exec_lo, exec_lo, s6
	s_and_saveexec_b32 s3, vcc_lo
	s_cbranch_execz .LBB96_48
	s_branch .LBB96_58
.LBB96_54:                              ;   in Loop: Header=BB96_49 Depth=1
	ds_load_b32 v4, v5 offset:6144
	s_waitcnt lgkmcnt(0)
	v_add_nc_u32_e32 v8, v4, v8
	s_or_b32 exec_lo, exec_lo, s6
	s_and_saveexec_b32 s6, s1
	s_cbranch_execz .LBB96_51
.LBB96_55:                              ;   in Loop: Header=BB96_49 Depth=1
	ds_load_b32 v4, v5 offset:6152
	s_waitcnt lgkmcnt(0)
	v_add_nc_u32_e32 v8, v8, v4
	s_or_b32 exec_lo, exec_lo, s6
	s_and_saveexec_b32 s6, s2
	s_cbranch_execz .LBB96_52
.LBB96_56:                              ;   in Loop: Header=BB96_49 Depth=1
	ds_load_b32 v4, v5 offset:6160
	s_waitcnt lgkmcnt(0)
	v_add_nc_u32_e32 v8, v8, v4
	s_or_b32 exec_lo, exec_lo, s6
	s_delay_alu instid0(VALU_DEP_1)
	v_ashrrev_i32_e32 v9, 31, v8
	s_and_saveexec_b32 s6, s3
	s_cbranch_execz .LBB96_53
.LBB96_57:                              ;   in Loop: Header=BB96_49 Depth=1
	v_add3_u32 v4, v2, -1, v8
	s_delay_alu instid0(VALU_DEP_1)
	v_lshl_add_u32 v15, v4, 3, 0
	v_lshl_add_u32 v4, v4, 2, 0
	ds_store_b64 v15, v[6:7]
	ds_store_b32 v4, v14 offset:4096
	s_or_b32 exec_lo, exec_lo, s6
	s_and_saveexec_b32 s3, vcc_lo
	s_cbranch_execz .LBB96_48
.LBB96_58:                              ;   in Loop: Header=BB96_49 Depth=1
	ds_store_b64 v5, v[8:9] offset:6168
	s_branch .LBB96_48
.LBB96_59:
	s_or_b32 exec_lo, exec_lo, s4
	s_lshl_b64 s[0:1], s[30:31], 3
	v_mov_b32_e32 v1, 0
	s_add_u32 s0, s10, s0
	s_addc_u32 s1, s11, s1
	s_mov_b32 s6, exec_lo
	s_load_b128 s[0:3], s[0:1], 0x0
	s_waitcnt lgkmcnt(0)
	s_sub_u32 s4, s2, s0
	s_subb_u32 s5, s3, s1
	s_delay_alu instid0(SALU_CYCLE_1)
	v_cmpx_gt_i64_e64 s[4:5], v[0:1]
	s_cbranch_execz .LBB96_69
; %bb.60:
	s_sub_u32 s8, s0, s22
	s_subb_u32 s9, s1, 0
	s_and_b32 s6, s4, 7
	s_sub_u32 s0, s0, s2
	s_subb_u32 s1, s1, s3
	s_mov_b32 s7, 0
	v_cmp_lt_u64_e64 s12, s[0:1], -7
	s_and_b32 s2, s4, -8
	s_cmp_lg_u64 s[6:7], 0
	s_mov_b32 s3, s5
	s_cselect_b32 s13, -1, 0
	s_mov_b32 s14, s7
	s_branch .LBB96_62
.LBB96_61:                              ;   in Loop: Header=BB96_62 Depth=1
	s_waitcnt lgkmcnt(1)
	v_add_co_u32 v2, vcc_lo, v2, s22
	v_lshlrev_b64 v[7:8], 3, v[4:5]
	v_add_co_ci_u32_e32 v3, vcc_lo, 0, v3, vcc_lo
	v_add_co_u32 v0, vcc_lo, 0x100, v0
	v_add_co_ci_u32_e32 v1, vcc_lo, 0, v1, vcc_lo
	v_lshlrev_b64 v[4:5], 2, v[4:5]
	v_add_co_u32 v7, vcc_lo, s24, v7
	v_add_co_ci_u32_e32 v8, vcc_lo, s25, v8, vcc_lo
	s_delay_alu instid0(VALU_DEP_4) | instskip(NEXT) | instid1(VALU_DEP_4)
	v_cmp_le_i64_e32 vcc_lo, s[4:5], v[0:1]
	v_add_co_u32 v4, s0, s26, v4
	s_delay_alu instid0(VALU_DEP_1) | instskip(SKIP_4) | instid1(SALU_CYCLE_1)
	v_add_co_ci_u32_e64 v5, s0, s27, v5, s0
	global_store_b64 v[7:8], v[2:3], off
	s_waitcnt lgkmcnt(0)
	global_store_b32 v[4:5], v6, off
	s_or_b32 s14, vcc_lo, s14
	s_and_not1_b32 exec_lo, exec_lo, s14
	s_cbranch_execz .LBB96_69
.LBB96_62:                              ; =>This Loop Header: Depth=1
                                        ;     Child Loop BB96_64 Depth 2
                                        ;     Child Loop BB96_68 Depth 2
	v_lshl_add_u32 v2, v0, 3, 0
	v_lshlrev_b32_e32 v3, 2, v0
	s_and_not1_b32 vcc_lo, exec_lo, s12
	s_mov_b64 s[0:1], 0
	s_delay_alu instid0(VALU_DEP_1)
	v_sub_nc_u32_e32 v4, v2, v3
	ds_load_b64 v[2:3], v2
	ds_load_b32 v6, v4 offset:4096
	v_dual_mov_b32 v4, s8 :: v_dual_mov_b32 v5, s9
	s_cbranch_vccnz .LBB96_66
; %bb.63:                               ;   in Loop: Header=BB96_62 Depth=1
	v_dual_mov_b32 v4, s8 :: v_dual_mov_b32 v5, s9
	s_mov_b64 s[10:11], 0
	s_mov_b32 s1, 0
.LBB96_64:                              ;   Parent Loop BB96_62 Depth=1
                                        ; =>  This Inner Loop Header: Depth=2
	s_delay_alu instid0(SALU_CYCLE_1)
	v_mov_b32_e32 v19, s1
	s_add_u32 s10, s10, 8
	s_addc_u32 s11, s11, 0
	s_add_i32 s1, s1, 64
	s_cmp_eq_u64 s[2:3], s[10:11]
	ds_load_2addr_b64 v[7:10], v19 offset1:1
	ds_load_2addr_b64 v[11:14], v19 offset0:2 offset1:3
	ds_load_2addr_b64 v[15:18], v19 offset0:4 offset1:5
	ds_load_2addr_b64 v[19:22], v19 offset0:6 offset1:7
	s_waitcnt lgkmcnt(3)
	v_cmp_gt_i64_e32 vcc_lo, v[2:3], v[7:8]
	v_cndmask_b32_e64 v7, 0, 1, vcc_lo
	v_cmp_gt_i64_e32 vcc_lo, v[2:3], v[9:10]
	v_cndmask_b32_e64 v8, 0, 1, vcc_lo
	s_waitcnt lgkmcnt(2)
	v_cmp_gt_i64_e32 vcc_lo, v[2:3], v[11:12]
	v_cndmask_b32_e64 v9, 0, 1, vcc_lo
	v_cmp_gt_i64_e32 vcc_lo, v[2:3], v[13:14]
	v_cndmask_b32_e64 v10, 0, 1, vcc_lo
	s_waitcnt lgkmcnt(1)
	v_cmp_gt_i64_e32 vcc_lo, v[2:3], v[15:16]
	v_cndmask_b32_e64 v11, 0, 1, vcc_lo
	v_add_co_u32 v4, vcc_lo, v4, v7
	v_add_co_ci_u32_e32 v5, vcc_lo, 0, v5, vcc_lo
	v_cmp_gt_i64_e32 vcc_lo, v[2:3], v[17:18]
	s_delay_alu instid0(VALU_DEP_3) | instskip(NEXT) | instid1(VALU_DEP_1)
	v_add_co_u32 v4, s0, v4, v8
	v_add_co_ci_u32_e64 v5, s0, 0, v5, s0
	v_cndmask_b32_e64 v7, 0, 1, vcc_lo
	s_delay_alu instid0(VALU_DEP_3) | instskip(NEXT) | instid1(VALU_DEP_3)
	v_add_co_u32 v4, vcc_lo, v4, v9
	v_add_co_ci_u32_e32 v5, vcc_lo, 0, v5, vcc_lo
	s_waitcnt lgkmcnt(0)
	v_cmp_gt_i64_e32 vcc_lo, v[2:3], v[19:20]
	s_delay_alu instid0(VALU_DEP_3) | instskip(NEXT) | instid1(VALU_DEP_1)
	v_add_co_u32 v4, s0, v4, v10
	v_add_co_ci_u32_e64 v5, s0, 0, v5, s0
	v_cndmask_b32_e64 v8, 0, 1, vcc_lo
	s_delay_alu instid0(VALU_DEP_3) | instskip(NEXT) | instid1(VALU_DEP_3)
	v_add_co_u32 v4, vcc_lo, v4, v11
	v_add_co_ci_u32_e32 v5, vcc_lo, 0, v5, vcc_lo
	v_cmp_gt_i64_e32 vcc_lo, v[2:3], v[21:22]
	s_delay_alu instid0(VALU_DEP_3) | instskip(NEXT) | instid1(VALU_DEP_1)
	v_add_co_u32 v4, s0, v4, v7
	v_add_co_ci_u32_e64 v5, s0, 0, v5, s0
	v_cndmask_b32_e64 v7, 0, 1, vcc_lo
	s_delay_alu instid0(VALU_DEP_3) | instskip(NEXT) | instid1(VALU_DEP_3)
	v_add_co_u32 v4, vcc_lo, v4, v8
	v_add_co_ci_u32_e32 v5, vcc_lo, 0, v5, vcc_lo
	s_delay_alu instid0(VALU_DEP_2) | instskip(NEXT) | instid1(VALU_DEP_2)
	v_add_co_u32 v4, vcc_lo, v4, v7
	v_add_co_ci_u32_e32 v5, vcc_lo, 0, v5, vcc_lo
	s_cbranch_scc0 .LBB96_64
; %bb.65:                               ;   in Loop: Header=BB96_62 Depth=1
	s_mov_b64 s[0:1], s[2:3]
.LBB96_66:                              ;   in Loop: Header=BB96_62 Depth=1
	s_and_not1_b32 vcc_lo, exec_lo, s13
	s_cbranch_vccnz .LBB96_61
; %bb.67:                               ;   in Loop: Header=BB96_62 Depth=1
	s_lshl_b32 s0, s0, 3
	s_delay_alu instid0(SALU_CYCLE_1)
	s_add_i32 s10, s0, 0
	s_mov_b64 s[0:1], s[6:7]
.LBB96_68:                              ;   Parent Loop BB96_62 Depth=1
                                        ; =>  This Inner Loop Header: Depth=2
	v_mov_b32_e32 v7, s10
	s_add_i32 s10, s10, 8
	s_add_u32 s0, s0, -1
	s_addc_u32 s1, s1, -1
	s_delay_alu instid0(SALU_CYCLE_1) | instskip(SKIP_4) | instid1(VALU_DEP_1)
	s_cmp_lg_u64 s[0:1], 0
	ds_load_b64 v[7:8], v7
	s_waitcnt lgkmcnt(0)
	v_cmp_gt_i64_e32 vcc_lo, v[2:3], v[7:8]
	v_cndmask_b32_e64 v7, 0, 1, vcc_lo
	v_add_co_u32 v4, vcc_lo, v4, v7
	v_add_co_ci_u32_e32 v5, vcc_lo, 0, v5, vcc_lo
	s_cbranch_scc1 .LBB96_68
	s_branch .LBB96_61
.LBB96_69:
	s_nop 0
	s_sendmsg sendmsg(MSG_DEALLOC_VGPRS)
	s_endpgm
	.section	.rodata,"a",@progbits
	.p2align	6, 0x0
	.amdhsa_kernel _ZN9rocsparseL26csrgemm_fill_block_per_rowILj256ELj32ELj512ELj137ELj64EllfEEvT5_PKS1_S3_NS_24const_host_device_scalarIT6_EEPKT4_S3_PKS5_S9_S3_SB_S6_S9_S3_SB_S9_PS1_PS5_21rocsparse_index_base_SE_SE_SE_bbb
		.amdhsa_group_segment_fixed_size 0
		.amdhsa_private_segment_fixed_size 0
		.amdhsa_kernarg_size 156
		.amdhsa_user_sgpr_count 15
		.amdhsa_user_sgpr_dispatch_ptr 0
		.amdhsa_user_sgpr_queue_ptr 0
		.amdhsa_user_sgpr_kernarg_segment_ptr 1
		.amdhsa_user_sgpr_dispatch_id 0
		.amdhsa_user_sgpr_private_segment_size 0
		.amdhsa_wavefront_size32 1
		.amdhsa_uses_dynamic_stack 0
		.amdhsa_enable_private_segment 0
		.amdhsa_system_sgpr_workgroup_id_x 1
		.amdhsa_system_sgpr_workgroup_id_y 0
		.amdhsa_system_sgpr_workgroup_id_z 0
		.amdhsa_system_sgpr_workgroup_info 0
		.amdhsa_system_vgpr_workitem_id 0
		.amdhsa_next_free_vgpr 23
		.amdhsa_next_free_sgpr 45
		.amdhsa_reserve_vcc 1
		.amdhsa_float_round_mode_32 0
		.amdhsa_float_round_mode_16_64 0
		.amdhsa_float_denorm_mode_32 3
		.amdhsa_float_denorm_mode_16_64 3
		.amdhsa_dx10_clamp 1
		.amdhsa_ieee_mode 1
		.amdhsa_fp16_overflow 0
		.amdhsa_workgroup_processor_mode 1
		.amdhsa_memory_ordered 1
		.amdhsa_forward_progress 0
		.amdhsa_shared_vgpr_count 0
		.amdhsa_exception_fp_ieee_invalid_op 0
		.amdhsa_exception_fp_denorm_src 0
		.amdhsa_exception_fp_ieee_div_zero 0
		.amdhsa_exception_fp_ieee_overflow 0
		.amdhsa_exception_fp_ieee_underflow 0
		.amdhsa_exception_fp_ieee_inexact 0
		.amdhsa_exception_int_div_zero 0
	.end_amdhsa_kernel
	.section	.text._ZN9rocsparseL26csrgemm_fill_block_per_rowILj256ELj32ELj512ELj137ELj64EllfEEvT5_PKS1_S3_NS_24const_host_device_scalarIT6_EEPKT4_S3_PKS5_S9_S3_SB_S6_S9_S3_SB_S9_PS1_PS5_21rocsparse_index_base_SE_SE_SE_bbb,"axG",@progbits,_ZN9rocsparseL26csrgemm_fill_block_per_rowILj256ELj32ELj512ELj137ELj64EllfEEvT5_PKS1_S3_NS_24const_host_device_scalarIT6_EEPKT4_S3_PKS5_S9_S3_SB_S6_S9_S3_SB_S9_PS1_PS5_21rocsparse_index_base_SE_SE_SE_bbb,comdat
.Lfunc_end96:
	.size	_ZN9rocsparseL26csrgemm_fill_block_per_rowILj256ELj32ELj512ELj137ELj64EllfEEvT5_PKS1_S3_NS_24const_host_device_scalarIT6_EEPKT4_S3_PKS5_S9_S3_SB_S6_S9_S3_SB_S9_PS1_PS5_21rocsparse_index_base_SE_SE_SE_bbb, .Lfunc_end96-_ZN9rocsparseL26csrgemm_fill_block_per_rowILj256ELj32ELj512ELj137ELj64EllfEEvT5_PKS1_S3_NS_24const_host_device_scalarIT6_EEPKT4_S3_PKS5_S9_S3_SB_S6_S9_S3_SB_S9_PS1_PS5_21rocsparse_index_base_SE_SE_SE_bbb
                                        ; -- End function
	.section	.AMDGPU.csdata,"",@progbits
; Kernel info:
; codeLenInByte = 3020
; NumSgprs: 47
; NumVgprs: 23
; ScratchSize: 0
; MemoryBound: 0
; FloatMode: 240
; IeeeMode: 1
; LDSByteSize: 0 bytes/workgroup (compile time only)
; SGPRBlocks: 5
; VGPRBlocks: 2
; NumSGPRsForWavesPerEU: 47
; NumVGPRsForWavesPerEU: 23
; Occupancy: 16
; WaveLimiterHint : 1
; COMPUTE_PGM_RSRC2:SCRATCH_EN: 0
; COMPUTE_PGM_RSRC2:USER_SGPR: 15
; COMPUTE_PGM_RSRC2:TRAP_HANDLER: 0
; COMPUTE_PGM_RSRC2:TGID_X_EN: 1
; COMPUTE_PGM_RSRC2:TGID_Y_EN: 0
; COMPUTE_PGM_RSRC2:TGID_Z_EN: 0
; COMPUTE_PGM_RSRC2:TIDIG_COMP_CNT: 0
	.section	.text._ZN9rocsparseL26csrgemm_fill_block_per_rowILj512ELj32ELj1024ELj137ELj32EllfEEvT5_PKS1_S3_NS_24const_host_device_scalarIT6_EEPKT4_S3_PKS5_S9_S3_SB_S6_S9_S3_SB_S9_PS1_PS5_21rocsparse_index_base_SE_SE_SE_bbb,"axG",@progbits,_ZN9rocsparseL26csrgemm_fill_block_per_rowILj512ELj32ELj1024ELj137ELj32EllfEEvT5_PKS1_S3_NS_24const_host_device_scalarIT6_EEPKT4_S3_PKS5_S9_S3_SB_S6_S9_S3_SB_S9_PS1_PS5_21rocsparse_index_base_SE_SE_SE_bbb,comdat
	.globl	_ZN9rocsparseL26csrgemm_fill_block_per_rowILj512ELj32ELj1024ELj137ELj32EllfEEvT5_PKS1_S3_NS_24const_host_device_scalarIT6_EEPKT4_S3_PKS5_S9_S3_SB_S6_S9_S3_SB_S9_PS1_PS5_21rocsparse_index_base_SE_SE_SE_bbb ; -- Begin function _ZN9rocsparseL26csrgemm_fill_block_per_rowILj512ELj32ELj1024ELj137ELj32EllfEEvT5_PKS1_S3_NS_24const_host_device_scalarIT6_EEPKT4_S3_PKS5_S9_S3_SB_S6_S9_S3_SB_S9_PS1_PS5_21rocsparse_index_base_SE_SE_SE_bbb
	.p2align	8
	.type	_ZN9rocsparseL26csrgemm_fill_block_per_rowILj512ELj32ELj1024ELj137ELj32EllfEEvT5_PKS1_S3_NS_24const_host_device_scalarIT6_EEPKT4_S3_PKS5_S9_S3_SB_S6_S9_S3_SB_S9_PS1_PS5_21rocsparse_index_base_SE_SE_SE_bbb,@function
_ZN9rocsparseL26csrgemm_fill_block_per_rowILj512ELj32ELj1024ELj137ELj32EllfEEvT5_PKS1_S3_NS_24const_host_device_scalarIT6_EEPKT4_S3_PKS5_S9_S3_SB_S6_S9_S3_SB_S9_PS1_PS5_21rocsparse_index_base_SE_SE_SE_bbb: ; @_ZN9rocsparseL26csrgemm_fill_block_per_rowILj512ELj32ELj1024ELj137ELj32EllfEEvT5_PKS1_S3_NS_24const_host_device_scalarIT6_EEPKT4_S3_PKS5_S9_S3_SB_S6_S9_S3_SB_S9_PS1_PS5_21rocsparse_index_base_SE_SE_SE_bbb
; %bb.0:
	s_clause 0x3
	s_load_b32 s3, s[0:1], 0x98
	s_load_b128 s[20:23], s[0:1], 0x88
	s_load_b64 s[4:5], s[0:1], 0x18
	s_load_b64 s[34:35], s[0:1], 0x50
	s_mov_b32 s2, s15
	s_waitcnt lgkmcnt(0)
	s_bitcmp1_b32 s3, 0
	s_cselect_b32 s40, -1, 0
	s_bitcmp1_b32 s3, 16
	s_cselect_b32 s41, -1, 0
	s_xor_b32 s6, s40, -1
	s_delay_alu instid0(SALU_CYCLE_1) | instskip(NEXT) | instid1(SALU_CYCLE_1)
	s_or_b32 s6, s6, s41
	s_and_b32 vcc_lo, exec_lo, s6
	s_cbranch_vccnz .LBB97_2
; %bb.1:
	s_load_b32 s4, s[4:5], 0x0
	s_waitcnt lgkmcnt(0)
	v_mov_b32_e32 v16, s4
	s_branch .LBB97_3
.LBB97_2:
	v_cndmask_b32_e64 v16, 0, s4, s40
.LBB97_3:
	s_clause 0x4
	s_load_b128 s[24:27], s[0:1], 0x78
	s_load_b256 s[12:19], s[0:1], 0x58
	s_load_b128 s[28:31], s[0:1], 0x40
	s_load_b128 s[36:39], s[0:1], 0x8
	s_load_b256 s[4:11], s[0:1], 0x20
	s_bitcmp1_b32 s3, 8
	s_cselect_b32 s33, -1, 0
	s_delay_alu instid0(SALU_CYCLE_1) | instskip(NEXT) | instid1(SALU_CYCLE_1)
	s_xor_b32 s3, s33, -1
	s_or_b32 s3, s3, s41
	s_delay_alu instid0(SALU_CYCLE_1)
	s_and_b32 vcc_lo, exec_lo, s3
	s_cbranch_vccnz .LBB97_5
; %bb.4:
	s_load_b32 s3, s[34:35], 0x0
	s_waitcnt lgkmcnt(0)
	v_mov_b32_e32 v14, s3
	s_branch .LBB97_6
.LBB97_5:
	v_cndmask_b32_e64 v14, 0, s34, s33
.LBB97_6:
	s_load_b64 s[34:35], s[0:1], 0x0
	v_lshl_add_u32 v11, v0, 3, 0
	v_lshlrev_b32_e32 v1, 2, v0
	v_or_b32_e32 v12, 0xfffffe00, v0
	v_mov_b32_e32 v3, 0
	s_mov_b32 s0, 0
	v_mov_b32_e32 v4, v11
	v_add3_u32 v13, v1, 0, 0x2000
	s_delay_alu instid0(VALU_DEP_1)
	v_dual_mov_b32 v5, v12 :: v_dual_mov_b32 v6, v13
	s_waitcnt lgkmcnt(0)
	v_dual_mov_b32 v1, s34 :: v_dual_mov_b32 v2, s35
.LBB97_7:                               ; =>This Inner Loop Header: Depth=1
	s_delay_alu instid0(VALU_DEP_2) | instskip(NEXT) | instid1(VALU_DEP_1)
	v_add_co_u32 v5, s1, 0x200, v5
	s_xor_b32 s1, s1, -1
	ds_store_b64 v4, v[1:2]
	ds_store_b32 v6, v3
	v_add_nc_u32_e32 v6, 0x800, v6
	v_add_nc_u32_e32 v4, 0x1000, v4
	s_and_b32 s1, exec_lo, s1
	s_delay_alu instid0(SALU_CYCLE_1) | instskip(NEXT) | instid1(SALU_CYCLE_1)
	s_or_b32 s0, s1, s0
	s_and_not1_b32 exec_lo, exec_lo, s0
	s_cbranch_execnz .LBB97_7
; %bb.8:
	s_or_b32 exec_lo, exec_lo, s0
	s_waitcnt lgkmcnt(0)
	s_barrier
	buffer_gl0_inv
	s_load_b64 s[0:1], s[36:37], 0x0
	s_mov_b32 s3, 0
	v_lshrrev_b32_e32 v15, 5, v0
	s_waitcnt lgkmcnt(0)
	s_lshl_b64 s[0:1], s[0:1], 3
	s_delay_alu instid0(SALU_CYCLE_1) | instskip(SKIP_2) | instid1(SALU_CYCLE_1)
	s_add_u32 s36, s38, s0
	s_addc_u32 s37, s39, s1
	s_lshl_b64 s[0:1], s[2:3], 3
	s_add_u32 s0, s36, s0
	s_addc_u32 s1, s37, s1
	s_and_b32 vcc_lo, exec_lo, s40
	s_load_b64 s[36:37], s[0:1], 0x0
	s_cbranch_vccz .LBB97_28
; %bb.9:
	s_waitcnt lgkmcnt(0)
	s_lshl_b64 s[0:1], s[36:37], 3
	s_delay_alu instid0(SALU_CYCLE_1)
	s_add_u32 s0, s4, s0
	s_addc_u32 s1, s5, s1
	v_sub_co_u32 v1, s4, v15, s20
	s_load_b128 s[0:3], s[0:1], 0x0
	v_sub_co_ci_u32_e64 v2, null, 0, 0, s4
	s_waitcnt lgkmcnt(0)
	s_delay_alu instid0(VALU_DEP_2) | instskip(NEXT) | instid1(VALU_DEP_2)
	v_add_co_u32 v1, vcc_lo, s0, v1
	v_add_co_ci_u32_e32 v2, vcc_lo, s1, v2, vcc_lo
	s_sub_u32 s0, s2, s20
	s_subb_u32 s1, s3, 0
	s_mov_b32 s2, exec_lo
	s_delay_alu instid0(VALU_DEP_1)
	v_cmpx_gt_i64_e64 s[0:1], v[1:2]
	s_cbranch_execz .LBB97_27
; %bb.10:
	v_and_b32_e32 v3, 31, v0
	s_mov_b32 s4, s21
	s_delay_alu instid0(VALU_DEP_1) | instskip(NEXT) | instid1(VALU_DEP_1)
	v_sub_co_u32 v17, s3, v3, s21
	v_sub_co_ci_u32_e64 v18, null, 0, 0, s3
	s_mov_b32 s3, 0
	s_branch .LBB97_12
.LBB97_11:                              ;   in Loop: Header=BB97_12 Depth=1
	s_or_b32 exec_lo, exec_lo, s5
	v_add_co_u32 v1, vcc_lo, v1, 16
	v_add_co_ci_u32_e32 v2, vcc_lo, 0, v2, vcc_lo
	s_delay_alu instid0(VALU_DEP_1) | instskip(SKIP_1) | instid1(SALU_CYCLE_1)
	v_cmp_le_i64_e32 vcc_lo, s[0:1], v[1:2]
	s_or_b32 s3, vcc_lo, s3
	s_and_not1_b32 exec_lo, exec_lo, s3
	s_cbranch_execz .LBB97_27
.LBB97_12:                              ; =>This Loop Header: Depth=1
                                        ;     Child Loop BB97_15 Depth 2
                                        ;       Child Loop BB97_17 Depth 3
	v_lshlrev_b64 v[3:4], 3, v[1:2]
	s_mov_b32 s5, exec_lo
	s_delay_alu instid0(VALU_DEP_1) | instskip(NEXT) | instid1(VALU_DEP_2)
	v_add_co_u32 v3, vcc_lo, s6, v3
	v_add_co_ci_u32_e32 v4, vcc_lo, s7, v4, vcc_lo
	global_load_b64 v[3:4], v[3:4], off
	s_waitcnt vmcnt(0)
	v_sub_co_u32 v3, vcc_lo, v3, s20
	v_subrev_co_ci_u32_e32 v4, vcc_lo, 0, v4, vcc_lo
	s_delay_alu instid0(VALU_DEP_1) | instskip(NEXT) | instid1(VALU_DEP_1)
	v_lshlrev_b64 v[3:4], 3, v[3:4]
	v_add_co_u32 v3, vcc_lo, s10, v3
	s_delay_alu instid0(VALU_DEP_2)
	v_add_co_ci_u32_e32 v4, vcc_lo, s11, v4, vcc_lo
	global_load_b128 v[5:8], v[3:4], off
	s_waitcnt vmcnt(0)
	v_sub_co_u32 v3, vcc_lo, v7, s4
	v_subrev_co_ci_u32_e32 v4, vcc_lo, 0, v8, vcc_lo
	v_add_co_u32 v5, vcc_lo, v5, v17
	v_add_co_ci_u32_e32 v6, vcc_lo, v6, v18, vcc_lo
	s_delay_alu instid0(VALU_DEP_1)
	v_cmpx_lt_i64_e64 v[5:6], v[3:4]
	s_cbranch_execz .LBB97_11
; %bb.13:                               ;   in Loop: Header=BB97_12 Depth=1
	v_lshlrev_b64 v[7:8], 2, v[1:2]
	s_mov_b32 s21, 0
	s_delay_alu instid0(VALU_DEP_1) | instskip(NEXT) | instid1(VALU_DEP_2)
	v_add_co_u32 v7, vcc_lo, s8, v7
	v_add_co_ci_u32_e32 v8, vcc_lo, s9, v8, vcc_lo
	global_load_b32 v7, v[7:8], off
	s_waitcnt vmcnt(0)
	v_mul_f32_e32 v19, v16, v7
	s_branch .LBB97_15
.LBB97_14:                              ;   in Loop: Header=BB97_15 Depth=2
	s_or_b32 exec_lo, exec_lo, s38
	v_add_co_u32 v5, vcc_lo, v5, 32
	v_add_co_ci_u32_e32 v6, vcc_lo, 0, v6, vcc_lo
	s_delay_alu instid0(VALU_DEP_1) | instskip(SKIP_1) | instid1(SALU_CYCLE_1)
	v_cmp_ge_i64_e32 vcc_lo, v[5:6], v[3:4]
	s_or_b32 s21, vcc_lo, s21
	s_and_not1_b32 exec_lo, exec_lo, s21
	s_cbranch_execz .LBB97_11
.LBB97_15:                              ;   Parent Loop BB97_12 Depth=1
                                        ; =>  This Loop Header: Depth=2
                                        ;       Child Loop BB97_17 Depth 3
	v_lshlrev_b64 v[7:8], 3, v[5:6]
	v_lshlrev_b64 v[9:10], 2, v[5:6]
	s_mov_b32 s38, 0
	s_delay_alu instid0(VALU_DEP_2) | instskip(NEXT) | instid1(VALU_DEP_3)
	v_add_co_u32 v7, vcc_lo, s28, v7
	v_add_co_ci_u32_e32 v8, vcc_lo, s29, v8, vcc_lo
	s_delay_alu instid0(VALU_DEP_3) | instskip(NEXT) | instid1(VALU_DEP_4)
	v_add_co_u32 v9, vcc_lo, s30, v9
	v_add_co_ci_u32_e32 v10, vcc_lo, s31, v10, vcc_lo
	global_load_b64 v[7:8], v[7:8], off
	global_load_b32 v9, v[9:10], off
	s_waitcnt vmcnt(1)
	v_sub_co_u32 v7, vcc_lo, v7, s4
	v_subrev_co_ci_u32_e32 v8, vcc_lo, 0, v8, vcc_lo
	s_delay_alu instid0(VALU_DEP_2) | instskip(SKIP_1) | instid1(VALU_DEP_1)
	v_mul_lo_u32 v10, 0x89, v7
	s_waitcnt vmcnt(0)
	v_dual_mul_f32 v20, v19, v9 :: v_dual_and_b32 v21, 0x3ff, v10
	s_branch .LBB97_17
.LBB97_16:                              ;   in Loop: Header=BB97_17 Depth=3
	s_or_b32 exec_lo, exec_lo, s39
	s_xor_b32 s39, s40, -1
	s_delay_alu instid0(SALU_CYCLE_1) | instskip(NEXT) | instid1(SALU_CYCLE_1)
	s_and_b32 s39, exec_lo, s39
	s_or_b32 s38, s39, s38
	s_delay_alu instid0(SALU_CYCLE_1)
	s_and_not1_b32 exec_lo, exec_lo, s38
	s_cbranch_execz .LBB97_14
.LBB97_17:                              ;   Parent Loop BB97_12 Depth=1
                                        ;     Parent Loop BB97_15 Depth=2
                                        ; =>    This Inner Loop Header: Depth=3
	s_delay_alu instid0(VALU_DEP_1)
	v_lshl_add_u32 v22, v21, 3, 0
	s_mov_b32 s39, exec_lo
                                        ; implicit-def: $sgpr40
	ds_load_b64 v[9:10], v22
	s_waitcnt lgkmcnt(0)
	v_cmpx_ne_u64_e64 v[9:10], v[7:8]
	s_xor_b32 s39, exec_lo, s39
	s_cbranch_execz .LBB97_25
; %bb.18:                               ;   in Loop: Header=BB97_17 Depth=3
	s_mov_b32 s41, exec_lo
                                        ; implicit-def: $sgpr40
	v_cmpx_ne_u64_e64 s[34:35], v[9:10]
	s_xor_b32 s41, exec_lo, s41
; %bb.19:                               ;   in Loop: Header=BB97_17 Depth=3
	v_add_nc_u32_e32 v9, 1, v21
	s_mov_b32 s40, -1
                                        ; implicit-def: $vgpr22
	s_delay_alu instid0(VALU_DEP_1)
	v_and_b32_e32 v21, 0x3ff, v9
; %bb.20:                               ;   in Loop: Header=BB97_17 Depth=3
	s_and_not1_saveexec_b32 s41, s41
	s_cbranch_execz .LBB97_24
; %bb.21:                               ;   in Loop: Header=BB97_17 Depth=3
	v_dual_mov_b32 v9, s34 :: v_dual_mov_b32 v10, s35
	s_mov_b32 s42, -1
	s_mov_b32 s43, exec_lo
	ds_cmpstore_rtn_b64 v[9:10], v22, v[7:8], v[9:10]
	s_waitcnt lgkmcnt(0)
	v_cmpx_eq_u64_e64 s[34:35], v[9:10]
	s_cbranch_execz .LBB97_23
; %bb.22:                               ;   in Loop: Header=BB97_17 Depth=3
	v_lshlrev_b32_e32 v9, 2, v21
	s_xor_b32 s42, exec_lo, -1
	s_delay_alu instid0(VALU_DEP_1)
	v_sub_nc_u32_e32 v9, v22, v9
	ds_add_f32 v9, v20 offset:8192
.LBB97_23:                              ;   in Loop: Header=BB97_17 Depth=3
	s_or_b32 exec_lo, exec_lo, s43
	s_delay_alu instid0(SALU_CYCLE_1) | instskip(SKIP_1) | instid1(SALU_CYCLE_1)
	s_and_not1_b32 s40, s40, exec_lo
	s_and_b32 s42, s42, exec_lo
	s_or_b32 s40, s40, s42
.LBB97_24:                              ;   in Loop: Header=BB97_17 Depth=3
	s_or_b32 exec_lo, exec_lo, s41
	s_delay_alu instid0(SALU_CYCLE_1)
	s_and_b32 s40, s40, exec_lo
                                        ; implicit-def: $vgpr22
.LBB97_25:                              ;   in Loop: Header=BB97_17 Depth=3
	s_and_not1_saveexec_b32 s39, s39
	s_cbranch_execz .LBB97_16
; %bb.26:                               ;   in Loop: Header=BB97_17 Depth=3
	v_lshlrev_b32_e32 v9, 2, v21
	s_and_not1_b32 s40, s40, exec_lo
	s_delay_alu instid0(VALU_DEP_1)
	v_sub_nc_u32_e32 v9, v22, v9
	ds_add_f32 v9, v20 offset:8192
	s_branch .LBB97_16
.LBB97_27:
	s_or_b32 exec_lo, exec_lo, s2
.LBB97_28:
	s_delay_alu instid0(SALU_CYCLE_1)
	s_and_not1_b32 vcc_lo, exec_lo, s33
	s_cbranch_vccnz .LBB97_45
; %bb.29:
	s_waitcnt lgkmcnt(0)
	s_lshl_b64 s[0:1], s[36:37], 3
	v_sub_co_u32 v1, s4, v0, s23
	s_add_u32 s0, s12, s0
	s_addc_u32 s1, s13, s1
	v_sub_co_ci_u32_e64 v2, null, 0, 0, s4
	s_load_b128 s[0:3], s[0:1], 0x0
	s_waitcnt lgkmcnt(0)
	v_add_co_u32 v1, vcc_lo, s0, v1
	s_delay_alu instid0(VALU_DEP_2)
	v_add_co_ci_u32_e32 v2, vcc_lo, s1, v2, vcc_lo
	s_sub_u32 s0, s2, s23
	s_subb_u32 s1, s3, 0
	s_mov_b32 s2, 0
	s_mov_b32 s3, exec_lo
	v_cmpx_gt_i64_e64 s[0:1], v[1:2]
	s_cbranch_execz .LBB97_44
; %bb.30:
	s_mov_b32 s4, s23
	s_branch .LBB97_32
.LBB97_31:                              ;   in Loop: Header=BB97_32 Depth=1
	s_or_b32 exec_lo, exec_lo, s5
	v_add_co_u32 v1, vcc_lo, 0x200, v1
	v_add_co_ci_u32_e32 v2, vcc_lo, 0, v2, vcc_lo
	s_delay_alu instid0(VALU_DEP_1) | instskip(SKIP_1) | instid1(SALU_CYCLE_1)
	v_cmp_le_i64_e32 vcc_lo, s[0:1], v[1:2]
	s_or_b32 s2, vcc_lo, s2
	s_and_not1_b32 exec_lo, exec_lo, s2
	s_cbranch_execz .LBB97_44
.LBB97_32:                              ; =>This Loop Header: Depth=1
                                        ;     Child Loop BB97_34 Depth 2
	v_lshlrev_b64 v[3:4], 3, v[1:2]
	v_lshlrev_b64 v[5:6], 2, v[1:2]
	s_mov_b32 s5, 0
	s_delay_alu instid0(VALU_DEP_2) | instskip(NEXT) | instid1(VALU_DEP_3)
	v_add_co_u32 v3, vcc_lo, s14, v3
	v_add_co_ci_u32_e32 v4, vcc_lo, s15, v4, vcc_lo
	s_delay_alu instid0(VALU_DEP_3) | instskip(NEXT) | instid1(VALU_DEP_4)
	v_add_co_u32 v5, vcc_lo, s16, v5
	v_add_co_ci_u32_e32 v6, vcc_lo, s17, v6, vcc_lo
	global_load_b64 v[3:4], v[3:4], off
	global_load_b32 v5, v[5:6], off
	s_waitcnt vmcnt(1)
	v_sub_co_u32 v3, vcc_lo, v3, s4
	v_subrev_co_ci_u32_e32 v4, vcc_lo, 0, v4, vcc_lo
	s_delay_alu instid0(VALU_DEP_2) | instskip(SKIP_1) | instid1(VALU_DEP_1)
	v_mul_lo_u32 v6, 0x89, v3
	s_waitcnt vmcnt(0)
	v_dual_mul_f32 v7, v14, v5 :: v_dual_and_b32 v8, 0x3ff, v6
	s_branch .LBB97_34
.LBB97_33:                              ;   in Loop: Header=BB97_34 Depth=2
	s_or_b32 exec_lo, exec_lo, s6
	s_xor_b32 s6, s7, -1
	s_delay_alu instid0(SALU_CYCLE_1) | instskip(NEXT) | instid1(SALU_CYCLE_1)
	s_and_b32 s6, exec_lo, s6
	s_or_b32 s5, s6, s5
	s_delay_alu instid0(SALU_CYCLE_1)
	s_and_not1_b32 exec_lo, exec_lo, s5
	s_cbranch_execz .LBB97_31
.LBB97_34:                              ;   Parent Loop BB97_32 Depth=1
                                        ; =>  This Inner Loop Header: Depth=2
	s_delay_alu instid0(VALU_DEP_1)
	v_lshl_add_u32 v9, v8, 3, 0
	s_mov_b32 s6, exec_lo
                                        ; implicit-def: $sgpr7
	ds_load_b64 v[5:6], v9
	s_waitcnt lgkmcnt(0)
	v_cmpx_ne_u64_e64 v[5:6], v[3:4]
	s_xor_b32 s6, exec_lo, s6
	s_cbranch_execz .LBB97_42
; %bb.35:                               ;   in Loop: Header=BB97_34 Depth=2
	s_mov_b32 s8, exec_lo
                                        ; implicit-def: $sgpr7
	v_cmpx_ne_u64_e64 s[34:35], v[5:6]
	s_xor_b32 s8, exec_lo, s8
; %bb.36:                               ;   in Loop: Header=BB97_34 Depth=2
	v_add_nc_u32_e32 v5, 1, v8
	s_mov_b32 s7, -1
                                        ; implicit-def: $vgpr9
	s_delay_alu instid0(VALU_DEP_1)
	v_and_b32_e32 v8, 0x3ff, v5
; %bb.37:                               ;   in Loop: Header=BB97_34 Depth=2
	s_and_not1_saveexec_b32 s8, s8
	s_cbranch_execz .LBB97_41
; %bb.38:                               ;   in Loop: Header=BB97_34 Depth=2
	v_dual_mov_b32 v5, s34 :: v_dual_mov_b32 v6, s35
	s_mov_b32 s9, -1
	s_mov_b32 s10, exec_lo
	ds_cmpstore_rtn_b64 v[5:6], v9, v[3:4], v[5:6]
	s_waitcnt lgkmcnt(0)
	v_cmpx_eq_u64_e64 s[34:35], v[5:6]
	s_cbranch_execz .LBB97_40
; %bb.39:                               ;   in Loop: Header=BB97_34 Depth=2
	v_lshlrev_b32_e32 v5, 2, v8
	s_xor_b32 s9, exec_lo, -1
	s_delay_alu instid0(VALU_DEP_1)
	v_sub_nc_u32_e32 v5, v9, v5
	ds_add_f32 v5, v7 offset:8192
.LBB97_40:                              ;   in Loop: Header=BB97_34 Depth=2
	s_or_b32 exec_lo, exec_lo, s10
	s_delay_alu instid0(SALU_CYCLE_1) | instskip(SKIP_1) | instid1(SALU_CYCLE_1)
	s_and_not1_b32 s7, s7, exec_lo
	s_and_b32 s9, s9, exec_lo
	s_or_b32 s7, s7, s9
.LBB97_41:                              ;   in Loop: Header=BB97_34 Depth=2
	s_or_b32 exec_lo, exec_lo, s8
	s_delay_alu instid0(SALU_CYCLE_1)
	s_and_b32 s7, s7, exec_lo
                                        ; implicit-def: $vgpr9
.LBB97_42:                              ;   in Loop: Header=BB97_34 Depth=2
	s_and_not1_saveexec_b32 s6, s6
	s_cbranch_execz .LBB97_33
; %bb.43:                               ;   in Loop: Header=BB97_34 Depth=2
	v_lshlrev_b32_e32 v5, 2, v8
	s_and_not1_b32 s7, s7, exec_lo
	s_delay_alu instid0(VALU_DEP_1)
	v_sub_nc_u32_e32 v5, v9, v5
	ds_add_f32 v5, v7 offset:8192
	s_branch .LBB97_33
.LBB97_44:
	s_or_b32 exec_lo, exec_lo, s3
.LBB97_45:
	v_mbcnt_lo_u32_b32 v1, -1, 0
	v_lshl_add_u32 v10, v15, 3, 0
	v_cmp_eq_u32_e32 vcc_lo, 0x1ff, v0
	v_cmp_lt_u32_e64 s0, 31, v0
	v_cmp_lt_u32_e64 s1, 63, v0
	v_xor_b32_e32 v1, 63, v1
	v_cmp_lt_u32_e64 s2, 0x5f, v0
	v_cmp_lt_u32_e64 s3, 0x7f, v0
	;; [unrolled: 1-line block ×4, first 2 shown]
	v_lshrrev_b64 v[1:2], v1, -1
	v_dual_mov_b32 v2, 0 :: v_dual_mov_b32 v5, 0
	v_cmp_lt_u32_e64 s6, 0xdf, v0
	v_cmp_lt_u32_e64 s7, 0xff, v0
	;; [unrolled: 1-line block ×9, first 2 shown]
	v_mov_b32_e32 v3, 0
	s_mov_b32 s16, 0
	s_waitcnt lgkmcnt(0)
	s_barrier
	buffer_gl0_inv
	s_branch .LBB97_47
.LBB97_46:                              ;   in Loop: Header=BB97_47 Depth=1
	s_or_b32 exec_lo, exec_lo, s15
	s_waitcnt lgkmcnt(0)
	s_barrier
	buffer_gl0_inv
	ds_load_b64 v[6:7], v5 offset:12408
	v_add_co_u32 v12, s15, 0x200, v12
	s_delay_alu instid0(VALU_DEP_1) | instskip(SKIP_4) | instid1(VALU_DEP_1)
	s_xor_b32 s17, s15, -1
	v_add_nc_u32_e32 v13, 0x800, v13
	v_add_nc_u32_e32 v11, 0x1000, v11
	s_waitcnt lgkmcnt(0)
	v_add_co_u32 v2, s15, v6, v2
	v_add_co_ci_u32_e64 v3, s15, v7, v3, s15
	s_and_b32 s15, exec_lo, s17
	s_delay_alu instid0(SALU_CYCLE_1) | instskip(NEXT) | instid1(SALU_CYCLE_1)
	s_or_b32 s16, s15, s16
	s_and_not1_b32 exec_lo, exec_lo, s16
	s_cbranch_execz .LBB97_81
.LBB97_47:                              ; =>This Inner Loop Header: Depth=1
	ds_load_b64 v[6:7], v11
	ds_load_b32 v14, v13
	s_waitcnt lgkmcnt(0)
	s_barrier
	buffer_gl0_inv
	v_cmp_gt_i64_e64 s15, s[34:35], v[6:7]
	s_delay_alu instid0(VALU_DEP_1) | instskip(SKIP_1) | instid1(SALU_CYCLE_1)
	v_and_b32_e32 v8, s15, v1
	s_bcnt1_i32_b32 s17, s15
	v_mov_b32_e32 v4, s17
	s_delay_alu instid0(VALU_DEP_2)
	v_bcnt_u32_b32 v8, v8, 0
	ds_store_b64 v10, v[4:5] offset:12288
	s_waitcnt lgkmcnt(0)
	s_barrier
	buffer_gl0_inv
	s_and_saveexec_b32 s17, s0
	s_cbranch_execnz .LBB97_64
; %bb.48:                               ;   in Loop: Header=BB97_47 Depth=1
	s_or_b32 exec_lo, exec_lo, s17
	s_and_saveexec_b32 s17, s1
	s_cbranch_execnz .LBB97_65
.LBB97_49:                              ;   in Loop: Header=BB97_47 Depth=1
	s_or_b32 exec_lo, exec_lo, s17
	s_and_saveexec_b32 s17, s2
	s_cbranch_execnz .LBB97_66
.LBB97_50:                              ;   in Loop: Header=BB97_47 Depth=1
	s_or_b32 exec_lo, exec_lo, s17
	s_and_saveexec_b32 s17, s3
	s_cbranch_execnz .LBB97_67
.LBB97_51:                              ;   in Loop: Header=BB97_47 Depth=1
	s_or_b32 exec_lo, exec_lo, s17
	s_and_saveexec_b32 s17, s4
	s_cbranch_execnz .LBB97_68
.LBB97_52:                              ;   in Loop: Header=BB97_47 Depth=1
	s_or_b32 exec_lo, exec_lo, s17
	s_and_saveexec_b32 s17, s5
	s_cbranch_execnz .LBB97_69
.LBB97_53:                              ;   in Loop: Header=BB97_47 Depth=1
	s_or_b32 exec_lo, exec_lo, s17
	s_and_saveexec_b32 s17, s6
	s_cbranch_execnz .LBB97_70
.LBB97_54:                              ;   in Loop: Header=BB97_47 Depth=1
	s_or_b32 exec_lo, exec_lo, s17
	s_and_saveexec_b32 s17, s7
	s_cbranch_execnz .LBB97_71
.LBB97_55:                              ;   in Loop: Header=BB97_47 Depth=1
	s_or_b32 exec_lo, exec_lo, s17
	s_and_saveexec_b32 s17, s8
	s_cbranch_execnz .LBB97_72
.LBB97_56:                              ;   in Loop: Header=BB97_47 Depth=1
	s_or_b32 exec_lo, exec_lo, s17
	s_and_saveexec_b32 s17, s9
	s_cbranch_execnz .LBB97_73
.LBB97_57:                              ;   in Loop: Header=BB97_47 Depth=1
	s_or_b32 exec_lo, exec_lo, s17
	s_and_saveexec_b32 s17, s10
	s_cbranch_execnz .LBB97_74
.LBB97_58:                              ;   in Loop: Header=BB97_47 Depth=1
	s_or_b32 exec_lo, exec_lo, s17
	s_and_saveexec_b32 s17, s11
	s_cbranch_execnz .LBB97_75
.LBB97_59:                              ;   in Loop: Header=BB97_47 Depth=1
	s_or_b32 exec_lo, exec_lo, s17
	s_and_saveexec_b32 s17, s12
	s_cbranch_execnz .LBB97_76
.LBB97_60:                              ;   in Loop: Header=BB97_47 Depth=1
	s_or_b32 exec_lo, exec_lo, s17
	s_and_saveexec_b32 s17, s13
	s_cbranch_execnz .LBB97_77
.LBB97_61:                              ;   in Loop: Header=BB97_47 Depth=1
	s_or_b32 exec_lo, exec_lo, s17
	s_and_saveexec_b32 s17, s14
	s_cbranch_execnz .LBB97_78
.LBB97_62:                              ;   in Loop: Header=BB97_47 Depth=1
	s_or_b32 exec_lo, exec_lo, s17
	v_ashrrev_i32_e32 v9, 31, v8
	s_and_saveexec_b32 s17, s15
	s_cbranch_execnz .LBB97_79
.LBB97_63:                              ;   in Loop: Header=BB97_47 Depth=1
	s_or_b32 exec_lo, exec_lo, s17
	s_and_saveexec_b32 s15, vcc_lo
	s_cbranch_execz .LBB97_46
	s_branch .LBB97_80
.LBB97_64:                              ;   in Loop: Header=BB97_47 Depth=1
	ds_load_b32 v4, v5 offset:12288
	s_waitcnt lgkmcnt(0)
	v_add_nc_u32_e32 v8, v4, v8
	s_or_b32 exec_lo, exec_lo, s17
	s_and_saveexec_b32 s17, s1
	s_cbranch_execz .LBB97_49
.LBB97_65:                              ;   in Loop: Header=BB97_47 Depth=1
	ds_load_b32 v4, v5 offset:12296
	s_waitcnt lgkmcnt(0)
	v_add_nc_u32_e32 v8, v8, v4
	s_or_b32 exec_lo, exec_lo, s17
	s_and_saveexec_b32 s17, s2
	s_cbranch_execz .LBB97_50
.LBB97_66:                              ;   in Loop: Header=BB97_47 Depth=1
	ds_load_b32 v4, v5 offset:12304
	s_waitcnt lgkmcnt(0)
	v_add_nc_u32_e32 v8, v8, v4
	s_or_b32 exec_lo, exec_lo, s17
	s_and_saveexec_b32 s17, s3
	s_cbranch_execz .LBB97_51
.LBB97_67:                              ;   in Loop: Header=BB97_47 Depth=1
	ds_load_b32 v4, v5 offset:12312
	s_waitcnt lgkmcnt(0)
	v_add_nc_u32_e32 v8, v8, v4
	s_or_b32 exec_lo, exec_lo, s17
	s_and_saveexec_b32 s17, s4
	s_cbranch_execz .LBB97_52
.LBB97_68:                              ;   in Loop: Header=BB97_47 Depth=1
	ds_load_b32 v4, v5 offset:12320
	s_waitcnt lgkmcnt(0)
	v_add_nc_u32_e32 v8, v8, v4
	s_or_b32 exec_lo, exec_lo, s17
	s_and_saveexec_b32 s17, s5
	s_cbranch_execz .LBB97_53
.LBB97_69:                              ;   in Loop: Header=BB97_47 Depth=1
	ds_load_b32 v4, v5 offset:12328
	s_waitcnt lgkmcnt(0)
	v_add_nc_u32_e32 v8, v8, v4
	s_or_b32 exec_lo, exec_lo, s17
	s_and_saveexec_b32 s17, s6
	s_cbranch_execz .LBB97_54
.LBB97_70:                              ;   in Loop: Header=BB97_47 Depth=1
	ds_load_b32 v4, v5 offset:12336
	s_waitcnt lgkmcnt(0)
	v_add_nc_u32_e32 v8, v8, v4
	s_or_b32 exec_lo, exec_lo, s17
	s_and_saveexec_b32 s17, s7
	s_cbranch_execz .LBB97_55
.LBB97_71:                              ;   in Loop: Header=BB97_47 Depth=1
	ds_load_b32 v4, v5 offset:12344
	s_waitcnt lgkmcnt(0)
	v_add_nc_u32_e32 v8, v8, v4
	s_or_b32 exec_lo, exec_lo, s17
	s_and_saveexec_b32 s17, s8
	s_cbranch_execz .LBB97_56
.LBB97_72:                              ;   in Loop: Header=BB97_47 Depth=1
	ds_load_b32 v4, v5 offset:12352
	s_waitcnt lgkmcnt(0)
	v_add_nc_u32_e32 v8, v8, v4
	s_or_b32 exec_lo, exec_lo, s17
	s_and_saveexec_b32 s17, s9
	s_cbranch_execz .LBB97_57
.LBB97_73:                              ;   in Loop: Header=BB97_47 Depth=1
	ds_load_b32 v4, v5 offset:12360
	s_waitcnt lgkmcnt(0)
	v_add_nc_u32_e32 v8, v8, v4
	s_or_b32 exec_lo, exec_lo, s17
	s_and_saveexec_b32 s17, s10
	s_cbranch_execz .LBB97_58
.LBB97_74:                              ;   in Loop: Header=BB97_47 Depth=1
	ds_load_b32 v4, v5 offset:12368
	s_waitcnt lgkmcnt(0)
	v_add_nc_u32_e32 v8, v8, v4
	s_or_b32 exec_lo, exec_lo, s17
	s_and_saveexec_b32 s17, s11
	s_cbranch_execz .LBB97_59
.LBB97_75:                              ;   in Loop: Header=BB97_47 Depth=1
	ds_load_b32 v4, v5 offset:12376
	s_waitcnt lgkmcnt(0)
	v_add_nc_u32_e32 v8, v8, v4
	s_or_b32 exec_lo, exec_lo, s17
	s_and_saveexec_b32 s17, s12
	s_cbranch_execz .LBB97_60
.LBB97_76:                              ;   in Loop: Header=BB97_47 Depth=1
	ds_load_b32 v4, v5 offset:12384
	s_waitcnt lgkmcnt(0)
	v_add_nc_u32_e32 v8, v8, v4
	s_or_b32 exec_lo, exec_lo, s17
	s_and_saveexec_b32 s17, s13
	s_cbranch_execz .LBB97_61
.LBB97_77:                              ;   in Loop: Header=BB97_47 Depth=1
	ds_load_b32 v4, v5 offset:12392
	s_waitcnt lgkmcnt(0)
	v_add_nc_u32_e32 v8, v8, v4
	s_or_b32 exec_lo, exec_lo, s17
	s_and_saveexec_b32 s17, s14
	s_cbranch_execz .LBB97_62
.LBB97_78:                              ;   in Loop: Header=BB97_47 Depth=1
	ds_load_b32 v4, v5 offset:12400
	s_waitcnt lgkmcnt(0)
	v_add_nc_u32_e32 v8, v8, v4
	s_or_b32 exec_lo, exec_lo, s17
	s_delay_alu instid0(VALU_DEP_1)
	v_ashrrev_i32_e32 v9, 31, v8
	s_and_saveexec_b32 s17, s15
	s_cbranch_execz .LBB97_63
.LBB97_79:                              ;   in Loop: Header=BB97_47 Depth=1
	v_add3_u32 v4, v2, -1, v8
	s_delay_alu instid0(VALU_DEP_1)
	v_lshl_add_u32 v15, v4, 3, 0
	v_lshl_add_u32 v4, v4, 2, 0
	ds_store_b64 v15, v[6:7]
	ds_store_b32 v4, v14 offset:8192
	s_or_b32 exec_lo, exec_lo, s17
	s_and_saveexec_b32 s15, vcc_lo
	s_cbranch_execz .LBB97_46
.LBB97_80:                              ;   in Loop: Header=BB97_47 Depth=1
	ds_store_b64 v5, v[8:9] offset:12408
	s_branch .LBB97_46
.LBB97_81:
	s_or_b32 exec_lo, exec_lo, s16
	s_lshl_b64 s[0:1], s[36:37], 3
	v_mov_b32_e32 v1, 0
	s_add_u32 s0, s18, s0
	s_addc_u32 s1, s19, s1
	s_mov_b32 s6, exec_lo
	s_load_b128 s[0:3], s[0:1], 0x0
	s_waitcnt lgkmcnt(0)
	s_sub_u32 s4, s2, s0
	s_subb_u32 s5, s3, s1
	s_delay_alu instid0(SALU_CYCLE_1)
	v_cmpx_gt_i64_e64 s[4:5], v[0:1]
	s_cbranch_execz .LBB97_91
; %bb.82:
	s_sub_u32 s8, s0, s22
	s_subb_u32 s9, s1, 0
	s_and_b32 s6, s4, 7
	s_sub_u32 s0, s0, s2
	s_subb_u32 s1, s1, s3
	s_mov_b32 s7, 0
	v_cmp_lt_u64_e64 s12, s[0:1], -7
	s_and_b32 s2, s4, -8
	s_cmp_lg_u64 s[6:7], 0
	s_mov_b32 s3, s5
	s_cselect_b32 s13, -1, 0
	s_mov_b32 s14, s7
	s_branch .LBB97_84
.LBB97_83:                              ;   in Loop: Header=BB97_84 Depth=1
	s_waitcnt lgkmcnt(1)
	v_add_co_u32 v2, vcc_lo, v2, s22
	v_lshlrev_b64 v[7:8], 3, v[4:5]
	v_add_co_ci_u32_e32 v3, vcc_lo, 0, v3, vcc_lo
	v_add_co_u32 v0, vcc_lo, 0x200, v0
	v_add_co_ci_u32_e32 v1, vcc_lo, 0, v1, vcc_lo
	v_lshlrev_b64 v[4:5], 2, v[4:5]
	v_add_co_u32 v7, vcc_lo, s24, v7
	v_add_co_ci_u32_e32 v8, vcc_lo, s25, v8, vcc_lo
	s_delay_alu instid0(VALU_DEP_4) | instskip(NEXT) | instid1(VALU_DEP_4)
	v_cmp_le_i64_e32 vcc_lo, s[4:5], v[0:1]
	v_add_co_u32 v4, s0, s26, v4
	s_delay_alu instid0(VALU_DEP_1) | instskip(SKIP_4) | instid1(SALU_CYCLE_1)
	v_add_co_ci_u32_e64 v5, s0, s27, v5, s0
	global_store_b64 v[7:8], v[2:3], off
	s_waitcnt lgkmcnt(0)
	global_store_b32 v[4:5], v6, off
	s_or_b32 s14, vcc_lo, s14
	s_and_not1_b32 exec_lo, exec_lo, s14
	s_cbranch_execz .LBB97_91
.LBB97_84:                              ; =>This Loop Header: Depth=1
                                        ;     Child Loop BB97_86 Depth 2
                                        ;     Child Loop BB97_90 Depth 2
	v_lshl_add_u32 v2, v0, 3, 0
	v_lshlrev_b32_e32 v3, 2, v0
	s_and_not1_b32 vcc_lo, exec_lo, s12
	s_mov_b64 s[0:1], 0
	s_delay_alu instid0(VALU_DEP_1)
	v_sub_nc_u32_e32 v4, v2, v3
	ds_load_b64 v[2:3], v2
	ds_load_b32 v6, v4 offset:8192
	v_dual_mov_b32 v4, s8 :: v_dual_mov_b32 v5, s9
	s_cbranch_vccnz .LBB97_88
; %bb.85:                               ;   in Loop: Header=BB97_84 Depth=1
	v_dual_mov_b32 v4, s8 :: v_dual_mov_b32 v5, s9
	s_mov_b64 s[10:11], 0
	s_mov_b32 s1, 0
.LBB97_86:                              ;   Parent Loop BB97_84 Depth=1
                                        ; =>  This Inner Loop Header: Depth=2
	s_delay_alu instid0(SALU_CYCLE_1)
	v_mov_b32_e32 v19, s1
	s_add_u32 s10, s10, 8
	s_addc_u32 s11, s11, 0
	s_add_i32 s1, s1, 64
	s_cmp_eq_u64 s[2:3], s[10:11]
	ds_load_2addr_b64 v[7:10], v19 offset1:1
	ds_load_2addr_b64 v[11:14], v19 offset0:2 offset1:3
	ds_load_2addr_b64 v[15:18], v19 offset0:4 offset1:5
	;; [unrolled: 1-line block ×3, first 2 shown]
	s_waitcnt lgkmcnt(3)
	v_cmp_gt_i64_e32 vcc_lo, v[2:3], v[7:8]
	v_cndmask_b32_e64 v7, 0, 1, vcc_lo
	v_cmp_gt_i64_e32 vcc_lo, v[2:3], v[9:10]
	v_cndmask_b32_e64 v8, 0, 1, vcc_lo
	s_waitcnt lgkmcnt(2)
	v_cmp_gt_i64_e32 vcc_lo, v[2:3], v[11:12]
	v_cndmask_b32_e64 v9, 0, 1, vcc_lo
	v_cmp_gt_i64_e32 vcc_lo, v[2:3], v[13:14]
	v_cndmask_b32_e64 v10, 0, 1, vcc_lo
	s_waitcnt lgkmcnt(1)
	v_cmp_gt_i64_e32 vcc_lo, v[2:3], v[15:16]
	v_cndmask_b32_e64 v11, 0, 1, vcc_lo
	v_add_co_u32 v4, vcc_lo, v4, v7
	v_add_co_ci_u32_e32 v5, vcc_lo, 0, v5, vcc_lo
	v_cmp_gt_i64_e32 vcc_lo, v[2:3], v[17:18]
	s_delay_alu instid0(VALU_DEP_3) | instskip(NEXT) | instid1(VALU_DEP_1)
	v_add_co_u32 v4, s0, v4, v8
	v_add_co_ci_u32_e64 v5, s0, 0, v5, s0
	v_cndmask_b32_e64 v7, 0, 1, vcc_lo
	s_delay_alu instid0(VALU_DEP_3) | instskip(NEXT) | instid1(VALU_DEP_3)
	v_add_co_u32 v4, vcc_lo, v4, v9
	v_add_co_ci_u32_e32 v5, vcc_lo, 0, v5, vcc_lo
	s_waitcnt lgkmcnt(0)
	v_cmp_gt_i64_e32 vcc_lo, v[2:3], v[19:20]
	s_delay_alu instid0(VALU_DEP_3) | instskip(NEXT) | instid1(VALU_DEP_1)
	v_add_co_u32 v4, s0, v4, v10
	v_add_co_ci_u32_e64 v5, s0, 0, v5, s0
	v_cndmask_b32_e64 v8, 0, 1, vcc_lo
	s_delay_alu instid0(VALU_DEP_3) | instskip(NEXT) | instid1(VALU_DEP_3)
	v_add_co_u32 v4, vcc_lo, v4, v11
	v_add_co_ci_u32_e32 v5, vcc_lo, 0, v5, vcc_lo
	v_cmp_gt_i64_e32 vcc_lo, v[2:3], v[21:22]
	s_delay_alu instid0(VALU_DEP_3) | instskip(NEXT) | instid1(VALU_DEP_1)
	v_add_co_u32 v4, s0, v4, v7
	v_add_co_ci_u32_e64 v5, s0, 0, v5, s0
	v_cndmask_b32_e64 v7, 0, 1, vcc_lo
	s_delay_alu instid0(VALU_DEP_3) | instskip(NEXT) | instid1(VALU_DEP_3)
	v_add_co_u32 v4, vcc_lo, v4, v8
	v_add_co_ci_u32_e32 v5, vcc_lo, 0, v5, vcc_lo
	s_delay_alu instid0(VALU_DEP_2) | instskip(NEXT) | instid1(VALU_DEP_2)
	v_add_co_u32 v4, vcc_lo, v4, v7
	v_add_co_ci_u32_e32 v5, vcc_lo, 0, v5, vcc_lo
	s_cbranch_scc0 .LBB97_86
; %bb.87:                               ;   in Loop: Header=BB97_84 Depth=1
	s_mov_b64 s[0:1], s[2:3]
.LBB97_88:                              ;   in Loop: Header=BB97_84 Depth=1
	s_and_not1_b32 vcc_lo, exec_lo, s13
	s_cbranch_vccnz .LBB97_83
; %bb.89:                               ;   in Loop: Header=BB97_84 Depth=1
	s_lshl_b32 s0, s0, 3
	s_delay_alu instid0(SALU_CYCLE_1)
	s_add_i32 s10, s0, 0
	s_mov_b64 s[0:1], s[6:7]
.LBB97_90:                              ;   Parent Loop BB97_84 Depth=1
                                        ; =>  This Inner Loop Header: Depth=2
	v_mov_b32_e32 v7, s10
	s_add_i32 s10, s10, 8
	s_add_u32 s0, s0, -1
	s_addc_u32 s1, s1, -1
	s_delay_alu instid0(SALU_CYCLE_1) | instskip(SKIP_4) | instid1(VALU_DEP_1)
	s_cmp_lg_u64 s[0:1], 0
	ds_load_b64 v[7:8], v7
	s_waitcnt lgkmcnt(0)
	v_cmp_gt_i64_e32 vcc_lo, v[2:3], v[7:8]
	v_cndmask_b32_e64 v7, 0, 1, vcc_lo
	v_add_co_u32 v4, vcc_lo, v4, v7
	v_add_co_ci_u32_e32 v5, vcc_lo, 0, v5, vcc_lo
	s_cbranch_scc1 .LBB97_90
	s_branch .LBB97_83
.LBB97_91:
	s_nop 0
	s_sendmsg sendmsg(MSG_DEALLOC_VGPRS)
	s_endpgm
	.section	.rodata,"a",@progbits
	.p2align	6, 0x0
	.amdhsa_kernel _ZN9rocsparseL26csrgemm_fill_block_per_rowILj512ELj32ELj1024ELj137ELj32EllfEEvT5_PKS1_S3_NS_24const_host_device_scalarIT6_EEPKT4_S3_PKS5_S9_S3_SB_S6_S9_S3_SB_S9_PS1_PS5_21rocsparse_index_base_SE_SE_SE_bbb
		.amdhsa_group_segment_fixed_size 0
		.amdhsa_private_segment_fixed_size 0
		.amdhsa_kernarg_size 156
		.amdhsa_user_sgpr_count 15
		.amdhsa_user_sgpr_dispatch_ptr 0
		.amdhsa_user_sgpr_queue_ptr 0
		.amdhsa_user_sgpr_kernarg_segment_ptr 1
		.amdhsa_user_sgpr_dispatch_id 0
		.amdhsa_user_sgpr_private_segment_size 0
		.amdhsa_wavefront_size32 1
		.amdhsa_uses_dynamic_stack 0
		.amdhsa_enable_private_segment 0
		.amdhsa_system_sgpr_workgroup_id_x 1
		.amdhsa_system_sgpr_workgroup_id_y 0
		.amdhsa_system_sgpr_workgroup_id_z 0
		.amdhsa_system_sgpr_workgroup_info 0
		.amdhsa_system_vgpr_workitem_id 0
		.amdhsa_next_free_vgpr 23
		.amdhsa_next_free_sgpr 44
		.amdhsa_reserve_vcc 1
		.amdhsa_float_round_mode_32 0
		.amdhsa_float_round_mode_16_64 0
		.amdhsa_float_denorm_mode_32 3
		.amdhsa_float_denorm_mode_16_64 3
		.amdhsa_dx10_clamp 1
		.amdhsa_ieee_mode 1
		.amdhsa_fp16_overflow 0
		.amdhsa_workgroup_processor_mode 1
		.amdhsa_memory_ordered 1
		.amdhsa_forward_progress 0
		.amdhsa_shared_vgpr_count 0
		.amdhsa_exception_fp_ieee_invalid_op 0
		.amdhsa_exception_fp_denorm_src 0
		.amdhsa_exception_fp_ieee_div_zero 0
		.amdhsa_exception_fp_ieee_overflow 0
		.amdhsa_exception_fp_ieee_underflow 0
		.amdhsa_exception_fp_ieee_inexact 0
		.amdhsa_exception_int_div_zero 0
	.end_amdhsa_kernel
	.section	.text._ZN9rocsparseL26csrgemm_fill_block_per_rowILj512ELj32ELj1024ELj137ELj32EllfEEvT5_PKS1_S3_NS_24const_host_device_scalarIT6_EEPKT4_S3_PKS5_S9_S3_SB_S6_S9_S3_SB_S9_PS1_PS5_21rocsparse_index_base_SE_SE_SE_bbb,"axG",@progbits,_ZN9rocsparseL26csrgemm_fill_block_per_rowILj512ELj32ELj1024ELj137ELj32EllfEEvT5_PKS1_S3_NS_24const_host_device_scalarIT6_EEPKT4_S3_PKS5_S9_S3_SB_S6_S9_S3_SB_S9_PS1_PS5_21rocsparse_index_base_SE_SE_SE_bbb,comdat
.Lfunc_end97:
	.size	_ZN9rocsparseL26csrgemm_fill_block_per_rowILj512ELj32ELj1024ELj137ELj32EllfEEvT5_PKS1_S3_NS_24const_host_device_scalarIT6_EEPKT4_S3_PKS5_S9_S3_SB_S6_S9_S3_SB_S9_PS1_PS5_21rocsparse_index_base_SE_SE_SE_bbb, .Lfunc_end97-_ZN9rocsparseL26csrgemm_fill_block_per_rowILj512ELj32ELj1024ELj137ELj32EllfEEvT5_PKS1_S3_NS_24const_host_device_scalarIT6_EEPKT4_S3_PKS5_S9_S3_SB_S6_S9_S3_SB_S9_PS1_PS5_21rocsparse_index_base_SE_SE_SE_bbb
                                        ; -- End function
	.section	.AMDGPU.csdata,"",@progbits
; Kernel info:
; codeLenInByte = 3592
; NumSgprs: 46
; NumVgprs: 23
; ScratchSize: 0
; MemoryBound: 0
; FloatMode: 240
; IeeeMode: 1
; LDSByteSize: 0 bytes/workgroup (compile time only)
; SGPRBlocks: 5
; VGPRBlocks: 2
; NumSGPRsForWavesPerEU: 46
; NumVGPRsForWavesPerEU: 23
; Occupancy: 16
; WaveLimiterHint : 1
; COMPUTE_PGM_RSRC2:SCRATCH_EN: 0
; COMPUTE_PGM_RSRC2:USER_SGPR: 15
; COMPUTE_PGM_RSRC2:TRAP_HANDLER: 0
; COMPUTE_PGM_RSRC2:TGID_X_EN: 1
; COMPUTE_PGM_RSRC2:TGID_Y_EN: 0
; COMPUTE_PGM_RSRC2:TGID_Z_EN: 0
; COMPUTE_PGM_RSRC2:TIDIG_COMP_CNT: 0
	.section	.text._ZN9rocsparseL26csrgemm_fill_block_per_rowILj512ELj32ELj1024ELj137ELj64EllfEEvT5_PKS1_S3_NS_24const_host_device_scalarIT6_EEPKT4_S3_PKS5_S9_S3_SB_S6_S9_S3_SB_S9_PS1_PS5_21rocsparse_index_base_SE_SE_SE_bbb,"axG",@progbits,_ZN9rocsparseL26csrgemm_fill_block_per_rowILj512ELj32ELj1024ELj137ELj64EllfEEvT5_PKS1_S3_NS_24const_host_device_scalarIT6_EEPKT4_S3_PKS5_S9_S3_SB_S6_S9_S3_SB_S9_PS1_PS5_21rocsparse_index_base_SE_SE_SE_bbb,comdat
	.globl	_ZN9rocsparseL26csrgemm_fill_block_per_rowILj512ELj32ELj1024ELj137ELj64EllfEEvT5_PKS1_S3_NS_24const_host_device_scalarIT6_EEPKT4_S3_PKS5_S9_S3_SB_S6_S9_S3_SB_S9_PS1_PS5_21rocsparse_index_base_SE_SE_SE_bbb ; -- Begin function _ZN9rocsparseL26csrgemm_fill_block_per_rowILj512ELj32ELj1024ELj137ELj64EllfEEvT5_PKS1_S3_NS_24const_host_device_scalarIT6_EEPKT4_S3_PKS5_S9_S3_SB_S6_S9_S3_SB_S9_PS1_PS5_21rocsparse_index_base_SE_SE_SE_bbb
	.p2align	8
	.type	_ZN9rocsparseL26csrgemm_fill_block_per_rowILj512ELj32ELj1024ELj137ELj64EllfEEvT5_PKS1_S3_NS_24const_host_device_scalarIT6_EEPKT4_S3_PKS5_S9_S3_SB_S6_S9_S3_SB_S9_PS1_PS5_21rocsparse_index_base_SE_SE_SE_bbb,@function
_ZN9rocsparseL26csrgemm_fill_block_per_rowILj512ELj32ELj1024ELj137ELj64EllfEEvT5_PKS1_S3_NS_24const_host_device_scalarIT6_EEPKT4_S3_PKS5_S9_S3_SB_S6_S9_S3_SB_S9_PS1_PS5_21rocsparse_index_base_SE_SE_SE_bbb: ; @_ZN9rocsparseL26csrgemm_fill_block_per_rowILj512ELj32ELj1024ELj137ELj64EllfEEvT5_PKS1_S3_NS_24const_host_device_scalarIT6_EEPKT4_S3_PKS5_S9_S3_SB_S6_S9_S3_SB_S9_PS1_PS5_21rocsparse_index_base_SE_SE_SE_bbb
; %bb.0:
	s_clause 0x3
	s_load_b32 s3, s[0:1], 0x98
	s_load_b128 s[20:23], s[0:1], 0x88
	s_load_b64 s[4:5], s[0:1], 0x18
	s_load_b64 s[34:35], s[0:1], 0x50
	s_mov_b32 s2, s15
	s_waitcnt lgkmcnt(0)
	s_bitcmp1_b32 s3, 0
	s_cselect_b32 s40, -1, 0
	s_bitcmp1_b32 s3, 16
	s_cselect_b32 s41, -1, 0
	s_xor_b32 s6, s40, -1
	s_delay_alu instid0(SALU_CYCLE_1) | instskip(NEXT) | instid1(SALU_CYCLE_1)
	s_or_b32 s6, s6, s41
	s_and_b32 vcc_lo, exec_lo, s6
	s_cbranch_vccnz .LBB98_2
; %bb.1:
	s_load_b32 s4, s[4:5], 0x0
	s_waitcnt lgkmcnt(0)
	v_mov_b32_e32 v15, s4
	s_branch .LBB98_3
.LBB98_2:
	v_cndmask_b32_e64 v15, 0, s4, s40
.LBB98_3:
	s_clause 0x4
	s_load_b128 s[24:27], s[0:1], 0x78
	s_load_b256 s[4:11], s[0:1], 0x58
	s_load_b128 s[28:31], s[0:1], 0x40
	s_load_b128 s[36:39], s[0:1], 0x8
	s_load_b256 s[12:19], s[0:1], 0x20
	s_bitcmp1_b32 s3, 8
	s_cselect_b32 s33, -1, 0
	s_delay_alu instid0(SALU_CYCLE_1) | instskip(NEXT) | instid1(SALU_CYCLE_1)
	s_xor_b32 s3, s33, -1
	s_or_b32 s3, s3, s41
	s_delay_alu instid0(SALU_CYCLE_1)
	s_and_b32 vcc_lo, exec_lo, s3
	s_cbranch_vccnz .LBB98_5
; %bb.4:
	s_load_b32 s3, s[34:35], 0x0
	s_waitcnt lgkmcnt(0)
	v_mov_b32_e32 v14, s3
	s_branch .LBB98_6
.LBB98_5:
	v_cndmask_b32_e64 v14, 0, s34, s33
.LBB98_6:
	s_load_b64 s[34:35], s[0:1], 0x0
	v_lshl_add_u32 v11, v0, 3, 0
	v_lshlrev_b32_e32 v1, 2, v0
	v_or_b32_e32 v12, 0xfffffe00, v0
	v_mov_b32_e32 v3, 0
	s_mov_b32 s0, 0
	v_mov_b32_e32 v4, v11
	v_add3_u32 v13, v1, 0, 0x2000
	s_delay_alu instid0(VALU_DEP_1)
	v_dual_mov_b32 v5, v12 :: v_dual_mov_b32 v6, v13
	s_waitcnt lgkmcnt(0)
	v_dual_mov_b32 v1, s34 :: v_dual_mov_b32 v2, s35
.LBB98_7:                               ; =>This Inner Loop Header: Depth=1
	s_delay_alu instid0(VALU_DEP_2) | instskip(NEXT) | instid1(VALU_DEP_1)
	v_add_co_u32 v5, s1, 0x200, v5
	s_xor_b32 s1, s1, -1
	ds_store_b64 v4, v[1:2]
	ds_store_b32 v6, v3
	v_add_nc_u32_e32 v6, 0x800, v6
	v_add_nc_u32_e32 v4, 0x1000, v4
	s_and_b32 s1, exec_lo, s1
	s_delay_alu instid0(SALU_CYCLE_1) | instskip(NEXT) | instid1(SALU_CYCLE_1)
	s_or_b32 s0, s1, s0
	s_and_not1_b32 exec_lo, exec_lo, s0
	s_cbranch_execnz .LBB98_7
; %bb.8:
	s_or_b32 exec_lo, exec_lo, s0
	s_waitcnt lgkmcnt(0)
	s_barrier
	buffer_gl0_inv
	s_load_b64 s[0:1], s[36:37], 0x0
	s_mov_b32 s3, 0
	s_waitcnt lgkmcnt(0)
	s_lshl_b64 s[0:1], s[0:1], 3
	s_delay_alu instid0(SALU_CYCLE_1) | instskip(SKIP_2) | instid1(SALU_CYCLE_1)
	s_add_u32 s36, s38, s0
	s_addc_u32 s37, s39, s1
	s_lshl_b64 s[0:1], s[2:3], 3
	s_add_u32 s0, s36, s0
	s_addc_u32 s1, s37, s1
	s_and_b32 vcc_lo, exec_lo, s40
	s_load_b64 s[36:37], s[0:1], 0x0
	s_cbranch_vccz .LBB98_28
; %bb.9:
	s_waitcnt lgkmcnt(0)
	s_lshl_b64 s[0:1], s[36:37], 3
	v_lshrrev_b32_e32 v1, 5, v0
	s_add_u32 s0, s12, s0
	s_addc_u32 s1, s13, s1
	s_load_b128 s[0:3], s[0:1], 0x0
	s_delay_alu instid0(VALU_DEP_1) | instskip(NEXT) | instid1(VALU_DEP_1)
	v_sub_co_u32 v1, s12, v1, s20
	v_sub_co_ci_u32_e64 v2, null, 0, 0, s12
	s_waitcnt lgkmcnt(0)
	s_delay_alu instid0(VALU_DEP_2) | instskip(NEXT) | instid1(VALU_DEP_2)
	v_add_co_u32 v1, vcc_lo, s0, v1
	v_add_co_ci_u32_e32 v2, vcc_lo, s1, v2, vcc_lo
	s_sub_u32 s0, s2, s20
	s_subb_u32 s1, s3, 0
	s_mov_b32 s2, exec_lo
	s_delay_alu instid0(VALU_DEP_1)
	v_cmpx_gt_i64_e64 s[0:1], v[1:2]
	s_cbranch_execz .LBB98_27
; %bb.10:
	v_and_b32_e32 v3, 31, v0
	s_mov_b32 s12, s21
	s_delay_alu instid0(VALU_DEP_1) | instskip(NEXT) | instid1(VALU_DEP_1)
	v_sub_co_u32 v16, s3, v3, s21
	v_sub_co_ci_u32_e64 v17, null, 0, 0, s3
	s_mov_b32 s3, 0
	s_branch .LBB98_12
.LBB98_11:                              ;   in Loop: Header=BB98_12 Depth=1
	s_or_b32 exec_lo, exec_lo, s13
	v_add_co_u32 v1, vcc_lo, v1, 16
	v_add_co_ci_u32_e32 v2, vcc_lo, 0, v2, vcc_lo
	s_delay_alu instid0(VALU_DEP_1) | instskip(SKIP_1) | instid1(SALU_CYCLE_1)
	v_cmp_le_i64_e32 vcc_lo, s[0:1], v[1:2]
	s_or_b32 s3, vcc_lo, s3
	s_and_not1_b32 exec_lo, exec_lo, s3
	s_cbranch_execz .LBB98_27
.LBB98_12:                              ; =>This Loop Header: Depth=1
                                        ;     Child Loop BB98_15 Depth 2
                                        ;       Child Loop BB98_17 Depth 3
	v_lshlrev_b64 v[3:4], 3, v[1:2]
	s_mov_b32 s13, exec_lo
	s_delay_alu instid0(VALU_DEP_1) | instskip(NEXT) | instid1(VALU_DEP_2)
	v_add_co_u32 v3, vcc_lo, s14, v3
	v_add_co_ci_u32_e32 v4, vcc_lo, s15, v4, vcc_lo
	global_load_b64 v[3:4], v[3:4], off
	s_waitcnt vmcnt(0)
	v_sub_co_u32 v3, vcc_lo, v3, s20
	v_subrev_co_ci_u32_e32 v4, vcc_lo, 0, v4, vcc_lo
	s_delay_alu instid0(VALU_DEP_1) | instskip(NEXT) | instid1(VALU_DEP_1)
	v_lshlrev_b64 v[3:4], 3, v[3:4]
	v_add_co_u32 v3, vcc_lo, s18, v3
	s_delay_alu instid0(VALU_DEP_2)
	v_add_co_ci_u32_e32 v4, vcc_lo, s19, v4, vcc_lo
	global_load_b128 v[5:8], v[3:4], off
	s_waitcnt vmcnt(0)
	v_sub_co_u32 v3, vcc_lo, v7, s12
	v_subrev_co_ci_u32_e32 v4, vcc_lo, 0, v8, vcc_lo
	v_add_co_u32 v5, vcc_lo, v5, v16
	v_add_co_ci_u32_e32 v6, vcc_lo, v6, v17, vcc_lo
	s_delay_alu instid0(VALU_DEP_1)
	v_cmpx_lt_i64_e64 v[5:6], v[3:4]
	s_cbranch_execz .LBB98_11
; %bb.13:                               ;   in Loop: Header=BB98_12 Depth=1
	v_lshlrev_b64 v[7:8], 2, v[1:2]
	s_mov_b32 s21, 0
	s_delay_alu instid0(VALU_DEP_1) | instskip(NEXT) | instid1(VALU_DEP_2)
	v_add_co_u32 v7, vcc_lo, s16, v7
	v_add_co_ci_u32_e32 v8, vcc_lo, s17, v8, vcc_lo
	global_load_b32 v7, v[7:8], off
	s_waitcnt vmcnt(0)
	v_mul_f32_e32 v18, v15, v7
	s_branch .LBB98_15
.LBB98_14:                              ;   in Loop: Header=BB98_15 Depth=2
	s_or_b32 exec_lo, exec_lo, s38
	v_add_co_u32 v5, vcc_lo, v5, 32
	v_add_co_ci_u32_e32 v6, vcc_lo, 0, v6, vcc_lo
	s_delay_alu instid0(VALU_DEP_1) | instskip(SKIP_1) | instid1(SALU_CYCLE_1)
	v_cmp_ge_i64_e32 vcc_lo, v[5:6], v[3:4]
	s_or_b32 s21, vcc_lo, s21
	s_and_not1_b32 exec_lo, exec_lo, s21
	s_cbranch_execz .LBB98_11
.LBB98_15:                              ;   Parent Loop BB98_12 Depth=1
                                        ; =>  This Loop Header: Depth=2
                                        ;       Child Loop BB98_17 Depth 3
	v_lshlrev_b64 v[7:8], 3, v[5:6]
	v_lshlrev_b64 v[9:10], 2, v[5:6]
	s_mov_b32 s38, 0
	s_delay_alu instid0(VALU_DEP_2) | instskip(NEXT) | instid1(VALU_DEP_3)
	v_add_co_u32 v7, vcc_lo, s28, v7
	v_add_co_ci_u32_e32 v8, vcc_lo, s29, v8, vcc_lo
	s_delay_alu instid0(VALU_DEP_3) | instskip(NEXT) | instid1(VALU_DEP_4)
	v_add_co_u32 v9, vcc_lo, s30, v9
	v_add_co_ci_u32_e32 v10, vcc_lo, s31, v10, vcc_lo
	global_load_b64 v[7:8], v[7:8], off
	global_load_b32 v9, v[9:10], off
	s_waitcnt vmcnt(1)
	v_sub_co_u32 v7, vcc_lo, v7, s12
	v_subrev_co_ci_u32_e32 v8, vcc_lo, 0, v8, vcc_lo
	s_delay_alu instid0(VALU_DEP_2) | instskip(SKIP_1) | instid1(VALU_DEP_1)
	v_mul_lo_u32 v10, 0x89, v7
	s_waitcnt vmcnt(0)
	v_dual_mul_f32 v19, v18, v9 :: v_dual_and_b32 v20, 0x3ff, v10
	s_branch .LBB98_17
.LBB98_16:                              ;   in Loop: Header=BB98_17 Depth=3
	s_or_b32 exec_lo, exec_lo, s39
	s_xor_b32 s39, s40, -1
	s_delay_alu instid0(SALU_CYCLE_1) | instskip(NEXT) | instid1(SALU_CYCLE_1)
	s_and_b32 s39, exec_lo, s39
	s_or_b32 s38, s39, s38
	s_delay_alu instid0(SALU_CYCLE_1)
	s_and_not1_b32 exec_lo, exec_lo, s38
	s_cbranch_execz .LBB98_14
.LBB98_17:                              ;   Parent Loop BB98_12 Depth=1
                                        ;     Parent Loop BB98_15 Depth=2
                                        ; =>    This Inner Loop Header: Depth=3
	s_delay_alu instid0(VALU_DEP_1)
	v_lshl_add_u32 v21, v20, 3, 0
	s_mov_b32 s39, exec_lo
                                        ; implicit-def: $sgpr40
	ds_load_b64 v[9:10], v21
	s_waitcnt lgkmcnt(0)
	v_cmpx_ne_u64_e64 v[9:10], v[7:8]
	s_xor_b32 s39, exec_lo, s39
	s_cbranch_execz .LBB98_25
; %bb.18:                               ;   in Loop: Header=BB98_17 Depth=3
	s_mov_b32 s41, exec_lo
                                        ; implicit-def: $sgpr40
	v_cmpx_ne_u64_e64 s[34:35], v[9:10]
	s_xor_b32 s41, exec_lo, s41
; %bb.19:                               ;   in Loop: Header=BB98_17 Depth=3
	v_add_nc_u32_e32 v9, 1, v20
	s_mov_b32 s40, -1
                                        ; implicit-def: $vgpr21
	s_delay_alu instid0(VALU_DEP_1)
	v_and_b32_e32 v20, 0x3ff, v9
; %bb.20:                               ;   in Loop: Header=BB98_17 Depth=3
	s_and_not1_saveexec_b32 s41, s41
	s_cbranch_execz .LBB98_24
; %bb.21:                               ;   in Loop: Header=BB98_17 Depth=3
	v_dual_mov_b32 v9, s34 :: v_dual_mov_b32 v10, s35
	s_mov_b32 s42, -1
	s_mov_b32 s43, exec_lo
	ds_cmpstore_rtn_b64 v[9:10], v21, v[7:8], v[9:10]
	s_waitcnt lgkmcnt(0)
	v_cmpx_eq_u64_e64 s[34:35], v[9:10]
	s_cbranch_execz .LBB98_23
; %bb.22:                               ;   in Loop: Header=BB98_17 Depth=3
	v_lshlrev_b32_e32 v9, 2, v20
	s_xor_b32 s42, exec_lo, -1
	s_delay_alu instid0(VALU_DEP_1)
	v_sub_nc_u32_e32 v9, v21, v9
	ds_add_f32 v9, v19 offset:8192
.LBB98_23:                              ;   in Loop: Header=BB98_17 Depth=3
	s_or_b32 exec_lo, exec_lo, s43
	s_delay_alu instid0(SALU_CYCLE_1) | instskip(SKIP_1) | instid1(SALU_CYCLE_1)
	s_and_not1_b32 s40, s40, exec_lo
	s_and_b32 s42, s42, exec_lo
	s_or_b32 s40, s40, s42
.LBB98_24:                              ;   in Loop: Header=BB98_17 Depth=3
	s_or_b32 exec_lo, exec_lo, s41
	s_delay_alu instid0(SALU_CYCLE_1)
	s_and_b32 s40, s40, exec_lo
                                        ; implicit-def: $vgpr21
.LBB98_25:                              ;   in Loop: Header=BB98_17 Depth=3
	s_and_not1_saveexec_b32 s39, s39
	s_cbranch_execz .LBB98_16
; %bb.26:                               ;   in Loop: Header=BB98_17 Depth=3
	v_lshlrev_b32_e32 v9, 2, v20
	s_and_not1_b32 s40, s40, exec_lo
	s_delay_alu instid0(VALU_DEP_1)
	v_sub_nc_u32_e32 v9, v21, v9
	ds_add_f32 v9, v19 offset:8192
	s_branch .LBB98_16
.LBB98_27:
	s_or_b32 exec_lo, exec_lo, s2
.LBB98_28:
	s_delay_alu instid0(SALU_CYCLE_1)
	s_and_not1_b32 vcc_lo, exec_lo, s33
	s_cbranch_vccnz .LBB98_45
; %bb.29:
	s_waitcnt lgkmcnt(0)
	s_lshl_b64 s[0:1], s[36:37], 3
	s_delay_alu instid0(SALU_CYCLE_1)
	s_add_u32 s0, s4, s0
	s_addc_u32 s1, s5, s1
	v_sub_co_u32 v1, s4, v0, s23
	s_load_b128 s[0:3], s[0:1], 0x0
	v_sub_co_ci_u32_e64 v2, null, 0, 0, s4
	s_waitcnt lgkmcnt(0)
	s_delay_alu instid0(VALU_DEP_2) | instskip(NEXT) | instid1(VALU_DEP_2)
	v_add_co_u32 v1, vcc_lo, s0, v1
	v_add_co_ci_u32_e32 v2, vcc_lo, s1, v2, vcc_lo
	s_sub_u32 s0, s2, s23
	s_subb_u32 s1, s3, 0
	s_mov_b32 s2, 0
	s_mov_b32 s3, exec_lo
	v_cmpx_gt_i64_e64 s[0:1], v[1:2]
	s_cbranch_execz .LBB98_44
; %bb.30:
	s_mov_b32 s4, s23
	s_branch .LBB98_32
.LBB98_31:                              ;   in Loop: Header=BB98_32 Depth=1
	s_or_b32 exec_lo, exec_lo, s5
	v_add_co_u32 v1, vcc_lo, 0x200, v1
	v_add_co_ci_u32_e32 v2, vcc_lo, 0, v2, vcc_lo
	s_delay_alu instid0(VALU_DEP_1) | instskip(SKIP_1) | instid1(SALU_CYCLE_1)
	v_cmp_le_i64_e32 vcc_lo, s[0:1], v[1:2]
	s_or_b32 s2, vcc_lo, s2
	s_and_not1_b32 exec_lo, exec_lo, s2
	s_cbranch_execz .LBB98_44
.LBB98_32:                              ; =>This Loop Header: Depth=1
                                        ;     Child Loop BB98_34 Depth 2
	v_lshlrev_b64 v[3:4], 3, v[1:2]
	v_lshlrev_b64 v[5:6], 2, v[1:2]
	s_mov_b32 s5, 0
	s_delay_alu instid0(VALU_DEP_2) | instskip(NEXT) | instid1(VALU_DEP_3)
	v_add_co_u32 v3, vcc_lo, s6, v3
	v_add_co_ci_u32_e32 v4, vcc_lo, s7, v4, vcc_lo
	s_delay_alu instid0(VALU_DEP_3) | instskip(NEXT) | instid1(VALU_DEP_4)
	v_add_co_u32 v5, vcc_lo, s8, v5
	v_add_co_ci_u32_e32 v6, vcc_lo, s9, v6, vcc_lo
	global_load_b64 v[3:4], v[3:4], off
	global_load_b32 v5, v[5:6], off
	s_waitcnt vmcnt(1)
	v_sub_co_u32 v3, vcc_lo, v3, s4
	v_subrev_co_ci_u32_e32 v4, vcc_lo, 0, v4, vcc_lo
	s_delay_alu instid0(VALU_DEP_2) | instskip(SKIP_1) | instid1(VALU_DEP_1)
	v_mul_lo_u32 v6, 0x89, v3
	s_waitcnt vmcnt(0)
	v_dual_mul_f32 v7, v14, v5 :: v_dual_and_b32 v8, 0x3ff, v6
	s_branch .LBB98_34
.LBB98_33:                              ;   in Loop: Header=BB98_34 Depth=2
	s_or_b32 exec_lo, exec_lo, s12
	s_xor_b32 s12, s13, -1
	s_delay_alu instid0(SALU_CYCLE_1) | instskip(NEXT) | instid1(SALU_CYCLE_1)
	s_and_b32 s12, exec_lo, s12
	s_or_b32 s5, s12, s5
	s_delay_alu instid0(SALU_CYCLE_1)
	s_and_not1_b32 exec_lo, exec_lo, s5
	s_cbranch_execz .LBB98_31
.LBB98_34:                              ;   Parent Loop BB98_32 Depth=1
                                        ; =>  This Inner Loop Header: Depth=2
	s_delay_alu instid0(VALU_DEP_1)
	v_lshl_add_u32 v9, v8, 3, 0
	s_mov_b32 s12, exec_lo
                                        ; implicit-def: $sgpr13
	ds_load_b64 v[5:6], v9
	s_waitcnt lgkmcnt(0)
	v_cmpx_ne_u64_e64 v[5:6], v[3:4]
	s_xor_b32 s12, exec_lo, s12
	s_cbranch_execz .LBB98_42
; %bb.35:                               ;   in Loop: Header=BB98_34 Depth=2
	s_mov_b32 s14, exec_lo
                                        ; implicit-def: $sgpr13
	v_cmpx_ne_u64_e64 s[34:35], v[5:6]
	s_xor_b32 s14, exec_lo, s14
; %bb.36:                               ;   in Loop: Header=BB98_34 Depth=2
	v_add_nc_u32_e32 v5, 1, v8
	s_mov_b32 s13, -1
                                        ; implicit-def: $vgpr9
	s_delay_alu instid0(VALU_DEP_1)
	v_and_b32_e32 v8, 0x3ff, v5
; %bb.37:                               ;   in Loop: Header=BB98_34 Depth=2
	s_and_not1_saveexec_b32 s14, s14
	s_cbranch_execz .LBB98_41
; %bb.38:                               ;   in Loop: Header=BB98_34 Depth=2
	v_dual_mov_b32 v5, s34 :: v_dual_mov_b32 v6, s35
	s_mov_b32 s15, -1
	s_mov_b32 s16, exec_lo
	ds_cmpstore_rtn_b64 v[5:6], v9, v[3:4], v[5:6]
	s_waitcnt lgkmcnt(0)
	v_cmpx_eq_u64_e64 s[34:35], v[5:6]
	s_cbranch_execz .LBB98_40
; %bb.39:                               ;   in Loop: Header=BB98_34 Depth=2
	v_lshlrev_b32_e32 v5, 2, v8
	s_xor_b32 s15, exec_lo, -1
	s_delay_alu instid0(VALU_DEP_1)
	v_sub_nc_u32_e32 v5, v9, v5
	ds_add_f32 v5, v7 offset:8192
.LBB98_40:                              ;   in Loop: Header=BB98_34 Depth=2
	s_or_b32 exec_lo, exec_lo, s16
	s_delay_alu instid0(SALU_CYCLE_1) | instskip(SKIP_1) | instid1(SALU_CYCLE_1)
	s_and_not1_b32 s13, s13, exec_lo
	s_and_b32 s15, s15, exec_lo
	s_or_b32 s13, s13, s15
.LBB98_41:                              ;   in Loop: Header=BB98_34 Depth=2
	s_or_b32 exec_lo, exec_lo, s14
	s_delay_alu instid0(SALU_CYCLE_1)
	s_and_b32 s13, s13, exec_lo
                                        ; implicit-def: $vgpr9
.LBB98_42:                              ;   in Loop: Header=BB98_34 Depth=2
	s_and_not1_saveexec_b32 s12, s12
	s_cbranch_execz .LBB98_33
; %bb.43:                               ;   in Loop: Header=BB98_34 Depth=2
	v_lshlrev_b32_e32 v5, 2, v8
	s_and_not1_b32 s13, s13, exec_lo
	s_delay_alu instid0(VALU_DEP_1)
	v_sub_nc_u32_e32 v5, v9, v5
	ds_add_f32 v5, v7 offset:8192
	s_branch .LBB98_33
.LBB98_44:
	s_or_b32 exec_lo, exec_lo, s3
.LBB98_45:
	v_mbcnt_lo_u32_b32 v1, -1, 0
	v_lshrrev_b32_e32 v2, 3, v0
	v_cmp_eq_u32_e32 vcc_lo, 0x1ff, v0
	v_cmp_lt_u32_e64 s0, 63, v0
	v_cmp_lt_u32_e64 s1, 0x7f, v0
	v_xor_b32_e32 v1, 63, v1
	v_and_b32_e32 v3, 56, v2
	v_cmp_lt_u32_e64 s2, 0xbf, v0
	v_cmp_lt_u32_e64 s3, 0xff, v0
	;; [unrolled: 1-line block ×3, first 2 shown]
	v_lshrrev_b64 v[1:2], v1, -1
	v_add_nc_u32_e32 v10, 0, v3
	v_dual_mov_b32 v2, 0 :: v_dual_mov_b32 v5, 0
	v_cmp_lt_u32_e64 s5, 0x17f, v0
	v_cmp_lt_u32_e64 s6, 0x1bf, v0
	v_mov_b32_e32 v3, 0
	s_mov_b32 s8, 0
	s_waitcnt lgkmcnt(0)
	s_barrier
	buffer_gl0_inv
	s_branch .LBB98_47
.LBB98_46:                              ;   in Loop: Header=BB98_47 Depth=1
	s_or_b32 exec_lo, exec_lo, s7
	s_waitcnt lgkmcnt(0)
	s_barrier
	buffer_gl0_inv
	ds_load_b64 v[6:7], v5 offset:12344
	v_add_co_u32 v12, s7, 0x200, v12
	s_delay_alu instid0(VALU_DEP_1) | instskip(SKIP_4) | instid1(VALU_DEP_1)
	s_xor_b32 s9, s7, -1
	v_add_nc_u32_e32 v13, 0x800, v13
	v_add_nc_u32_e32 v11, 0x1000, v11
	s_waitcnt lgkmcnt(0)
	v_add_co_u32 v2, s7, v6, v2
	v_add_co_ci_u32_e64 v3, s7, v7, v3, s7
	s_and_b32 s7, exec_lo, s9
	s_delay_alu instid0(SALU_CYCLE_1) | instskip(NEXT) | instid1(SALU_CYCLE_1)
	s_or_b32 s8, s7, s8
	s_and_not1_b32 exec_lo, exec_lo, s8
	s_cbranch_execz .LBB98_65
.LBB98_47:                              ; =>This Inner Loop Header: Depth=1
	ds_load_b64 v[6:7], v11
	ds_load_b32 v14, v13
	s_waitcnt lgkmcnt(0)
	s_barrier
	buffer_gl0_inv
	v_cmp_gt_i64_e64 s7, s[34:35], v[6:7]
	s_delay_alu instid0(VALU_DEP_1) | instskip(SKIP_1) | instid1(SALU_CYCLE_1)
	v_and_b32_e32 v8, s7, v1
	s_bcnt1_i32_b32 s9, s7
	v_mov_b32_e32 v4, s9
	s_delay_alu instid0(VALU_DEP_2)
	v_bcnt_u32_b32 v8, v8, 0
	ds_store_b64 v10, v[4:5] offset:12288
	s_waitcnt lgkmcnt(0)
	s_barrier
	buffer_gl0_inv
	s_and_saveexec_b32 s9, s0
	s_cbranch_execnz .LBB98_56
; %bb.48:                               ;   in Loop: Header=BB98_47 Depth=1
	s_or_b32 exec_lo, exec_lo, s9
	s_and_saveexec_b32 s9, s1
	s_cbranch_execnz .LBB98_57
.LBB98_49:                              ;   in Loop: Header=BB98_47 Depth=1
	s_or_b32 exec_lo, exec_lo, s9
	s_and_saveexec_b32 s9, s2
	s_cbranch_execnz .LBB98_58
.LBB98_50:                              ;   in Loop: Header=BB98_47 Depth=1
	s_or_b32 exec_lo, exec_lo, s9
	s_and_saveexec_b32 s9, s3
	s_cbranch_execnz .LBB98_59
.LBB98_51:                              ;   in Loop: Header=BB98_47 Depth=1
	s_or_b32 exec_lo, exec_lo, s9
	s_and_saveexec_b32 s9, s4
	s_cbranch_execnz .LBB98_60
.LBB98_52:                              ;   in Loop: Header=BB98_47 Depth=1
	s_or_b32 exec_lo, exec_lo, s9
	s_and_saveexec_b32 s9, s5
	s_cbranch_execnz .LBB98_61
.LBB98_53:                              ;   in Loop: Header=BB98_47 Depth=1
	s_or_b32 exec_lo, exec_lo, s9
	s_and_saveexec_b32 s9, s6
	s_cbranch_execnz .LBB98_62
.LBB98_54:                              ;   in Loop: Header=BB98_47 Depth=1
	s_or_b32 exec_lo, exec_lo, s9
	v_ashrrev_i32_e32 v9, 31, v8
	s_and_saveexec_b32 s9, s7
	s_cbranch_execnz .LBB98_63
.LBB98_55:                              ;   in Loop: Header=BB98_47 Depth=1
	s_or_b32 exec_lo, exec_lo, s9
	s_and_saveexec_b32 s7, vcc_lo
	s_cbranch_execz .LBB98_46
	s_branch .LBB98_64
.LBB98_56:                              ;   in Loop: Header=BB98_47 Depth=1
	ds_load_b32 v4, v5 offset:12288
	s_waitcnt lgkmcnt(0)
	v_add_nc_u32_e32 v8, v4, v8
	s_or_b32 exec_lo, exec_lo, s9
	s_and_saveexec_b32 s9, s1
	s_cbranch_execz .LBB98_49
.LBB98_57:                              ;   in Loop: Header=BB98_47 Depth=1
	ds_load_b32 v4, v5 offset:12296
	s_waitcnt lgkmcnt(0)
	v_add_nc_u32_e32 v8, v8, v4
	s_or_b32 exec_lo, exec_lo, s9
	s_and_saveexec_b32 s9, s2
	s_cbranch_execz .LBB98_50
.LBB98_58:                              ;   in Loop: Header=BB98_47 Depth=1
	ds_load_b32 v4, v5 offset:12304
	s_waitcnt lgkmcnt(0)
	v_add_nc_u32_e32 v8, v8, v4
	s_or_b32 exec_lo, exec_lo, s9
	s_and_saveexec_b32 s9, s3
	s_cbranch_execz .LBB98_51
.LBB98_59:                              ;   in Loop: Header=BB98_47 Depth=1
	ds_load_b32 v4, v5 offset:12312
	s_waitcnt lgkmcnt(0)
	v_add_nc_u32_e32 v8, v8, v4
	s_or_b32 exec_lo, exec_lo, s9
	s_and_saveexec_b32 s9, s4
	s_cbranch_execz .LBB98_52
.LBB98_60:                              ;   in Loop: Header=BB98_47 Depth=1
	ds_load_b32 v4, v5 offset:12320
	s_waitcnt lgkmcnt(0)
	v_add_nc_u32_e32 v8, v8, v4
	s_or_b32 exec_lo, exec_lo, s9
	s_and_saveexec_b32 s9, s5
	s_cbranch_execz .LBB98_53
.LBB98_61:                              ;   in Loop: Header=BB98_47 Depth=1
	ds_load_b32 v4, v5 offset:12328
	s_waitcnt lgkmcnt(0)
	v_add_nc_u32_e32 v8, v8, v4
	s_or_b32 exec_lo, exec_lo, s9
	s_and_saveexec_b32 s9, s6
	s_cbranch_execz .LBB98_54
.LBB98_62:                              ;   in Loop: Header=BB98_47 Depth=1
	ds_load_b32 v4, v5 offset:12336
	s_waitcnt lgkmcnt(0)
	v_add_nc_u32_e32 v8, v8, v4
	s_or_b32 exec_lo, exec_lo, s9
	s_delay_alu instid0(VALU_DEP_1)
	v_ashrrev_i32_e32 v9, 31, v8
	s_and_saveexec_b32 s9, s7
	s_cbranch_execz .LBB98_55
.LBB98_63:                              ;   in Loop: Header=BB98_47 Depth=1
	v_add3_u32 v4, v2, -1, v8
	s_delay_alu instid0(VALU_DEP_1)
	v_lshl_add_u32 v15, v4, 3, 0
	v_lshl_add_u32 v4, v4, 2, 0
	ds_store_b64 v15, v[6:7]
	ds_store_b32 v4, v14 offset:8192
	s_or_b32 exec_lo, exec_lo, s9
	s_and_saveexec_b32 s7, vcc_lo
	s_cbranch_execz .LBB98_46
.LBB98_64:                              ;   in Loop: Header=BB98_47 Depth=1
	ds_store_b64 v5, v[8:9] offset:12344
	s_branch .LBB98_46
.LBB98_65:
	s_or_b32 exec_lo, exec_lo, s8
	s_lshl_b64 s[0:1], s[36:37], 3
	v_mov_b32_e32 v1, 0
	s_add_u32 s0, s10, s0
	s_addc_u32 s1, s11, s1
	s_mov_b32 s6, exec_lo
	s_load_b128 s[0:3], s[0:1], 0x0
	s_waitcnt lgkmcnt(0)
	s_sub_u32 s4, s2, s0
	s_subb_u32 s5, s3, s1
	s_delay_alu instid0(SALU_CYCLE_1)
	v_cmpx_gt_i64_e64 s[4:5], v[0:1]
	s_cbranch_execz .LBB98_75
; %bb.66:
	s_sub_u32 s8, s0, s22
	s_subb_u32 s9, s1, 0
	s_and_b32 s6, s4, 7
	s_sub_u32 s0, s0, s2
	s_subb_u32 s1, s1, s3
	s_mov_b32 s7, 0
	v_cmp_lt_u64_e64 s12, s[0:1], -7
	s_and_b32 s2, s4, -8
	s_cmp_lg_u64 s[6:7], 0
	s_mov_b32 s3, s5
	s_cselect_b32 s13, -1, 0
	s_mov_b32 s14, s7
	s_branch .LBB98_68
.LBB98_67:                              ;   in Loop: Header=BB98_68 Depth=1
	s_waitcnt lgkmcnt(1)
	v_add_co_u32 v2, vcc_lo, v2, s22
	v_lshlrev_b64 v[7:8], 3, v[4:5]
	v_add_co_ci_u32_e32 v3, vcc_lo, 0, v3, vcc_lo
	v_add_co_u32 v0, vcc_lo, 0x200, v0
	v_add_co_ci_u32_e32 v1, vcc_lo, 0, v1, vcc_lo
	v_lshlrev_b64 v[4:5], 2, v[4:5]
	v_add_co_u32 v7, vcc_lo, s24, v7
	v_add_co_ci_u32_e32 v8, vcc_lo, s25, v8, vcc_lo
	s_delay_alu instid0(VALU_DEP_4) | instskip(NEXT) | instid1(VALU_DEP_4)
	v_cmp_le_i64_e32 vcc_lo, s[4:5], v[0:1]
	v_add_co_u32 v4, s0, s26, v4
	s_delay_alu instid0(VALU_DEP_1) | instskip(SKIP_4) | instid1(SALU_CYCLE_1)
	v_add_co_ci_u32_e64 v5, s0, s27, v5, s0
	global_store_b64 v[7:8], v[2:3], off
	s_waitcnt lgkmcnt(0)
	global_store_b32 v[4:5], v6, off
	s_or_b32 s14, vcc_lo, s14
	s_and_not1_b32 exec_lo, exec_lo, s14
	s_cbranch_execz .LBB98_75
.LBB98_68:                              ; =>This Loop Header: Depth=1
                                        ;     Child Loop BB98_70 Depth 2
                                        ;     Child Loop BB98_74 Depth 2
	v_lshl_add_u32 v2, v0, 3, 0
	v_lshlrev_b32_e32 v3, 2, v0
	s_and_not1_b32 vcc_lo, exec_lo, s12
	s_mov_b64 s[0:1], 0
	s_delay_alu instid0(VALU_DEP_1)
	v_sub_nc_u32_e32 v4, v2, v3
	ds_load_b64 v[2:3], v2
	ds_load_b32 v6, v4 offset:8192
	v_dual_mov_b32 v4, s8 :: v_dual_mov_b32 v5, s9
	s_cbranch_vccnz .LBB98_72
; %bb.69:                               ;   in Loop: Header=BB98_68 Depth=1
	v_dual_mov_b32 v4, s8 :: v_dual_mov_b32 v5, s9
	s_mov_b64 s[10:11], 0
	s_mov_b32 s1, 0
.LBB98_70:                              ;   Parent Loop BB98_68 Depth=1
                                        ; =>  This Inner Loop Header: Depth=2
	s_delay_alu instid0(SALU_CYCLE_1)
	v_mov_b32_e32 v19, s1
	s_add_u32 s10, s10, 8
	s_addc_u32 s11, s11, 0
	s_add_i32 s1, s1, 64
	s_cmp_eq_u64 s[2:3], s[10:11]
	ds_load_2addr_b64 v[7:10], v19 offset1:1
	ds_load_2addr_b64 v[11:14], v19 offset0:2 offset1:3
	ds_load_2addr_b64 v[15:18], v19 offset0:4 offset1:5
	;; [unrolled: 1-line block ×3, first 2 shown]
	s_waitcnt lgkmcnt(3)
	v_cmp_gt_i64_e32 vcc_lo, v[2:3], v[7:8]
	v_cndmask_b32_e64 v7, 0, 1, vcc_lo
	v_cmp_gt_i64_e32 vcc_lo, v[2:3], v[9:10]
	v_cndmask_b32_e64 v8, 0, 1, vcc_lo
	s_waitcnt lgkmcnt(2)
	v_cmp_gt_i64_e32 vcc_lo, v[2:3], v[11:12]
	v_cndmask_b32_e64 v9, 0, 1, vcc_lo
	v_cmp_gt_i64_e32 vcc_lo, v[2:3], v[13:14]
	v_cndmask_b32_e64 v10, 0, 1, vcc_lo
	s_waitcnt lgkmcnt(1)
	v_cmp_gt_i64_e32 vcc_lo, v[2:3], v[15:16]
	v_cndmask_b32_e64 v11, 0, 1, vcc_lo
	v_add_co_u32 v4, vcc_lo, v4, v7
	v_add_co_ci_u32_e32 v5, vcc_lo, 0, v5, vcc_lo
	v_cmp_gt_i64_e32 vcc_lo, v[2:3], v[17:18]
	s_delay_alu instid0(VALU_DEP_3) | instskip(NEXT) | instid1(VALU_DEP_1)
	v_add_co_u32 v4, s0, v4, v8
	v_add_co_ci_u32_e64 v5, s0, 0, v5, s0
	v_cndmask_b32_e64 v7, 0, 1, vcc_lo
	s_delay_alu instid0(VALU_DEP_3) | instskip(NEXT) | instid1(VALU_DEP_3)
	v_add_co_u32 v4, vcc_lo, v4, v9
	v_add_co_ci_u32_e32 v5, vcc_lo, 0, v5, vcc_lo
	s_waitcnt lgkmcnt(0)
	v_cmp_gt_i64_e32 vcc_lo, v[2:3], v[19:20]
	s_delay_alu instid0(VALU_DEP_3) | instskip(NEXT) | instid1(VALU_DEP_1)
	v_add_co_u32 v4, s0, v4, v10
	v_add_co_ci_u32_e64 v5, s0, 0, v5, s0
	v_cndmask_b32_e64 v8, 0, 1, vcc_lo
	s_delay_alu instid0(VALU_DEP_3) | instskip(NEXT) | instid1(VALU_DEP_3)
	v_add_co_u32 v4, vcc_lo, v4, v11
	v_add_co_ci_u32_e32 v5, vcc_lo, 0, v5, vcc_lo
	v_cmp_gt_i64_e32 vcc_lo, v[2:3], v[21:22]
	s_delay_alu instid0(VALU_DEP_3) | instskip(NEXT) | instid1(VALU_DEP_1)
	v_add_co_u32 v4, s0, v4, v7
	v_add_co_ci_u32_e64 v5, s0, 0, v5, s0
	v_cndmask_b32_e64 v7, 0, 1, vcc_lo
	s_delay_alu instid0(VALU_DEP_3) | instskip(NEXT) | instid1(VALU_DEP_3)
	v_add_co_u32 v4, vcc_lo, v4, v8
	v_add_co_ci_u32_e32 v5, vcc_lo, 0, v5, vcc_lo
	s_delay_alu instid0(VALU_DEP_2) | instskip(NEXT) | instid1(VALU_DEP_2)
	v_add_co_u32 v4, vcc_lo, v4, v7
	v_add_co_ci_u32_e32 v5, vcc_lo, 0, v5, vcc_lo
	s_cbranch_scc0 .LBB98_70
; %bb.71:                               ;   in Loop: Header=BB98_68 Depth=1
	s_mov_b64 s[0:1], s[2:3]
.LBB98_72:                              ;   in Loop: Header=BB98_68 Depth=1
	s_and_not1_b32 vcc_lo, exec_lo, s13
	s_cbranch_vccnz .LBB98_67
; %bb.73:                               ;   in Loop: Header=BB98_68 Depth=1
	s_lshl_b32 s0, s0, 3
	s_delay_alu instid0(SALU_CYCLE_1)
	s_add_i32 s10, s0, 0
	s_mov_b64 s[0:1], s[6:7]
.LBB98_74:                              ;   Parent Loop BB98_68 Depth=1
                                        ; =>  This Inner Loop Header: Depth=2
	v_mov_b32_e32 v7, s10
	s_add_i32 s10, s10, 8
	s_add_u32 s0, s0, -1
	s_addc_u32 s1, s1, -1
	s_delay_alu instid0(SALU_CYCLE_1) | instskip(SKIP_4) | instid1(VALU_DEP_1)
	s_cmp_lg_u64 s[0:1], 0
	ds_load_b64 v[7:8], v7
	s_waitcnt lgkmcnt(0)
	v_cmp_gt_i64_e32 vcc_lo, v[2:3], v[7:8]
	v_cndmask_b32_e64 v7, 0, 1, vcc_lo
	v_add_co_u32 v4, vcc_lo, v4, v7
	v_add_co_ci_u32_e32 v5, vcc_lo, 0, v5, vcc_lo
	s_cbranch_scc1 .LBB98_74
	s_branch .LBB98_67
.LBB98_75:
	s_nop 0
	s_sendmsg sendmsg(MSG_DEALLOC_VGPRS)
	s_endpgm
	.section	.rodata,"a",@progbits
	.p2align	6, 0x0
	.amdhsa_kernel _ZN9rocsparseL26csrgemm_fill_block_per_rowILj512ELj32ELj1024ELj137ELj64EllfEEvT5_PKS1_S3_NS_24const_host_device_scalarIT6_EEPKT4_S3_PKS5_S9_S3_SB_S6_S9_S3_SB_S9_PS1_PS5_21rocsparse_index_base_SE_SE_SE_bbb
		.amdhsa_group_segment_fixed_size 0
		.amdhsa_private_segment_fixed_size 0
		.amdhsa_kernarg_size 156
		.amdhsa_user_sgpr_count 15
		.amdhsa_user_sgpr_dispatch_ptr 0
		.amdhsa_user_sgpr_queue_ptr 0
		.amdhsa_user_sgpr_kernarg_segment_ptr 1
		.amdhsa_user_sgpr_dispatch_id 0
		.amdhsa_user_sgpr_private_segment_size 0
		.amdhsa_wavefront_size32 1
		.amdhsa_uses_dynamic_stack 0
		.amdhsa_enable_private_segment 0
		.amdhsa_system_sgpr_workgroup_id_x 1
		.amdhsa_system_sgpr_workgroup_id_y 0
		.amdhsa_system_sgpr_workgroup_id_z 0
		.amdhsa_system_sgpr_workgroup_info 0
		.amdhsa_system_vgpr_workitem_id 0
		.amdhsa_next_free_vgpr 23
		.amdhsa_next_free_sgpr 44
		.amdhsa_reserve_vcc 1
		.amdhsa_float_round_mode_32 0
		.amdhsa_float_round_mode_16_64 0
		.amdhsa_float_denorm_mode_32 3
		.amdhsa_float_denorm_mode_16_64 3
		.amdhsa_dx10_clamp 1
		.amdhsa_ieee_mode 1
		.amdhsa_fp16_overflow 0
		.amdhsa_workgroup_processor_mode 1
		.amdhsa_memory_ordered 1
		.amdhsa_forward_progress 0
		.amdhsa_shared_vgpr_count 0
		.amdhsa_exception_fp_ieee_invalid_op 0
		.amdhsa_exception_fp_denorm_src 0
		.amdhsa_exception_fp_ieee_div_zero 0
		.amdhsa_exception_fp_ieee_overflow 0
		.amdhsa_exception_fp_ieee_underflow 0
		.amdhsa_exception_fp_ieee_inexact 0
		.amdhsa_exception_int_div_zero 0
	.end_amdhsa_kernel
	.section	.text._ZN9rocsparseL26csrgemm_fill_block_per_rowILj512ELj32ELj1024ELj137ELj64EllfEEvT5_PKS1_S3_NS_24const_host_device_scalarIT6_EEPKT4_S3_PKS5_S9_S3_SB_S6_S9_S3_SB_S9_PS1_PS5_21rocsparse_index_base_SE_SE_SE_bbb,"axG",@progbits,_ZN9rocsparseL26csrgemm_fill_block_per_rowILj512ELj32ELj1024ELj137ELj64EllfEEvT5_PKS1_S3_NS_24const_host_device_scalarIT6_EEPKT4_S3_PKS5_S9_S3_SB_S6_S9_S3_SB_S9_PS1_PS5_21rocsparse_index_base_SE_SE_SE_bbb,comdat
.Lfunc_end98:
	.size	_ZN9rocsparseL26csrgemm_fill_block_per_rowILj512ELj32ELj1024ELj137ELj64EllfEEvT5_PKS1_S3_NS_24const_host_device_scalarIT6_EEPKT4_S3_PKS5_S9_S3_SB_S6_S9_S3_SB_S9_PS1_PS5_21rocsparse_index_base_SE_SE_SE_bbb, .Lfunc_end98-_ZN9rocsparseL26csrgemm_fill_block_per_rowILj512ELj32ELj1024ELj137ELj64EllfEEvT5_PKS1_S3_NS_24const_host_device_scalarIT6_EEPKT4_S3_PKS5_S9_S3_SB_S6_S9_S3_SB_S9_PS1_PS5_21rocsparse_index_base_SE_SE_SE_bbb
                                        ; -- End function
	.section	.AMDGPU.csdata,"",@progbits
; Kernel info:
; codeLenInByte = 3188
; NumSgprs: 46
; NumVgprs: 23
; ScratchSize: 0
; MemoryBound: 0
; FloatMode: 240
; IeeeMode: 1
; LDSByteSize: 0 bytes/workgroup (compile time only)
; SGPRBlocks: 5
; VGPRBlocks: 2
; NumSGPRsForWavesPerEU: 46
; NumVGPRsForWavesPerEU: 23
; Occupancy: 16
; WaveLimiterHint : 1
; COMPUTE_PGM_RSRC2:SCRATCH_EN: 0
; COMPUTE_PGM_RSRC2:USER_SGPR: 15
; COMPUTE_PGM_RSRC2:TRAP_HANDLER: 0
; COMPUTE_PGM_RSRC2:TGID_X_EN: 1
; COMPUTE_PGM_RSRC2:TGID_Y_EN: 0
; COMPUTE_PGM_RSRC2:TGID_Z_EN: 0
; COMPUTE_PGM_RSRC2:TIDIG_COMP_CNT: 0
	.section	.text._ZN9rocsparseL26csrgemm_fill_block_per_rowILj1024ELj32ELj2048ELj137ELj32EllfEEvT5_PKS1_S3_NS_24const_host_device_scalarIT6_EEPKT4_S3_PKS5_S9_S3_SB_S6_S9_S3_SB_S9_PS1_PS5_21rocsparse_index_base_SE_SE_SE_bbb,"axG",@progbits,_ZN9rocsparseL26csrgemm_fill_block_per_rowILj1024ELj32ELj2048ELj137ELj32EllfEEvT5_PKS1_S3_NS_24const_host_device_scalarIT6_EEPKT4_S3_PKS5_S9_S3_SB_S6_S9_S3_SB_S9_PS1_PS5_21rocsparse_index_base_SE_SE_SE_bbb,comdat
	.globl	_ZN9rocsparseL26csrgemm_fill_block_per_rowILj1024ELj32ELj2048ELj137ELj32EllfEEvT5_PKS1_S3_NS_24const_host_device_scalarIT6_EEPKT4_S3_PKS5_S9_S3_SB_S6_S9_S3_SB_S9_PS1_PS5_21rocsparse_index_base_SE_SE_SE_bbb ; -- Begin function _ZN9rocsparseL26csrgemm_fill_block_per_rowILj1024ELj32ELj2048ELj137ELj32EllfEEvT5_PKS1_S3_NS_24const_host_device_scalarIT6_EEPKT4_S3_PKS5_S9_S3_SB_S6_S9_S3_SB_S9_PS1_PS5_21rocsparse_index_base_SE_SE_SE_bbb
	.p2align	8
	.type	_ZN9rocsparseL26csrgemm_fill_block_per_rowILj1024ELj32ELj2048ELj137ELj32EllfEEvT5_PKS1_S3_NS_24const_host_device_scalarIT6_EEPKT4_S3_PKS5_S9_S3_SB_S6_S9_S3_SB_S9_PS1_PS5_21rocsparse_index_base_SE_SE_SE_bbb,@function
_ZN9rocsparseL26csrgemm_fill_block_per_rowILj1024ELj32ELj2048ELj137ELj32EllfEEvT5_PKS1_S3_NS_24const_host_device_scalarIT6_EEPKT4_S3_PKS5_S9_S3_SB_S6_S9_S3_SB_S9_PS1_PS5_21rocsparse_index_base_SE_SE_SE_bbb: ; @_ZN9rocsparseL26csrgemm_fill_block_per_rowILj1024ELj32ELj2048ELj137ELj32EllfEEvT5_PKS1_S3_NS_24const_host_device_scalarIT6_EEPKT4_S3_PKS5_S9_S3_SB_S6_S9_S3_SB_S9_PS1_PS5_21rocsparse_index_base_SE_SE_SE_bbb
; %bb.0:
	s_clause 0x3
	s_load_b32 s3, s[0:1], 0x98
	s_load_b128 s[44:47], s[0:1], 0x88
	s_load_b64 s[4:5], s[0:1], 0x18
	s_load_b64 s[20:21], s[0:1], 0x50
	s_mov_b32 s2, s15
	s_waitcnt lgkmcnt(0)
	s_bitcmp1_b32 s3, 0
	s_cselect_b32 s23, -1, 0
	s_bitcmp1_b32 s3, 16
	s_cselect_b32 s24, -1, 0
	s_xor_b32 s6, s23, -1
	s_delay_alu instid0(SALU_CYCLE_1) | instskip(NEXT) | instid1(SALU_CYCLE_1)
	s_or_b32 s6, s6, s24
	s_and_b32 vcc_lo, exec_lo, s6
	s_cbranch_vccnz .LBB99_2
; %bb.1:
	s_load_b32 s4, s[4:5], 0x0
	s_waitcnt lgkmcnt(0)
	v_mov_b32_e32 v16, s4
	s_branch .LBB99_3
.LBB99_2:
	v_cndmask_b32_e64 v16, 0, s4, s23
.LBB99_3:
	s_clause 0x4
	s_load_b128 s[48:51], s[0:1], 0x78
	s_load_b256 s[36:43], s[0:1], 0x58
	s_load_b128 s[12:15], s[0:1], 0x40
	s_load_b128 s[16:19], s[0:1], 0x8
	s_load_b256 s[4:11], s[0:1], 0x20
	s_bitcmp1_b32 s3, 8
	s_cselect_b32 s22, -1, 0
	s_delay_alu instid0(SALU_CYCLE_1) | instskip(NEXT) | instid1(SALU_CYCLE_1)
	s_xor_b32 s3, s22, -1
	s_or_b32 s3, s3, s24
	s_delay_alu instid0(SALU_CYCLE_1)
	s_and_b32 vcc_lo, exec_lo, s3
	s_cbranch_vccnz .LBB99_5
; %bb.4:
	s_load_b32 s3, s[20:21], 0x0
	s_waitcnt lgkmcnt(0)
	v_mov_b32_e32 v14, s3
	s_branch .LBB99_6
.LBB99_5:
	v_cndmask_b32_e64 v14, 0, s20, s22
.LBB99_6:
	s_load_b64 s[34:35], s[0:1], 0x0
	v_lshl_add_u32 v11, v0, 3, 0
	v_lshlrev_b32_e32 v1, 2, v0
	v_or_b32_e32 v12, 0xfffffc00, v0
	v_mov_b32_e32 v3, 0
	s_mov_b32 s0, 0
	v_mov_b32_e32 v4, v11
	v_add3_u32 v13, v1, 0, 0x4000
	s_delay_alu instid0(VALU_DEP_1)
	v_dual_mov_b32 v5, v12 :: v_dual_mov_b32 v6, v13
	s_waitcnt lgkmcnt(0)
	v_dual_mov_b32 v1, s34 :: v_dual_mov_b32 v2, s35
.LBB99_7:                               ; =>This Inner Loop Header: Depth=1
	s_delay_alu instid0(VALU_DEP_2) | instskip(NEXT) | instid1(VALU_DEP_1)
	v_add_co_u32 v5, s1, 0x400, v5
	s_xor_b32 s1, s1, -1
	ds_store_b64 v4, v[1:2]
	ds_store_b32 v6, v3
	v_add_nc_u32_e32 v6, 0x1000, v6
	v_add_nc_u32_e32 v4, 0x2000, v4
	s_and_b32 s1, exec_lo, s1
	s_delay_alu instid0(SALU_CYCLE_1) | instskip(NEXT) | instid1(SALU_CYCLE_1)
	s_or_b32 s0, s1, s0
	s_and_not1_b32 exec_lo, exec_lo, s0
	s_cbranch_execnz .LBB99_7
; %bb.8:
	s_or_b32 exec_lo, exec_lo, s0
	s_waitcnt lgkmcnt(0)
	s_barrier
	buffer_gl0_inv
	s_load_b64 s[0:1], s[16:17], 0x0
	s_mov_b32 s3, 0
	v_lshrrev_b32_e32 v15, 5, v0
	s_waitcnt lgkmcnt(0)
	s_lshl_b64 s[0:1], s[0:1], 3
	s_delay_alu instid0(SALU_CYCLE_1) | instskip(SKIP_2) | instid1(SALU_CYCLE_1)
	s_add_u32 s16, s18, s0
	s_addc_u32 s17, s19, s1
	s_lshl_b64 s[0:1], s[2:3], 3
	s_add_u32 s0, s16, s0
	s_addc_u32 s1, s17, s1
	s_and_b32 vcc_lo, exec_lo, s23
	s_load_b64 s[52:53], s[0:1], 0x0
	s_cbranch_vccz .LBB99_28
; %bb.9:
	s_waitcnt lgkmcnt(0)
	s_lshl_b64 s[0:1], s[52:53], 3
	s_delay_alu instid0(SALU_CYCLE_1)
	s_add_u32 s0, s4, s0
	s_addc_u32 s1, s5, s1
	v_sub_co_u32 v1, s4, v15, s44
	s_load_b128 s[0:3], s[0:1], 0x0
	v_sub_co_ci_u32_e64 v2, null, 0, 0, s4
	s_waitcnt lgkmcnt(0)
	s_delay_alu instid0(VALU_DEP_2) | instskip(NEXT) | instid1(VALU_DEP_2)
	v_add_co_u32 v1, vcc_lo, s0, v1
	v_add_co_ci_u32_e32 v2, vcc_lo, s1, v2, vcc_lo
	s_sub_u32 s0, s2, s44
	s_subb_u32 s1, s3, 0
	s_mov_b32 s2, exec_lo
	s_delay_alu instid0(VALU_DEP_1)
	v_cmpx_gt_i64_e64 s[0:1], v[1:2]
	s_cbranch_execz .LBB99_27
; %bb.10:
	v_and_b32_e32 v3, 31, v0
	s_mov_b32 s4, s45
	s_delay_alu instid0(VALU_DEP_1) | instskip(NEXT) | instid1(VALU_DEP_1)
	v_sub_co_u32 v17, s3, v3, s45
	v_sub_co_ci_u32_e64 v18, null, 0, 0, s3
	s_mov_b32 s3, 0
	s_branch .LBB99_12
.LBB99_11:                              ;   in Loop: Header=BB99_12 Depth=1
	s_or_b32 exec_lo, exec_lo, s5
	v_add_co_u32 v1, vcc_lo, v1, 32
	v_add_co_ci_u32_e32 v2, vcc_lo, 0, v2, vcc_lo
	s_delay_alu instid0(VALU_DEP_1) | instskip(SKIP_1) | instid1(SALU_CYCLE_1)
	v_cmp_le_i64_e32 vcc_lo, s[0:1], v[1:2]
	s_or_b32 s3, vcc_lo, s3
	s_and_not1_b32 exec_lo, exec_lo, s3
	s_cbranch_execz .LBB99_27
.LBB99_12:                              ; =>This Loop Header: Depth=1
                                        ;     Child Loop BB99_15 Depth 2
                                        ;       Child Loop BB99_17 Depth 3
	v_lshlrev_b64 v[3:4], 3, v[1:2]
	s_mov_b32 s5, exec_lo
	s_delay_alu instid0(VALU_DEP_1) | instskip(NEXT) | instid1(VALU_DEP_2)
	v_add_co_u32 v3, vcc_lo, s6, v3
	v_add_co_ci_u32_e32 v4, vcc_lo, s7, v4, vcc_lo
	global_load_b64 v[3:4], v[3:4], off
	s_waitcnt vmcnt(0)
	v_sub_co_u32 v3, vcc_lo, v3, s44
	v_subrev_co_ci_u32_e32 v4, vcc_lo, 0, v4, vcc_lo
	s_delay_alu instid0(VALU_DEP_1) | instskip(NEXT) | instid1(VALU_DEP_1)
	v_lshlrev_b64 v[3:4], 3, v[3:4]
	v_add_co_u32 v3, vcc_lo, s10, v3
	s_delay_alu instid0(VALU_DEP_2)
	v_add_co_ci_u32_e32 v4, vcc_lo, s11, v4, vcc_lo
	global_load_b128 v[5:8], v[3:4], off
	s_waitcnt vmcnt(0)
	v_sub_co_u32 v3, vcc_lo, v7, s4
	v_subrev_co_ci_u32_e32 v4, vcc_lo, 0, v8, vcc_lo
	v_add_co_u32 v5, vcc_lo, v5, v17
	v_add_co_ci_u32_e32 v6, vcc_lo, v6, v18, vcc_lo
	s_delay_alu instid0(VALU_DEP_1)
	v_cmpx_lt_i64_e64 v[5:6], v[3:4]
	s_cbranch_execz .LBB99_11
; %bb.13:                               ;   in Loop: Header=BB99_12 Depth=1
	v_lshlrev_b64 v[7:8], 2, v[1:2]
	s_mov_b32 s16, 0
	s_delay_alu instid0(VALU_DEP_1) | instskip(NEXT) | instid1(VALU_DEP_2)
	v_add_co_u32 v7, vcc_lo, s8, v7
	v_add_co_ci_u32_e32 v8, vcc_lo, s9, v8, vcc_lo
	global_load_b32 v7, v[7:8], off
	s_waitcnt vmcnt(0)
	v_mul_f32_e32 v19, v16, v7
	s_branch .LBB99_15
.LBB99_14:                              ;   in Loop: Header=BB99_15 Depth=2
	s_or_b32 exec_lo, exec_lo, s17
	v_add_co_u32 v5, vcc_lo, v5, 32
	v_add_co_ci_u32_e32 v6, vcc_lo, 0, v6, vcc_lo
	s_delay_alu instid0(VALU_DEP_1) | instskip(SKIP_1) | instid1(SALU_CYCLE_1)
	v_cmp_ge_i64_e32 vcc_lo, v[5:6], v[3:4]
	s_or_b32 s16, vcc_lo, s16
	s_and_not1_b32 exec_lo, exec_lo, s16
	s_cbranch_execz .LBB99_11
.LBB99_15:                              ;   Parent Loop BB99_12 Depth=1
                                        ; =>  This Loop Header: Depth=2
                                        ;       Child Loop BB99_17 Depth 3
	v_lshlrev_b64 v[7:8], 3, v[5:6]
	v_lshlrev_b64 v[9:10], 2, v[5:6]
	s_mov_b32 s17, 0
	s_delay_alu instid0(VALU_DEP_2) | instskip(NEXT) | instid1(VALU_DEP_3)
	v_add_co_u32 v7, vcc_lo, s12, v7
	v_add_co_ci_u32_e32 v8, vcc_lo, s13, v8, vcc_lo
	s_delay_alu instid0(VALU_DEP_3) | instskip(NEXT) | instid1(VALU_DEP_4)
	v_add_co_u32 v9, vcc_lo, s14, v9
	v_add_co_ci_u32_e32 v10, vcc_lo, s15, v10, vcc_lo
	global_load_b64 v[7:8], v[7:8], off
	global_load_b32 v9, v[9:10], off
	s_waitcnt vmcnt(1)
	v_sub_co_u32 v7, vcc_lo, v7, s4
	v_subrev_co_ci_u32_e32 v8, vcc_lo, 0, v8, vcc_lo
	s_delay_alu instid0(VALU_DEP_2) | instskip(SKIP_1) | instid1(VALU_DEP_1)
	v_mul_lo_u32 v10, 0x89, v7
	s_waitcnt vmcnt(0)
	v_dual_mul_f32 v20, v19, v9 :: v_dual_and_b32 v21, 0x7ff, v10
	s_branch .LBB99_17
.LBB99_16:                              ;   in Loop: Header=BB99_17 Depth=3
	s_or_b32 exec_lo, exec_lo, s18
	s_xor_b32 s18, s19, -1
	s_delay_alu instid0(SALU_CYCLE_1) | instskip(NEXT) | instid1(SALU_CYCLE_1)
	s_and_b32 s18, exec_lo, s18
	s_or_b32 s17, s18, s17
	s_delay_alu instid0(SALU_CYCLE_1)
	s_and_not1_b32 exec_lo, exec_lo, s17
	s_cbranch_execz .LBB99_14
.LBB99_17:                              ;   Parent Loop BB99_12 Depth=1
                                        ;     Parent Loop BB99_15 Depth=2
                                        ; =>    This Inner Loop Header: Depth=3
	s_delay_alu instid0(VALU_DEP_1)
	v_lshl_add_u32 v22, v21, 3, 0
	s_mov_b32 s18, exec_lo
                                        ; implicit-def: $sgpr19
	ds_load_b64 v[9:10], v22
	s_waitcnt lgkmcnt(0)
	v_cmpx_ne_u64_e64 v[9:10], v[7:8]
	s_xor_b32 s18, exec_lo, s18
	s_cbranch_execz .LBB99_25
; %bb.18:                               ;   in Loop: Header=BB99_17 Depth=3
	s_mov_b32 s20, exec_lo
                                        ; implicit-def: $sgpr19
	v_cmpx_ne_u64_e64 s[34:35], v[9:10]
	s_xor_b32 s20, exec_lo, s20
; %bb.19:                               ;   in Loop: Header=BB99_17 Depth=3
	v_add_nc_u32_e32 v9, 1, v21
	s_mov_b32 s19, -1
                                        ; implicit-def: $vgpr22
	s_delay_alu instid0(VALU_DEP_1)
	v_and_b32_e32 v21, 0x7ff, v9
; %bb.20:                               ;   in Loop: Header=BB99_17 Depth=3
	s_and_not1_saveexec_b32 s20, s20
	s_cbranch_execz .LBB99_24
; %bb.21:                               ;   in Loop: Header=BB99_17 Depth=3
	v_dual_mov_b32 v9, s34 :: v_dual_mov_b32 v10, s35
	s_mov_b32 s21, -1
	s_mov_b32 s23, exec_lo
	ds_cmpstore_rtn_b64 v[9:10], v22, v[7:8], v[9:10]
	s_waitcnt lgkmcnt(0)
	v_cmpx_eq_u64_e64 s[34:35], v[9:10]
	s_cbranch_execz .LBB99_23
; %bb.22:                               ;   in Loop: Header=BB99_17 Depth=3
	v_lshlrev_b32_e32 v9, 2, v21
	s_xor_b32 s21, exec_lo, -1
	s_delay_alu instid0(VALU_DEP_1)
	v_sub_nc_u32_e32 v9, v22, v9
	ds_add_f32 v9, v20 offset:16384
.LBB99_23:                              ;   in Loop: Header=BB99_17 Depth=3
	s_or_b32 exec_lo, exec_lo, s23
	s_delay_alu instid0(SALU_CYCLE_1) | instskip(SKIP_1) | instid1(SALU_CYCLE_1)
	s_and_not1_b32 s19, s19, exec_lo
	s_and_b32 s21, s21, exec_lo
	s_or_b32 s19, s19, s21
.LBB99_24:                              ;   in Loop: Header=BB99_17 Depth=3
	s_or_b32 exec_lo, exec_lo, s20
	s_delay_alu instid0(SALU_CYCLE_1)
	s_and_b32 s19, s19, exec_lo
                                        ; implicit-def: $vgpr22
.LBB99_25:                              ;   in Loop: Header=BB99_17 Depth=3
	s_and_not1_saveexec_b32 s18, s18
	s_cbranch_execz .LBB99_16
; %bb.26:                               ;   in Loop: Header=BB99_17 Depth=3
	v_lshlrev_b32_e32 v9, 2, v21
	s_and_not1_b32 s19, s19, exec_lo
	s_delay_alu instid0(VALU_DEP_1)
	v_sub_nc_u32_e32 v9, v22, v9
	ds_add_f32 v9, v20 offset:16384
	s_branch .LBB99_16
.LBB99_27:
	s_or_b32 exec_lo, exec_lo, s2
.LBB99_28:
	s_delay_alu instid0(SALU_CYCLE_1)
	s_and_not1_b32 vcc_lo, exec_lo, s22
	s_cbranch_vccnz .LBB99_45
; %bb.29:
	s_waitcnt lgkmcnt(0)
	s_lshl_b64 s[0:1], s[52:53], 3
	v_sub_co_u32 v1, s4, v0, s47
	s_add_u32 s0, s36, s0
	s_addc_u32 s1, s37, s1
	v_sub_co_ci_u32_e64 v2, null, 0, 0, s4
	s_load_b128 s[0:3], s[0:1], 0x0
	s_waitcnt lgkmcnt(0)
	v_add_co_u32 v1, vcc_lo, s0, v1
	s_delay_alu instid0(VALU_DEP_2)
	v_add_co_ci_u32_e32 v2, vcc_lo, s1, v2, vcc_lo
	s_sub_u32 s0, s2, s47
	s_subb_u32 s1, s3, 0
	s_mov_b32 s2, 0
	s_mov_b32 s3, exec_lo
	v_cmpx_gt_i64_e64 s[0:1], v[1:2]
	s_cbranch_execz .LBB99_44
; %bb.30:
	s_mov_b32 s4, s47
	s_branch .LBB99_32
.LBB99_31:                              ;   in Loop: Header=BB99_32 Depth=1
	s_or_b32 exec_lo, exec_lo, s5
	v_add_co_u32 v1, vcc_lo, 0x400, v1
	v_add_co_ci_u32_e32 v2, vcc_lo, 0, v2, vcc_lo
	s_delay_alu instid0(VALU_DEP_1) | instskip(SKIP_1) | instid1(SALU_CYCLE_1)
	v_cmp_le_i64_e32 vcc_lo, s[0:1], v[1:2]
	s_or_b32 s2, vcc_lo, s2
	s_and_not1_b32 exec_lo, exec_lo, s2
	s_cbranch_execz .LBB99_44
.LBB99_32:                              ; =>This Loop Header: Depth=1
                                        ;     Child Loop BB99_34 Depth 2
	v_lshlrev_b64 v[3:4], 3, v[1:2]
	v_lshlrev_b64 v[5:6], 2, v[1:2]
	s_mov_b32 s5, 0
	s_delay_alu instid0(VALU_DEP_2) | instskip(NEXT) | instid1(VALU_DEP_3)
	v_add_co_u32 v3, vcc_lo, s38, v3
	v_add_co_ci_u32_e32 v4, vcc_lo, s39, v4, vcc_lo
	s_delay_alu instid0(VALU_DEP_3) | instskip(NEXT) | instid1(VALU_DEP_4)
	v_add_co_u32 v5, vcc_lo, s40, v5
	v_add_co_ci_u32_e32 v6, vcc_lo, s41, v6, vcc_lo
	global_load_b64 v[3:4], v[3:4], off
	global_load_b32 v5, v[5:6], off
	s_waitcnt vmcnt(1)
	v_sub_co_u32 v3, vcc_lo, v3, s4
	v_subrev_co_ci_u32_e32 v4, vcc_lo, 0, v4, vcc_lo
	s_delay_alu instid0(VALU_DEP_2) | instskip(SKIP_1) | instid1(VALU_DEP_1)
	v_mul_lo_u32 v6, 0x89, v3
	s_waitcnt vmcnt(0)
	v_dual_mul_f32 v7, v14, v5 :: v_dual_and_b32 v8, 0x7ff, v6
	s_branch .LBB99_34
.LBB99_33:                              ;   in Loop: Header=BB99_34 Depth=2
	s_or_b32 exec_lo, exec_lo, s6
	s_xor_b32 s6, s7, -1
	s_delay_alu instid0(SALU_CYCLE_1) | instskip(NEXT) | instid1(SALU_CYCLE_1)
	s_and_b32 s6, exec_lo, s6
	s_or_b32 s5, s6, s5
	s_delay_alu instid0(SALU_CYCLE_1)
	s_and_not1_b32 exec_lo, exec_lo, s5
	s_cbranch_execz .LBB99_31
.LBB99_34:                              ;   Parent Loop BB99_32 Depth=1
                                        ; =>  This Inner Loop Header: Depth=2
	s_delay_alu instid0(VALU_DEP_1)
	v_lshl_add_u32 v9, v8, 3, 0
	s_mov_b32 s6, exec_lo
                                        ; implicit-def: $sgpr7
	ds_load_b64 v[5:6], v9
	s_waitcnt lgkmcnt(0)
	v_cmpx_ne_u64_e64 v[5:6], v[3:4]
	s_xor_b32 s6, exec_lo, s6
	s_cbranch_execz .LBB99_42
; %bb.35:                               ;   in Loop: Header=BB99_34 Depth=2
	s_mov_b32 s8, exec_lo
                                        ; implicit-def: $sgpr7
	v_cmpx_ne_u64_e64 s[34:35], v[5:6]
	s_xor_b32 s8, exec_lo, s8
; %bb.36:                               ;   in Loop: Header=BB99_34 Depth=2
	v_add_nc_u32_e32 v5, 1, v8
	s_mov_b32 s7, -1
                                        ; implicit-def: $vgpr9
	s_delay_alu instid0(VALU_DEP_1)
	v_and_b32_e32 v8, 0x7ff, v5
; %bb.37:                               ;   in Loop: Header=BB99_34 Depth=2
	s_and_not1_saveexec_b32 s8, s8
	s_cbranch_execz .LBB99_41
; %bb.38:                               ;   in Loop: Header=BB99_34 Depth=2
	v_dual_mov_b32 v5, s34 :: v_dual_mov_b32 v6, s35
	s_mov_b32 s9, -1
	s_mov_b32 s10, exec_lo
	ds_cmpstore_rtn_b64 v[5:6], v9, v[3:4], v[5:6]
	s_waitcnt lgkmcnt(0)
	v_cmpx_eq_u64_e64 s[34:35], v[5:6]
	s_cbranch_execz .LBB99_40
; %bb.39:                               ;   in Loop: Header=BB99_34 Depth=2
	v_lshlrev_b32_e32 v5, 2, v8
	s_xor_b32 s9, exec_lo, -1
	s_delay_alu instid0(VALU_DEP_1)
	v_sub_nc_u32_e32 v5, v9, v5
	ds_add_f32 v5, v7 offset:16384
.LBB99_40:                              ;   in Loop: Header=BB99_34 Depth=2
	s_or_b32 exec_lo, exec_lo, s10
	s_delay_alu instid0(SALU_CYCLE_1) | instskip(SKIP_1) | instid1(SALU_CYCLE_1)
	s_and_not1_b32 s7, s7, exec_lo
	s_and_b32 s9, s9, exec_lo
	s_or_b32 s7, s7, s9
.LBB99_41:                              ;   in Loop: Header=BB99_34 Depth=2
	s_or_b32 exec_lo, exec_lo, s8
	s_delay_alu instid0(SALU_CYCLE_1)
	s_and_b32 s7, s7, exec_lo
                                        ; implicit-def: $vgpr9
.LBB99_42:                              ;   in Loop: Header=BB99_34 Depth=2
	s_and_not1_saveexec_b32 s6, s6
	s_cbranch_execz .LBB99_33
; %bb.43:                               ;   in Loop: Header=BB99_34 Depth=2
	v_lshlrev_b32_e32 v5, 2, v8
	s_and_not1_b32 s7, s7, exec_lo
	s_delay_alu instid0(VALU_DEP_1)
	v_sub_nc_u32_e32 v5, v9, v5
	ds_add_f32 v5, v7 offset:16384
	s_branch .LBB99_33
.LBB99_44:
	s_or_b32 exec_lo, exec_lo, s3
.LBB99_45:
	v_mbcnt_lo_u32_b32 v1, -1, 0
	v_lshl_add_u32 v10, v15, 3, 0
	v_cmp_eq_u32_e32 vcc_lo, 0x3ff, v0
	v_cmp_lt_u32_e64 s0, 31, v0
	v_cmp_lt_u32_e64 s1, 63, v0
	v_xor_b32_e32 v1, 63, v1
	v_cmp_lt_u32_e64 s2, 0x5f, v0
	v_cmp_lt_u32_e64 s3, 0x7f, v0
	;; [unrolled: 1-line block ×4, first 2 shown]
	v_lshrrev_b64 v[1:2], v1, -1
	v_dual_mov_b32 v2, 0 :: v_dual_mov_b32 v5, 0
	v_cmp_lt_u32_e64 s6, 0xdf, v0
	v_cmp_lt_u32_e64 s7, 0xff, v0
	;; [unrolled: 1-line block ×25, first 2 shown]
	v_mov_b32_e32 v3, 0
	s_mov_b32 s33, 0
	s_waitcnt lgkmcnt(0)
	s_barrier
	buffer_gl0_inv
	s_branch .LBB99_47
.LBB99_46:                              ;   in Loop: Header=BB99_47 Depth=1
	s_or_b32 exec_lo, exec_lo, s31
	s_waitcnt lgkmcnt(0)
	s_barrier
	buffer_gl0_inv
	ds_load_b64 v[6:7], v5 offset:24824
	v_add_co_u32 v12, s31, 0x400, v12
	s_delay_alu instid0(VALU_DEP_1) | instskip(SKIP_4) | instid1(VALU_DEP_1)
	s_xor_b32 s36, s31, -1
	v_add_nc_u32_e32 v13, 0x1000, v13
	v_add_nc_u32_e32 v11, 0x2000, v11
	s_waitcnt lgkmcnt(0)
	v_add_co_u32 v2, s31, v6, v2
	v_add_co_ci_u32_e64 v3, s31, v7, v3, s31
	s_and_b32 s31, exec_lo, s36
	s_delay_alu instid0(SALU_CYCLE_1) | instskip(NEXT) | instid1(SALU_CYCLE_1)
	s_or_b32 s33, s31, s33
	s_and_not1_b32 exec_lo, exec_lo, s33
	s_cbranch_execz .LBB99_113
.LBB99_47:                              ; =>This Inner Loop Header: Depth=1
	ds_load_b64 v[6:7], v11
	ds_load_b32 v14, v13
	s_waitcnt lgkmcnt(0)
	s_barrier
	buffer_gl0_inv
	v_cmp_gt_i64_e64 s31, s[34:35], v[6:7]
	s_delay_alu instid0(VALU_DEP_1) | instskip(SKIP_1) | instid1(SALU_CYCLE_1)
	v_and_b32_e32 v8, s31, v1
	s_bcnt1_i32_b32 s36, s31
	v_mov_b32_e32 v4, s36
	s_delay_alu instid0(VALU_DEP_2)
	v_bcnt_u32_b32 v8, v8, 0
	ds_store_b64 v10, v[4:5] offset:24576
	s_waitcnt lgkmcnt(0)
	s_barrier
	buffer_gl0_inv
	s_and_saveexec_b32 s36, s0
	s_cbranch_execnz .LBB99_80
; %bb.48:                               ;   in Loop: Header=BB99_47 Depth=1
	s_or_b32 exec_lo, exec_lo, s36
	s_and_saveexec_b32 s36, s1
	s_cbranch_execnz .LBB99_81
.LBB99_49:                              ;   in Loop: Header=BB99_47 Depth=1
	s_or_b32 exec_lo, exec_lo, s36
	s_and_saveexec_b32 s36, s2
	s_cbranch_execnz .LBB99_82
.LBB99_50:                              ;   in Loop: Header=BB99_47 Depth=1
	s_or_b32 exec_lo, exec_lo, s36
	s_and_saveexec_b32 s36, s3
	s_cbranch_execnz .LBB99_83
.LBB99_51:                              ;   in Loop: Header=BB99_47 Depth=1
	s_or_b32 exec_lo, exec_lo, s36
	s_and_saveexec_b32 s36, s4
	s_cbranch_execnz .LBB99_84
.LBB99_52:                              ;   in Loop: Header=BB99_47 Depth=1
	s_or_b32 exec_lo, exec_lo, s36
	s_and_saveexec_b32 s36, s5
	s_cbranch_execnz .LBB99_85
.LBB99_53:                              ;   in Loop: Header=BB99_47 Depth=1
	s_or_b32 exec_lo, exec_lo, s36
	s_and_saveexec_b32 s36, s6
	s_cbranch_execnz .LBB99_86
.LBB99_54:                              ;   in Loop: Header=BB99_47 Depth=1
	s_or_b32 exec_lo, exec_lo, s36
	s_and_saveexec_b32 s36, s7
	s_cbranch_execnz .LBB99_87
.LBB99_55:                              ;   in Loop: Header=BB99_47 Depth=1
	s_or_b32 exec_lo, exec_lo, s36
	s_and_saveexec_b32 s36, s8
	s_cbranch_execnz .LBB99_88
.LBB99_56:                              ;   in Loop: Header=BB99_47 Depth=1
	s_or_b32 exec_lo, exec_lo, s36
	s_and_saveexec_b32 s36, s9
	s_cbranch_execnz .LBB99_89
.LBB99_57:                              ;   in Loop: Header=BB99_47 Depth=1
	s_or_b32 exec_lo, exec_lo, s36
	s_and_saveexec_b32 s36, s10
	s_cbranch_execnz .LBB99_90
.LBB99_58:                              ;   in Loop: Header=BB99_47 Depth=1
	s_or_b32 exec_lo, exec_lo, s36
	s_and_saveexec_b32 s36, s11
	s_cbranch_execnz .LBB99_91
.LBB99_59:                              ;   in Loop: Header=BB99_47 Depth=1
	s_or_b32 exec_lo, exec_lo, s36
	s_and_saveexec_b32 s36, s12
	s_cbranch_execnz .LBB99_92
.LBB99_60:                              ;   in Loop: Header=BB99_47 Depth=1
	s_or_b32 exec_lo, exec_lo, s36
	s_and_saveexec_b32 s36, s13
	s_cbranch_execnz .LBB99_93
.LBB99_61:                              ;   in Loop: Header=BB99_47 Depth=1
	s_or_b32 exec_lo, exec_lo, s36
	s_and_saveexec_b32 s36, s14
	s_cbranch_execnz .LBB99_94
.LBB99_62:                              ;   in Loop: Header=BB99_47 Depth=1
	s_or_b32 exec_lo, exec_lo, s36
	s_and_saveexec_b32 s36, s15
	s_cbranch_execnz .LBB99_95
.LBB99_63:                              ;   in Loop: Header=BB99_47 Depth=1
	s_or_b32 exec_lo, exec_lo, s36
	s_and_saveexec_b32 s36, s16
	s_cbranch_execnz .LBB99_96
.LBB99_64:                              ;   in Loop: Header=BB99_47 Depth=1
	s_or_b32 exec_lo, exec_lo, s36
	s_and_saveexec_b32 s36, s17
	s_cbranch_execnz .LBB99_97
.LBB99_65:                              ;   in Loop: Header=BB99_47 Depth=1
	s_or_b32 exec_lo, exec_lo, s36
	s_and_saveexec_b32 s36, s18
	s_cbranch_execnz .LBB99_98
.LBB99_66:                              ;   in Loop: Header=BB99_47 Depth=1
	s_or_b32 exec_lo, exec_lo, s36
	s_and_saveexec_b32 s36, s19
	s_cbranch_execnz .LBB99_99
.LBB99_67:                              ;   in Loop: Header=BB99_47 Depth=1
	s_or_b32 exec_lo, exec_lo, s36
	s_and_saveexec_b32 s36, s20
	s_cbranch_execnz .LBB99_100
.LBB99_68:                              ;   in Loop: Header=BB99_47 Depth=1
	s_or_b32 exec_lo, exec_lo, s36
	s_and_saveexec_b32 s36, s21
	s_cbranch_execnz .LBB99_101
.LBB99_69:                              ;   in Loop: Header=BB99_47 Depth=1
	s_or_b32 exec_lo, exec_lo, s36
	s_and_saveexec_b32 s36, s22
	s_cbranch_execnz .LBB99_102
.LBB99_70:                              ;   in Loop: Header=BB99_47 Depth=1
	s_or_b32 exec_lo, exec_lo, s36
	s_and_saveexec_b32 s36, s23
	s_cbranch_execnz .LBB99_103
.LBB99_71:                              ;   in Loop: Header=BB99_47 Depth=1
	s_or_b32 exec_lo, exec_lo, s36
	s_and_saveexec_b32 s36, s24
	s_cbranch_execnz .LBB99_104
.LBB99_72:                              ;   in Loop: Header=BB99_47 Depth=1
	s_or_b32 exec_lo, exec_lo, s36
	s_and_saveexec_b32 s36, s25
	s_cbranch_execnz .LBB99_105
.LBB99_73:                              ;   in Loop: Header=BB99_47 Depth=1
	s_or_b32 exec_lo, exec_lo, s36
	s_and_saveexec_b32 s36, s26
	s_cbranch_execnz .LBB99_106
.LBB99_74:                              ;   in Loop: Header=BB99_47 Depth=1
	s_or_b32 exec_lo, exec_lo, s36
	s_and_saveexec_b32 s36, s27
	s_cbranch_execnz .LBB99_107
.LBB99_75:                              ;   in Loop: Header=BB99_47 Depth=1
	s_or_b32 exec_lo, exec_lo, s36
	s_and_saveexec_b32 s36, s28
	s_cbranch_execnz .LBB99_108
.LBB99_76:                              ;   in Loop: Header=BB99_47 Depth=1
	s_or_b32 exec_lo, exec_lo, s36
	s_and_saveexec_b32 s36, s29
	s_cbranch_execnz .LBB99_109
.LBB99_77:                              ;   in Loop: Header=BB99_47 Depth=1
	s_or_b32 exec_lo, exec_lo, s36
	s_and_saveexec_b32 s36, s30
	s_cbranch_execnz .LBB99_110
.LBB99_78:                              ;   in Loop: Header=BB99_47 Depth=1
	s_or_b32 exec_lo, exec_lo, s36
	v_ashrrev_i32_e32 v9, 31, v8
	s_and_saveexec_b32 s36, s31
	s_cbranch_execnz .LBB99_111
.LBB99_79:                              ;   in Loop: Header=BB99_47 Depth=1
	s_or_b32 exec_lo, exec_lo, s36
	s_and_saveexec_b32 s31, vcc_lo
	s_cbranch_execz .LBB99_46
	s_branch .LBB99_112
.LBB99_80:                              ;   in Loop: Header=BB99_47 Depth=1
	ds_load_b32 v4, v5 offset:24576
	s_waitcnt lgkmcnt(0)
	v_add_nc_u32_e32 v8, v4, v8
	s_or_b32 exec_lo, exec_lo, s36
	s_and_saveexec_b32 s36, s1
	s_cbranch_execz .LBB99_49
.LBB99_81:                              ;   in Loop: Header=BB99_47 Depth=1
	ds_load_b32 v4, v5 offset:24584
	s_waitcnt lgkmcnt(0)
	v_add_nc_u32_e32 v8, v8, v4
	s_or_b32 exec_lo, exec_lo, s36
	s_and_saveexec_b32 s36, s2
	s_cbranch_execz .LBB99_50
.LBB99_82:                              ;   in Loop: Header=BB99_47 Depth=1
	ds_load_b32 v4, v5 offset:24592
	s_waitcnt lgkmcnt(0)
	v_add_nc_u32_e32 v8, v8, v4
	s_or_b32 exec_lo, exec_lo, s36
	s_and_saveexec_b32 s36, s3
	s_cbranch_execz .LBB99_51
.LBB99_83:                              ;   in Loop: Header=BB99_47 Depth=1
	ds_load_b32 v4, v5 offset:24600
	s_waitcnt lgkmcnt(0)
	v_add_nc_u32_e32 v8, v8, v4
	s_or_b32 exec_lo, exec_lo, s36
	s_and_saveexec_b32 s36, s4
	s_cbranch_execz .LBB99_52
.LBB99_84:                              ;   in Loop: Header=BB99_47 Depth=1
	ds_load_b32 v4, v5 offset:24608
	s_waitcnt lgkmcnt(0)
	v_add_nc_u32_e32 v8, v8, v4
	s_or_b32 exec_lo, exec_lo, s36
	s_and_saveexec_b32 s36, s5
	s_cbranch_execz .LBB99_53
.LBB99_85:                              ;   in Loop: Header=BB99_47 Depth=1
	ds_load_b32 v4, v5 offset:24616
	s_waitcnt lgkmcnt(0)
	v_add_nc_u32_e32 v8, v8, v4
	s_or_b32 exec_lo, exec_lo, s36
	s_and_saveexec_b32 s36, s6
	s_cbranch_execz .LBB99_54
.LBB99_86:                              ;   in Loop: Header=BB99_47 Depth=1
	ds_load_b32 v4, v5 offset:24624
	s_waitcnt lgkmcnt(0)
	v_add_nc_u32_e32 v8, v8, v4
	s_or_b32 exec_lo, exec_lo, s36
	s_and_saveexec_b32 s36, s7
	s_cbranch_execz .LBB99_55
.LBB99_87:                              ;   in Loop: Header=BB99_47 Depth=1
	ds_load_b32 v4, v5 offset:24632
	s_waitcnt lgkmcnt(0)
	v_add_nc_u32_e32 v8, v8, v4
	s_or_b32 exec_lo, exec_lo, s36
	s_and_saveexec_b32 s36, s8
	s_cbranch_execz .LBB99_56
.LBB99_88:                              ;   in Loop: Header=BB99_47 Depth=1
	ds_load_b32 v4, v5 offset:24640
	s_waitcnt lgkmcnt(0)
	v_add_nc_u32_e32 v8, v8, v4
	s_or_b32 exec_lo, exec_lo, s36
	s_and_saveexec_b32 s36, s9
	s_cbranch_execz .LBB99_57
.LBB99_89:                              ;   in Loop: Header=BB99_47 Depth=1
	ds_load_b32 v4, v5 offset:24648
	s_waitcnt lgkmcnt(0)
	v_add_nc_u32_e32 v8, v8, v4
	s_or_b32 exec_lo, exec_lo, s36
	s_and_saveexec_b32 s36, s10
	s_cbranch_execz .LBB99_58
.LBB99_90:                              ;   in Loop: Header=BB99_47 Depth=1
	ds_load_b32 v4, v5 offset:24656
	s_waitcnt lgkmcnt(0)
	v_add_nc_u32_e32 v8, v8, v4
	s_or_b32 exec_lo, exec_lo, s36
	s_and_saveexec_b32 s36, s11
	s_cbranch_execz .LBB99_59
.LBB99_91:                              ;   in Loop: Header=BB99_47 Depth=1
	ds_load_b32 v4, v5 offset:24664
	s_waitcnt lgkmcnt(0)
	v_add_nc_u32_e32 v8, v8, v4
	s_or_b32 exec_lo, exec_lo, s36
	s_and_saveexec_b32 s36, s12
	s_cbranch_execz .LBB99_60
.LBB99_92:                              ;   in Loop: Header=BB99_47 Depth=1
	ds_load_b32 v4, v5 offset:24672
	s_waitcnt lgkmcnt(0)
	v_add_nc_u32_e32 v8, v8, v4
	s_or_b32 exec_lo, exec_lo, s36
	s_and_saveexec_b32 s36, s13
	s_cbranch_execz .LBB99_61
.LBB99_93:                              ;   in Loop: Header=BB99_47 Depth=1
	ds_load_b32 v4, v5 offset:24680
	s_waitcnt lgkmcnt(0)
	v_add_nc_u32_e32 v8, v8, v4
	s_or_b32 exec_lo, exec_lo, s36
	s_and_saveexec_b32 s36, s14
	s_cbranch_execz .LBB99_62
.LBB99_94:                              ;   in Loop: Header=BB99_47 Depth=1
	ds_load_b32 v4, v5 offset:24688
	s_waitcnt lgkmcnt(0)
	v_add_nc_u32_e32 v8, v8, v4
	s_or_b32 exec_lo, exec_lo, s36
	s_and_saveexec_b32 s36, s15
	s_cbranch_execz .LBB99_63
.LBB99_95:                              ;   in Loop: Header=BB99_47 Depth=1
	ds_load_b32 v4, v5 offset:24696
	s_waitcnt lgkmcnt(0)
	v_add_nc_u32_e32 v8, v8, v4
	s_or_b32 exec_lo, exec_lo, s36
	s_and_saveexec_b32 s36, s16
	s_cbranch_execz .LBB99_64
.LBB99_96:                              ;   in Loop: Header=BB99_47 Depth=1
	ds_load_b32 v4, v5 offset:24704
	s_waitcnt lgkmcnt(0)
	v_add_nc_u32_e32 v8, v8, v4
	s_or_b32 exec_lo, exec_lo, s36
	s_and_saveexec_b32 s36, s17
	s_cbranch_execz .LBB99_65
.LBB99_97:                              ;   in Loop: Header=BB99_47 Depth=1
	ds_load_b32 v4, v5 offset:24712
	s_waitcnt lgkmcnt(0)
	v_add_nc_u32_e32 v8, v8, v4
	s_or_b32 exec_lo, exec_lo, s36
	s_and_saveexec_b32 s36, s18
	s_cbranch_execz .LBB99_66
.LBB99_98:                              ;   in Loop: Header=BB99_47 Depth=1
	ds_load_b32 v4, v5 offset:24720
	s_waitcnt lgkmcnt(0)
	v_add_nc_u32_e32 v8, v8, v4
	s_or_b32 exec_lo, exec_lo, s36
	s_and_saveexec_b32 s36, s19
	s_cbranch_execz .LBB99_67
.LBB99_99:                              ;   in Loop: Header=BB99_47 Depth=1
	ds_load_b32 v4, v5 offset:24728
	s_waitcnt lgkmcnt(0)
	v_add_nc_u32_e32 v8, v8, v4
	s_or_b32 exec_lo, exec_lo, s36
	s_and_saveexec_b32 s36, s20
	s_cbranch_execz .LBB99_68
.LBB99_100:                             ;   in Loop: Header=BB99_47 Depth=1
	ds_load_b32 v4, v5 offset:24736
	s_waitcnt lgkmcnt(0)
	v_add_nc_u32_e32 v8, v8, v4
	s_or_b32 exec_lo, exec_lo, s36
	s_and_saveexec_b32 s36, s21
	s_cbranch_execz .LBB99_69
.LBB99_101:                             ;   in Loop: Header=BB99_47 Depth=1
	ds_load_b32 v4, v5 offset:24744
	s_waitcnt lgkmcnt(0)
	v_add_nc_u32_e32 v8, v8, v4
	s_or_b32 exec_lo, exec_lo, s36
	s_and_saveexec_b32 s36, s22
	s_cbranch_execz .LBB99_70
.LBB99_102:                             ;   in Loop: Header=BB99_47 Depth=1
	ds_load_b32 v4, v5 offset:24752
	s_waitcnt lgkmcnt(0)
	v_add_nc_u32_e32 v8, v8, v4
	s_or_b32 exec_lo, exec_lo, s36
	s_and_saveexec_b32 s36, s23
	s_cbranch_execz .LBB99_71
.LBB99_103:                             ;   in Loop: Header=BB99_47 Depth=1
	ds_load_b32 v4, v5 offset:24760
	s_waitcnt lgkmcnt(0)
	v_add_nc_u32_e32 v8, v8, v4
	s_or_b32 exec_lo, exec_lo, s36
	s_and_saveexec_b32 s36, s24
	s_cbranch_execz .LBB99_72
.LBB99_104:                             ;   in Loop: Header=BB99_47 Depth=1
	ds_load_b32 v4, v5 offset:24768
	s_waitcnt lgkmcnt(0)
	v_add_nc_u32_e32 v8, v8, v4
	s_or_b32 exec_lo, exec_lo, s36
	s_and_saveexec_b32 s36, s25
	s_cbranch_execz .LBB99_73
.LBB99_105:                             ;   in Loop: Header=BB99_47 Depth=1
	ds_load_b32 v4, v5 offset:24776
	s_waitcnt lgkmcnt(0)
	v_add_nc_u32_e32 v8, v8, v4
	s_or_b32 exec_lo, exec_lo, s36
	s_and_saveexec_b32 s36, s26
	s_cbranch_execz .LBB99_74
.LBB99_106:                             ;   in Loop: Header=BB99_47 Depth=1
	ds_load_b32 v4, v5 offset:24784
	s_waitcnt lgkmcnt(0)
	v_add_nc_u32_e32 v8, v8, v4
	s_or_b32 exec_lo, exec_lo, s36
	s_and_saveexec_b32 s36, s27
	s_cbranch_execz .LBB99_75
.LBB99_107:                             ;   in Loop: Header=BB99_47 Depth=1
	ds_load_b32 v4, v5 offset:24792
	s_waitcnt lgkmcnt(0)
	v_add_nc_u32_e32 v8, v8, v4
	s_or_b32 exec_lo, exec_lo, s36
	s_and_saveexec_b32 s36, s28
	s_cbranch_execz .LBB99_76
.LBB99_108:                             ;   in Loop: Header=BB99_47 Depth=1
	ds_load_b32 v4, v5 offset:24800
	s_waitcnt lgkmcnt(0)
	v_add_nc_u32_e32 v8, v8, v4
	s_or_b32 exec_lo, exec_lo, s36
	s_and_saveexec_b32 s36, s29
	s_cbranch_execz .LBB99_77
.LBB99_109:                             ;   in Loop: Header=BB99_47 Depth=1
	ds_load_b32 v4, v5 offset:24808
	s_waitcnt lgkmcnt(0)
	v_add_nc_u32_e32 v8, v8, v4
	s_or_b32 exec_lo, exec_lo, s36
	s_and_saveexec_b32 s36, s30
	s_cbranch_execz .LBB99_78
.LBB99_110:                             ;   in Loop: Header=BB99_47 Depth=1
	ds_load_b32 v4, v5 offset:24816
	s_waitcnt lgkmcnt(0)
	v_add_nc_u32_e32 v8, v8, v4
	s_or_b32 exec_lo, exec_lo, s36
	s_delay_alu instid0(VALU_DEP_1)
	v_ashrrev_i32_e32 v9, 31, v8
	s_and_saveexec_b32 s36, s31
	s_cbranch_execz .LBB99_79
.LBB99_111:                             ;   in Loop: Header=BB99_47 Depth=1
	v_add3_u32 v4, v2, -1, v8
	s_delay_alu instid0(VALU_DEP_1)
	v_lshl_add_u32 v15, v4, 3, 0
	v_lshl_add_u32 v4, v4, 2, 0
	ds_store_b64 v15, v[6:7]
	ds_store_b32 v4, v14 offset:16384
	s_or_b32 exec_lo, exec_lo, s36
	s_and_saveexec_b32 s31, vcc_lo
	s_cbranch_execz .LBB99_46
.LBB99_112:                             ;   in Loop: Header=BB99_47 Depth=1
	ds_store_b64 v5, v[8:9] offset:24824
	s_branch .LBB99_46
.LBB99_113:
	s_or_b32 exec_lo, exec_lo, s33
	s_lshl_b64 s[0:1], s[52:53], 3
	v_mov_b32_e32 v1, 0
	s_add_u32 s0, s42, s0
	s_addc_u32 s1, s43, s1
	s_mov_b32 s6, exec_lo
	s_load_b128 s[0:3], s[0:1], 0x0
	s_waitcnt lgkmcnt(0)
	s_sub_u32 s4, s2, s0
	s_subb_u32 s5, s3, s1
	s_delay_alu instid0(SALU_CYCLE_1)
	v_cmpx_gt_i64_e64 s[4:5], v[0:1]
	s_cbranch_execz .LBB99_123
; %bb.114:
	s_sub_u32 s8, s0, s46
	s_subb_u32 s9, s1, 0
	s_and_b32 s6, s4, 7
	s_sub_u32 s0, s0, s2
	s_subb_u32 s1, s1, s3
	s_mov_b32 s7, 0
	v_cmp_lt_u64_e64 s12, s[0:1], -7
	s_and_b32 s2, s4, -8
	s_cmp_lg_u64 s[6:7], 0
	s_mov_b32 s3, s5
	s_cselect_b32 s13, -1, 0
	s_mov_b32 s14, s7
	s_branch .LBB99_116
.LBB99_115:                             ;   in Loop: Header=BB99_116 Depth=1
	s_waitcnt lgkmcnt(1)
	v_add_co_u32 v2, vcc_lo, v2, s46
	v_lshlrev_b64 v[7:8], 3, v[4:5]
	v_add_co_ci_u32_e32 v3, vcc_lo, 0, v3, vcc_lo
	v_add_co_u32 v0, vcc_lo, 0x400, v0
	v_add_co_ci_u32_e32 v1, vcc_lo, 0, v1, vcc_lo
	v_lshlrev_b64 v[4:5], 2, v[4:5]
	v_add_co_u32 v7, vcc_lo, s48, v7
	v_add_co_ci_u32_e32 v8, vcc_lo, s49, v8, vcc_lo
	s_delay_alu instid0(VALU_DEP_4) | instskip(NEXT) | instid1(VALU_DEP_4)
	v_cmp_le_i64_e32 vcc_lo, s[4:5], v[0:1]
	v_add_co_u32 v4, s0, s50, v4
	s_delay_alu instid0(VALU_DEP_1) | instskip(SKIP_4) | instid1(SALU_CYCLE_1)
	v_add_co_ci_u32_e64 v5, s0, s51, v5, s0
	global_store_b64 v[7:8], v[2:3], off
	s_waitcnt lgkmcnt(0)
	global_store_b32 v[4:5], v6, off
	s_or_b32 s14, vcc_lo, s14
	s_and_not1_b32 exec_lo, exec_lo, s14
	s_cbranch_execz .LBB99_123
.LBB99_116:                             ; =>This Loop Header: Depth=1
                                        ;     Child Loop BB99_118 Depth 2
                                        ;     Child Loop BB99_122 Depth 2
	v_lshl_add_u32 v2, v0, 3, 0
	v_lshlrev_b32_e32 v3, 2, v0
	s_and_not1_b32 vcc_lo, exec_lo, s12
	s_mov_b64 s[0:1], 0
	s_delay_alu instid0(VALU_DEP_1)
	v_sub_nc_u32_e32 v4, v2, v3
	ds_load_b64 v[2:3], v2
	ds_load_b32 v6, v4 offset:16384
	v_dual_mov_b32 v4, s8 :: v_dual_mov_b32 v5, s9
	s_cbranch_vccnz .LBB99_120
; %bb.117:                              ;   in Loop: Header=BB99_116 Depth=1
	v_dual_mov_b32 v4, s8 :: v_dual_mov_b32 v5, s9
	s_mov_b64 s[10:11], 0
	s_mov_b32 s1, 0
.LBB99_118:                             ;   Parent Loop BB99_116 Depth=1
                                        ; =>  This Inner Loop Header: Depth=2
	s_delay_alu instid0(SALU_CYCLE_1)
	v_mov_b32_e32 v19, s1
	s_add_u32 s10, s10, 8
	s_addc_u32 s11, s11, 0
	s_add_i32 s1, s1, 64
	s_cmp_eq_u64 s[2:3], s[10:11]
	ds_load_2addr_b64 v[7:10], v19 offset1:1
	ds_load_2addr_b64 v[11:14], v19 offset0:2 offset1:3
	ds_load_2addr_b64 v[15:18], v19 offset0:4 offset1:5
	;; [unrolled: 1-line block ×3, first 2 shown]
	s_waitcnt lgkmcnt(3)
	v_cmp_gt_i64_e32 vcc_lo, v[2:3], v[7:8]
	v_cndmask_b32_e64 v7, 0, 1, vcc_lo
	v_cmp_gt_i64_e32 vcc_lo, v[2:3], v[9:10]
	v_cndmask_b32_e64 v8, 0, 1, vcc_lo
	s_waitcnt lgkmcnt(2)
	v_cmp_gt_i64_e32 vcc_lo, v[2:3], v[11:12]
	v_cndmask_b32_e64 v9, 0, 1, vcc_lo
	v_cmp_gt_i64_e32 vcc_lo, v[2:3], v[13:14]
	v_cndmask_b32_e64 v10, 0, 1, vcc_lo
	s_waitcnt lgkmcnt(1)
	v_cmp_gt_i64_e32 vcc_lo, v[2:3], v[15:16]
	v_cndmask_b32_e64 v11, 0, 1, vcc_lo
	v_add_co_u32 v4, vcc_lo, v4, v7
	v_add_co_ci_u32_e32 v5, vcc_lo, 0, v5, vcc_lo
	v_cmp_gt_i64_e32 vcc_lo, v[2:3], v[17:18]
	s_delay_alu instid0(VALU_DEP_3) | instskip(NEXT) | instid1(VALU_DEP_1)
	v_add_co_u32 v4, s0, v4, v8
	v_add_co_ci_u32_e64 v5, s0, 0, v5, s0
	v_cndmask_b32_e64 v7, 0, 1, vcc_lo
	s_delay_alu instid0(VALU_DEP_3) | instskip(NEXT) | instid1(VALU_DEP_3)
	v_add_co_u32 v4, vcc_lo, v4, v9
	v_add_co_ci_u32_e32 v5, vcc_lo, 0, v5, vcc_lo
	s_waitcnt lgkmcnt(0)
	v_cmp_gt_i64_e32 vcc_lo, v[2:3], v[19:20]
	s_delay_alu instid0(VALU_DEP_3) | instskip(NEXT) | instid1(VALU_DEP_1)
	v_add_co_u32 v4, s0, v4, v10
	v_add_co_ci_u32_e64 v5, s0, 0, v5, s0
	v_cndmask_b32_e64 v8, 0, 1, vcc_lo
	s_delay_alu instid0(VALU_DEP_3) | instskip(NEXT) | instid1(VALU_DEP_3)
	v_add_co_u32 v4, vcc_lo, v4, v11
	v_add_co_ci_u32_e32 v5, vcc_lo, 0, v5, vcc_lo
	v_cmp_gt_i64_e32 vcc_lo, v[2:3], v[21:22]
	s_delay_alu instid0(VALU_DEP_3) | instskip(NEXT) | instid1(VALU_DEP_1)
	v_add_co_u32 v4, s0, v4, v7
	v_add_co_ci_u32_e64 v5, s0, 0, v5, s0
	v_cndmask_b32_e64 v7, 0, 1, vcc_lo
	s_delay_alu instid0(VALU_DEP_3) | instskip(NEXT) | instid1(VALU_DEP_3)
	v_add_co_u32 v4, vcc_lo, v4, v8
	v_add_co_ci_u32_e32 v5, vcc_lo, 0, v5, vcc_lo
	s_delay_alu instid0(VALU_DEP_2) | instskip(NEXT) | instid1(VALU_DEP_2)
	v_add_co_u32 v4, vcc_lo, v4, v7
	v_add_co_ci_u32_e32 v5, vcc_lo, 0, v5, vcc_lo
	s_cbranch_scc0 .LBB99_118
; %bb.119:                              ;   in Loop: Header=BB99_116 Depth=1
	s_mov_b64 s[0:1], s[2:3]
.LBB99_120:                             ;   in Loop: Header=BB99_116 Depth=1
	s_and_not1_b32 vcc_lo, exec_lo, s13
	s_cbranch_vccnz .LBB99_115
; %bb.121:                              ;   in Loop: Header=BB99_116 Depth=1
	s_lshl_b32 s0, s0, 3
	s_delay_alu instid0(SALU_CYCLE_1)
	s_add_i32 s10, s0, 0
	s_mov_b64 s[0:1], s[6:7]
.LBB99_122:                             ;   Parent Loop BB99_116 Depth=1
                                        ; =>  This Inner Loop Header: Depth=2
	v_mov_b32_e32 v7, s10
	s_add_i32 s10, s10, 8
	s_add_u32 s0, s0, -1
	s_addc_u32 s1, s1, -1
	s_delay_alu instid0(SALU_CYCLE_1) | instskip(SKIP_4) | instid1(VALU_DEP_1)
	s_cmp_lg_u64 s[0:1], 0
	ds_load_b64 v[7:8], v7
	s_waitcnt lgkmcnt(0)
	v_cmp_gt_i64_e32 vcc_lo, v[2:3], v[7:8]
	v_cndmask_b32_e64 v7, 0, 1, vcc_lo
	v_add_co_u32 v4, vcc_lo, v4, v7
	v_add_co_ci_u32_e32 v5, vcc_lo, 0, v5, vcc_lo
	s_cbranch_scc1 .LBB99_122
	s_branch .LBB99_115
.LBB99_123:
	s_nop 0
	s_sendmsg sendmsg(MSG_DEALLOC_VGPRS)
	s_endpgm
	.section	.rodata,"a",@progbits
	.p2align	6, 0x0
	.amdhsa_kernel _ZN9rocsparseL26csrgemm_fill_block_per_rowILj1024ELj32ELj2048ELj137ELj32EllfEEvT5_PKS1_S3_NS_24const_host_device_scalarIT6_EEPKT4_S3_PKS5_S9_S3_SB_S6_S9_S3_SB_S9_PS1_PS5_21rocsparse_index_base_SE_SE_SE_bbb
		.amdhsa_group_segment_fixed_size 0
		.amdhsa_private_segment_fixed_size 0
		.amdhsa_kernarg_size 156
		.amdhsa_user_sgpr_count 15
		.amdhsa_user_sgpr_dispatch_ptr 0
		.amdhsa_user_sgpr_queue_ptr 0
		.amdhsa_user_sgpr_kernarg_segment_ptr 1
		.amdhsa_user_sgpr_dispatch_id 0
		.amdhsa_user_sgpr_private_segment_size 0
		.amdhsa_wavefront_size32 1
		.amdhsa_uses_dynamic_stack 0
		.amdhsa_enable_private_segment 0
		.amdhsa_system_sgpr_workgroup_id_x 1
		.amdhsa_system_sgpr_workgroup_id_y 0
		.amdhsa_system_sgpr_workgroup_id_z 0
		.amdhsa_system_sgpr_workgroup_info 0
		.amdhsa_system_vgpr_workitem_id 0
		.amdhsa_next_free_vgpr 23
		.amdhsa_next_free_sgpr 54
		.amdhsa_reserve_vcc 1
		.amdhsa_float_round_mode_32 0
		.amdhsa_float_round_mode_16_64 0
		.amdhsa_float_denorm_mode_32 3
		.amdhsa_float_denorm_mode_16_64 3
		.amdhsa_dx10_clamp 1
		.amdhsa_ieee_mode 1
		.amdhsa_fp16_overflow 0
		.amdhsa_workgroup_processor_mode 1
		.amdhsa_memory_ordered 1
		.amdhsa_forward_progress 0
		.amdhsa_shared_vgpr_count 0
		.amdhsa_exception_fp_ieee_invalid_op 0
		.amdhsa_exception_fp_denorm_src 0
		.amdhsa_exception_fp_ieee_div_zero 0
		.amdhsa_exception_fp_ieee_overflow 0
		.amdhsa_exception_fp_ieee_underflow 0
		.amdhsa_exception_fp_ieee_inexact 0
		.amdhsa_exception_int_div_zero 0
	.end_amdhsa_kernel
	.section	.text._ZN9rocsparseL26csrgemm_fill_block_per_rowILj1024ELj32ELj2048ELj137ELj32EllfEEvT5_PKS1_S3_NS_24const_host_device_scalarIT6_EEPKT4_S3_PKS5_S9_S3_SB_S6_S9_S3_SB_S9_PS1_PS5_21rocsparse_index_base_SE_SE_SE_bbb,"axG",@progbits,_ZN9rocsparseL26csrgemm_fill_block_per_rowILj1024ELj32ELj2048ELj137ELj32EllfEEvT5_PKS1_S3_NS_24const_host_device_scalarIT6_EEPKT4_S3_PKS5_S9_S3_SB_S6_S9_S3_SB_S9_PS1_PS5_21rocsparse_index_base_SE_SE_SE_bbb,comdat
.Lfunc_end99:
	.size	_ZN9rocsparseL26csrgemm_fill_block_per_rowILj1024ELj32ELj2048ELj137ELj32EllfEEvT5_PKS1_S3_NS_24const_host_device_scalarIT6_EEPKT4_S3_PKS5_S9_S3_SB_S6_S9_S3_SB_S9_PS1_PS5_21rocsparse_index_base_SE_SE_SE_bbb, .Lfunc_end99-_ZN9rocsparseL26csrgemm_fill_block_per_rowILj1024ELj32ELj2048ELj137ELj32EllfEEvT5_PKS1_S3_NS_24const_host_device_scalarIT6_EEPKT4_S3_PKS5_S9_S3_SB_S6_S9_S3_SB_S9_PS1_PS5_21rocsparse_index_base_SE_SE_SE_bbb
                                        ; -- End function
	.section	.AMDGPU.csdata,"",@progbits
; Kernel info:
; codeLenInByte = 4424
; NumSgprs: 56
; NumVgprs: 23
; ScratchSize: 0
; MemoryBound: 0
; FloatMode: 240
; IeeeMode: 1
; LDSByteSize: 0 bytes/workgroup (compile time only)
; SGPRBlocks: 6
; VGPRBlocks: 2
; NumSGPRsForWavesPerEU: 56
; NumVGPRsForWavesPerEU: 23
; Occupancy: 16
; WaveLimiterHint : 1
; COMPUTE_PGM_RSRC2:SCRATCH_EN: 0
; COMPUTE_PGM_RSRC2:USER_SGPR: 15
; COMPUTE_PGM_RSRC2:TRAP_HANDLER: 0
; COMPUTE_PGM_RSRC2:TGID_X_EN: 1
; COMPUTE_PGM_RSRC2:TGID_Y_EN: 0
; COMPUTE_PGM_RSRC2:TGID_Z_EN: 0
; COMPUTE_PGM_RSRC2:TIDIG_COMP_CNT: 0
	.section	.text._ZN9rocsparseL26csrgemm_fill_block_per_rowILj1024ELj32ELj2048ELj137ELj64EllfEEvT5_PKS1_S3_NS_24const_host_device_scalarIT6_EEPKT4_S3_PKS5_S9_S3_SB_S6_S9_S3_SB_S9_PS1_PS5_21rocsparse_index_base_SE_SE_SE_bbb,"axG",@progbits,_ZN9rocsparseL26csrgemm_fill_block_per_rowILj1024ELj32ELj2048ELj137ELj64EllfEEvT5_PKS1_S3_NS_24const_host_device_scalarIT6_EEPKT4_S3_PKS5_S9_S3_SB_S6_S9_S3_SB_S9_PS1_PS5_21rocsparse_index_base_SE_SE_SE_bbb,comdat
	.globl	_ZN9rocsparseL26csrgemm_fill_block_per_rowILj1024ELj32ELj2048ELj137ELj64EllfEEvT5_PKS1_S3_NS_24const_host_device_scalarIT6_EEPKT4_S3_PKS5_S9_S3_SB_S6_S9_S3_SB_S9_PS1_PS5_21rocsparse_index_base_SE_SE_SE_bbb ; -- Begin function _ZN9rocsparseL26csrgemm_fill_block_per_rowILj1024ELj32ELj2048ELj137ELj64EllfEEvT5_PKS1_S3_NS_24const_host_device_scalarIT6_EEPKT4_S3_PKS5_S9_S3_SB_S6_S9_S3_SB_S9_PS1_PS5_21rocsparse_index_base_SE_SE_SE_bbb
	.p2align	8
	.type	_ZN9rocsparseL26csrgemm_fill_block_per_rowILj1024ELj32ELj2048ELj137ELj64EllfEEvT5_PKS1_S3_NS_24const_host_device_scalarIT6_EEPKT4_S3_PKS5_S9_S3_SB_S6_S9_S3_SB_S9_PS1_PS5_21rocsparse_index_base_SE_SE_SE_bbb,@function
_ZN9rocsparseL26csrgemm_fill_block_per_rowILj1024ELj32ELj2048ELj137ELj64EllfEEvT5_PKS1_S3_NS_24const_host_device_scalarIT6_EEPKT4_S3_PKS5_S9_S3_SB_S6_S9_S3_SB_S9_PS1_PS5_21rocsparse_index_base_SE_SE_SE_bbb: ; @_ZN9rocsparseL26csrgemm_fill_block_per_rowILj1024ELj32ELj2048ELj137ELj64EllfEEvT5_PKS1_S3_NS_24const_host_device_scalarIT6_EEPKT4_S3_PKS5_S9_S3_SB_S6_S9_S3_SB_S9_PS1_PS5_21rocsparse_index_base_SE_SE_SE_bbb
; %bb.0:
	s_clause 0x3
	s_load_b32 s3, s[0:1], 0x98
	s_load_b128 s[20:23], s[0:1], 0x88
	s_load_b64 s[4:5], s[0:1], 0x18
	s_load_b64 s[34:35], s[0:1], 0x50
	s_mov_b32 s2, s15
	s_waitcnt lgkmcnt(0)
	s_bitcmp1_b32 s3, 0
	s_cselect_b32 s40, -1, 0
	s_bitcmp1_b32 s3, 16
	s_cselect_b32 s41, -1, 0
	s_xor_b32 s6, s40, -1
	s_delay_alu instid0(SALU_CYCLE_1) | instskip(NEXT) | instid1(SALU_CYCLE_1)
	s_or_b32 s6, s6, s41
	s_and_b32 vcc_lo, exec_lo, s6
	s_cbranch_vccnz .LBB100_2
; %bb.1:
	s_load_b32 s4, s[4:5], 0x0
	s_waitcnt lgkmcnt(0)
	v_mov_b32_e32 v15, s4
	s_branch .LBB100_3
.LBB100_2:
	v_cndmask_b32_e64 v15, 0, s4, s40
.LBB100_3:
	s_clause 0x4
	s_load_b128 s[24:27], s[0:1], 0x78
	s_load_b256 s[12:19], s[0:1], 0x58
	s_load_b128 s[28:31], s[0:1], 0x40
	s_load_b128 s[36:39], s[0:1], 0x8
	s_load_b256 s[4:11], s[0:1], 0x20
	s_bitcmp1_b32 s3, 8
	s_cselect_b32 s33, -1, 0
	s_delay_alu instid0(SALU_CYCLE_1) | instskip(NEXT) | instid1(SALU_CYCLE_1)
	s_xor_b32 s3, s33, -1
	s_or_b32 s3, s3, s41
	s_delay_alu instid0(SALU_CYCLE_1)
	s_and_b32 vcc_lo, exec_lo, s3
	s_cbranch_vccnz .LBB100_5
; %bb.4:
	s_load_b32 s3, s[34:35], 0x0
	s_waitcnt lgkmcnt(0)
	v_mov_b32_e32 v14, s3
	s_branch .LBB100_6
.LBB100_5:
	v_cndmask_b32_e64 v14, 0, s34, s33
.LBB100_6:
	s_load_b64 s[34:35], s[0:1], 0x0
	v_lshl_add_u32 v11, v0, 3, 0
	v_lshlrev_b32_e32 v1, 2, v0
	v_or_b32_e32 v12, 0xfffffc00, v0
	v_mov_b32_e32 v3, 0
	s_mov_b32 s0, 0
	v_mov_b32_e32 v4, v11
	v_add3_u32 v13, v1, 0, 0x4000
	s_delay_alu instid0(VALU_DEP_1)
	v_dual_mov_b32 v5, v12 :: v_dual_mov_b32 v6, v13
	s_waitcnt lgkmcnt(0)
	v_dual_mov_b32 v1, s34 :: v_dual_mov_b32 v2, s35
.LBB100_7:                              ; =>This Inner Loop Header: Depth=1
	s_delay_alu instid0(VALU_DEP_2) | instskip(NEXT) | instid1(VALU_DEP_1)
	v_add_co_u32 v5, s1, 0x400, v5
	s_xor_b32 s1, s1, -1
	ds_store_b64 v4, v[1:2]
	ds_store_b32 v6, v3
	v_add_nc_u32_e32 v6, 0x1000, v6
	v_add_nc_u32_e32 v4, 0x2000, v4
	s_and_b32 s1, exec_lo, s1
	s_delay_alu instid0(SALU_CYCLE_1) | instskip(NEXT) | instid1(SALU_CYCLE_1)
	s_or_b32 s0, s1, s0
	s_and_not1_b32 exec_lo, exec_lo, s0
	s_cbranch_execnz .LBB100_7
; %bb.8:
	s_or_b32 exec_lo, exec_lo, s0
	s_waitcnt lgkmcnt(0)
	s_barrier
	buffer_gl0_inv
	s_load_b64 s[0:1], s[36:37], 0x0
	s_mov_b32 s3, 0
	s_waitcnt lgkmcnt(0)
	s_lshl_b64 s[0:1], s[0:1], 3
	s_delay_alu instid0(SALU_CYCLE_1) | instskip(SKIP_2) | instid1(SALU_CYCLE_1)
	s_add_u32 s36, s38, s0
	s_addc_u32 s37, s39, s1
	s_lshl_b64 s[0:1], s[2:3], 3
	s_add_u32 s0, s36, s0
	s_addc_u32 s1, s37, s1
	s_and_b32 vcc_lo, exec_lo, s40
	s_load_b64 s[36:37], s[0:1], 0x0
	s_cbranch_vccz .LBB100_28
; %bb.9:
	s_waitcnt lgkmcnt(0)
	s_lshl_b64 s[0:1], s[36:37], 3
	v_lshrrev_b32_e32 v1, 5, v0
	s_add_u32 s0, s4, s0
	s_addc_u32 s1, s5, s1
	s_load_b128 s[0:3], s[0:1], 0x0
	s_delay_alu instid0(VALU_DEP_1) | instskip(NEXT) | instid1(VALU_DEP_1)
	v_sub_co_u32 v1, s4, v1, s20
	v_sub_co_ci_u32_e64 v2, null, 0, 0, s4
	s_waitcnt lgkmcnt(0)
	s_delay_alu instid0(VALU_DEP_2) | instskip(NEXT) | instid1(VALU_DEP_2)
	v_add_co_u32 v1, vcc_lo, s0, v1
	v_add_co_ci_u32_e32 v2, vcc_lo, s1, v2, vcc_lo
	s_sub_u32 s0, s2, s20
	s_subb_u32 s1, s3, 0
	s_mov_b32 s2, exec_lo
	s_delay_alu instid0(VALU_DEP_1)
	v_cmpx_gt_i64_e64 s[0:1], v[1:2]
	s_cbranch_execz .LBB100_27
; %bb.10:
	v_and_b32_e32 v3, 31, v0
	s_mov_b32 s4, s21
	s_delay_alu instid0(VALU_DEP_1) | instskip(NEXT) | instid1(VALU_DEP_1)
	v_sub_co_u32 v16, s3, v3, s21
	v_sub_co_ci_u32_e64 v17, null, 0, 0, s3
	s_mov_b32 s3, 0
	s_branch .LBB100_12
.LBB100_11:                             ;   in Loop: Header=BB100_12 Depth=1
	s_or_b32 exec_lo, exec_lo, s5
	v_add_co_u32 v1, vcc_lo, v1, 32
	v_add_co_ci_u32_e32 v2, vcc_lo, 0, v2, vcc_lo
	s_delay_alu instid0(VALU_DEP_1) | instskip(SKIP_1) | instid1(SALU_CYCLE_1)
	v_cmp_le_i64_e32 vcc_lo, s[0:1], v[1:2]
	s_or_b32 s3, vcc_lo, s3
	s_and_not1_b32 exec_lo, exec_lo, s3
	s_cbranch_execz .LBB100_27
.LBB100_12:                             ; =>This Loop Header: Depth=1
                                        ;     Child Loop BB100_15 Depth 2
                                        ;       Child Loop BB100_17 Depth 3
	v_lshlrev_b64 v[3:4], 3, v[1:2]
	s_mov_b32 s5, exec_lo
	s_delay_alu instid0(VALU_DEP_1) | instskip(NEXT) | instid1(VALU_DEP_2)
	v_add_co_u32 v3, vcc_lo, s6, v3
	v_add_co_ci_u32_e32 v4, vcc_lo, s7, v4, vcc_lo
	global_load_b64 v[3:4], v[3:4], off
	s_waitcnt vmcnt(0)
	v_sub_co_u32 v3, vcc_lo, v3, s20
	v_subrev_co_ci_u32_e32 v4, vcc_lo, 0, v4, vcc_lo
	s_delay_alu instid0(VALU_DEP_1) | instskip(NEXT) | instid1(VALU_DEP_1)
	v_lshlrev_b64 v[3:4], 3, v[3:4]
	v_add_co_u32 v3, vcc_lo, s10, v3
	s_delay_alu instid0(VALU_DEP_2)
	v_add_co_ci_u32_e32 v4, vcc_lo, s11, v4, vcc_lo
	global_load_b128 v[5:8], v[3:4], off
	s_waitcnt vmcnt(0)
	v_sub_co_u32 v3, vcc_lo, v7, s4
	v_subrev_co_ci_u32_e32 v4, vcc_lo, 0, v8, vcc_lo
	v_add_co_u32 v5, vcc_lo, v5, v16
	v_add_co_ci_u32_e32 v6, vcc_lo, v6, v17, vcc_lo
	s_delay_alu instid0(VALU_DEP_1)
	v_cmpx_lt_i64_e64 v[5:6], v[3:4]
	s_cbranch_execz .LBB100_11
; %bb.13:                               ;   in Loop: Header=BB100_12 Depth=1
	v_lshlrev_b64 v[7:8], 2, v[1:2]
	s_mov_b32 s21, 0
	s_delay_alu instid0(VALU_DEP_1) | instskip(NEXT) | instid1(VALU_DEP_2)
	v_add_co_u32 v7, vcc_lo, s8, v7
	v_add_co_ci_u32_e32 v8, vcc_lo, s9, v8, vcc_lo
	global_load_b32 v7, v[7:8], off
	s_waitcnt vmcnt(0)
	v_mul_f32_e32 v18, v15, v7
	s_branch .LBB100_15
.LBB100_14:                             ;   in Loop: Header=BB100_15 Depth=2
	s_or_b32 exec_lo, exec_lo, s38
	v_add_co_u32 v5, vcc_lo, v5, 32
	v_add_co_ci_u32_e32 v6, vcc_lo, 0, v6, vcc_lo
	s_delay_alu instid0(VALU_DEP_1) | instskip(SKIP_1) | instid1(SALU_CYCLE_1)
	v_cmp_ge_i64_e32 vcc_lo, v[5:6], v[3:4]
	s_or_b32 s21, vcc_lo, s21
	s_and_not1_b32 exec_lo, exec_lo, s21
	s_cbranch_execz .LBB100_11
.LBB100_15:                             ;   Parent Loop BB100_12 Depth=1
                                        ; =>  This Loop Header: Depth=2
                                        ;       Child Loop BB100_17 Depth 3
	v_lshlrev_b64 v[7:8], 3, v[5:6]
	v_lshlrev_b64 v[9:10], 2, v[5:6]
	s_mov_b32 s38, 0
	s_delay_alu instid0(VALU_DEP_2) | instskip(NEXT) | instid1(VALU_DEP_3)
	v_add_co_u32 v7, vcc_lo, s28, v7
	v_add_co_ci_u32_e32 v8, vcc_lo, s29, v8, vcc_lo
	s_delay_alu instid0(VALU_DEP_3) | instskip(NEXT) | instid1(VALU_DEP_4)
	v_add_co_u32 v9, vcc_lo, s30, v9
	v_add_co_ci_u32_e32 v10, vcc_lo, s31, v10, vcc_lo
	global_load_b64 v[7:8], v[7:8], off
	global_load_b32 v9, v[9:10], off
	s_waitcnt vmcnt(1)
	v_sub_co_u32 v7, vcc_lo, v7, s4
	v_subrev_co_ci_u32_e32 v8, vcc_lo, 0, v8, vcc_lo
	s_delay_alu instid0(VALU_DEP_2) | instskip(SKIP_1) | instid1(VALU_DEP_1)
	v_mul_lo_u32 v10, 0x89, v7
	s_waitcnt vmcnt(0)
	v_dual_mul_f32 v19, v18, v9 :: v_dual_and_b32 v20, 0x7ff, v10
	s_branch .LBB100_17
.LBB100_16:                             ;   in Loop: Header=BB100_17 Depth=3
	s_or_b32 exec_lo, exec_lo, s39
	s_xor_b32 s39, s40, -1
	s_delay_alu instid0(SALU_CYCLE_1) | instskip(NEXT) | instid1(SALU_CYCLE_1)
	s_and_b32 s39, exec_lo, s39
	s_or_b32 s38, s39, s38
	s_delay_alu instid0(SALU_CYCLE_1)
	s_and_not1_b32 exec_lo, exec_lo, s38
	s_cbranch_execz .LBB100_14
.LBB100_17:                             ;   Parent Loop BB100_12 Depth=1
                                        ;     Parent Loop BB100_15 Depth=2
                                        ; =>    This Inner Loop Header: Depth=3
	s_delay_alu instid0(VALU_DEP_1)
	v_lshl_add_u32 v21, v20, 3, 0
	s_mov_b32 s39, exec_lo
                                        ; implicit-def: $sgpr40
	ds_load_b64 v[9:10], v21
	s_waitcnt lgkmcnt(0)
	v_cmpx_ne_u64_e64 v[9:10], v[7:8]
	s_xor_b32 s39, exec_lo, s39
	s_cbranch_execz .LBB100_25
; %bb.18:                               ;   in Loop: Header=BB100_17 Depth=3
	s_mov_b32 s41, exec_lo
                                        ; implicit-def: $sgpr40
	v_cmpx_ne_u64_e64 s[34:35], v[9:10]
	s_xor_b32 s41, exec_lo, s41
; %bb.19:                               ;   in Loop: Header=BB100_17 Depth=3
	v_add_nc_u32_e32 v9, 1, v20
	s_mov_b32 s40, -1
                                        ; implicit-def: $vgpr21
	s_delay_alu instid0(VALU_DEP_1)
	v_and_b32_e32 v20, 0x7ff, v9
; %bb.20:                               ;   in Loop: Header=BB100_17 Depth=3
	s_and_not1_saveexec_b32 s41, s41
	s_cbranch_execz .LBB100_24
; %bb.21:                               ;   in Loop: Header=BB100_17 Depth=3
	v_dual_mov_b32 v9, s34 :: v_dual_mov_b32 v10, s35
	s_mov_b32 s42, -1
	s_mov_b32 s43, exec_lo
	ds_cmpstore_rtn_b64 v[9:10], v21, v[7:8], v[9:10]
	s_waitcnt lgkmcnt(0)
	v_cmpx_eq_u64_e64 s[34:35], v[9:10]
	s_cbranch_execz .LBB100_23
; %bb.22:                               ;   in Loop: Header=BB100_17 Depth=3
	v_lshlrev_b32_e32 v9, 2, v20
	s_xor_b32 s42, exec_lo, -1
	s_delay_alu instid0(VALU_DEP_1)
	v_sub_nc_u32_e32 v9, v21, v9
	ds_add_f32 v9, v19 offset:16384
.LBB100_23:                             ;   in Loop: Header=BB100_17 Depth=3
	s_or_b32 exec_lo, exec_lo, s43
	s_delay_alu instid0(SALU_CYCLE_1) | instskip(SKIP_1) | instid1(SALU_CYCLE_1)
	s_and_not1_b32 s40, s40, exec_lo
	s_and_b32 s42, s42, exec_lo
	s_or_b32 s40, s40, s42
.LBB100_24:                             ;   in Loop: Header=BB100_17 Depth=3
	s_or_b32 exec_lo, exec_lo, s41
	s_delay_alu instid0(SALU_CYCLE_1)
	s_and_b32 s40, s40, exec_lo
                                        ; implicit-def: $vgpr21
.LBB100_25:                             ;   in Loop: Header=BB100_17 Depth=3
	s_and_not1_saveexec_b32 s39, s39
	s_cbranch_execz .LBB100_16
; %bb.26:                               ;   in Loop: Header=BB100_17 Depth=3
	v_lshlrev_b32_e32 v9, 2, v20
	s_and_not1_b32 s40, s40, exec_lo
	s_delay_alu instid0(VALU_DEP_1)
	v_sub_nc_u32_e32 v9, v21, v9
	ds_add_f32 v9, v19 offset:16384
	s_branch .LBB100_16
.LBB100_27:
	s_or_b32 exec_lo, exec_lo, s2
.LBB100_28:
	s_delay_alu instid0(SALU_CYCLE_1)
	s_and_not1_b32 vcc_lo, exec_lo, s33
	s_cbranch_vccnz .LBB100_45
; %bb.29:
	s_waitcnt lgkmcnt(0)
	s_lshl_b64 s[0:1], s[36:37], 3
	v_sub_co_u32 v1, s4, v0, s23
	s_add_u32 s0, s12, s0
	s_addc_u32 s1, s13, s1
	v_sub_co_ci_u32_e64 v2, null, 0, 0, s4
	s_load_b128 s[0:3], s[0:1], 0x0
	s_waitcnt lgkmcnt(0)
	v_add_co_u32 v1, vcc_lo, s0, v1
	s_delay_alu instid0(VALU_DEP_2)
	v_add_co_ci_u32_e32 v2, vcc_lo, s1, v2, vcc_lo
	s_sub_u32 s0, s2, s23
	s_subb_u32 s1, s3, 0
	s_mov_b32 s2, 0
	s_mov_b32 s3, exec_lo
	v_cmpx_gt_i64_e64 s[0:1], v[1:2]
	s_cbranch_execz .LBB100_44
; %bb.30:
	s_mov_b32 s4, s23
	s_branch .LBB100_32
.LBB100_31:                             ;   in Loop: Header=BB100_32 Depth=1
	s_or_b32 exec_lo, exec_lo, s5
	v_add_co_u32 v1, vcc_lo, 0x400, v1
	v_add_co_ci_u32_e32 v2, vcc_lo, 0, v2, vcc_lo
	s_delay_alu instid0(VALU_DEP_1) | instskip(SKIP_1) | instid1(SALU_CYCLE_1)
	v_cmp_le_i64_e32 vcc_lo, s[0:1], v[1:2]
	s_or_b32 s2, vcc_lo, s2
	s_and_not1_b32 exec_lo, exec_lo, s2
	s_cbranch_execz .LBB100_44
.LBB100_32:                             ; =>This Loop Header: Depth=1
                                        ;     Child Loop BB100_34 Depth 2
	v_lshlrev_b64 v[3:4], 3, v[1:2]
	v_lshlrev_b64 v[5:6], 2, v[1:2]
	s_mov_b32 s5, 0
	s_delay_alu instid0(VALU_DEP_2) | instskip(NEXT) | instid1(VALU_DEP_3)
	v_add_co_u32 v3, vcc_lo, s14, v3
	v_add_co_ci_u32_e32 v4, vcc_lo, s15, v4, vcc_lo
	s_delay_alu instid0(VALU_DEP_3) | instskip(NEXT) | instid1(VALU_DEP_4)
	v_add_co_u32 v5, vcc_lo, s16, v5
	v_add_co_ci_u32_e32 v6, vcc_lo, s17, v6, vcc_lo
	global_load_b64 v[3:4], v[3:4], off
	global_load_b32 v5, v[5:6], off
	s_waitcnt vmcnt(1)
	v_sub_co_u32 v3, vcc_lo, v3, s4
	v_subrev_co_ci_u32_e32 v4, vcc_lo, 0, v4, vcc_lo
	s_delay_alu instid0(VALU_DEP_2) | instskip(SKIP_1) | instid1(VALU_DEP_1)
	v_mul_lo_u32 v6, 0x89, v3
	s_waitcnt vmcnt(0)
	v_dual_mul_f32 v7, v14, v5 :: v_dual_and_b32 v8, 0x7ff, v6
	s_branch .LBB100_34
.LBB100_33:                             ;   in Loop: Header=BB100_34 Depth=2
	s_or_b32 exec_lo, exec_lo, s6
	s_xor_b32 s6, s7, -1
	s_delay_alu instid0(SALU_CYCLE_1) | instskip(NEXT) | instid1(SALU_CYCLE_1)
	s_and_b32 s6, exec_lo, s6
	s_or_b32 s5, s6, s5
	s_delay_alu instid0(SALU_CYCLE_1)
	s_and_not1_b32 exec_lo, exec_lo, s5
	s_cbranch_execz .LBB100_31
.LBB100_34:                             ;   Parent Loop BB100_32 Depth=1
                                        ; =>  This Inner Loop Header: Depth=2
	s_delay_alu instid0(VALU_DEP_1)
	v_lshl_add_u32 v9, v8, 3, 0
	s_mov_b32 s6, exec_lo
                                        ; implicit-def: $sgpr7
	ds_load_b64 v[5:6], v9
	s_waitcnt lgkmcnt(0)
	v_cmpx_ne_u64_e64 v[5:6], v[3:4]
	s_xor_b32 s6, exec_lo, s6
	s_cbranch_execz .LBB100_42
; %bb.35:                               ;   in Loop: Header=BB100_34 Depth=2
	s_mov_b32 s8, exec_lo
                                        ; implicit-def: $sgpr7
	v_cmpx_ne_u64_e64 s[34:35], v[5:6]
	s_xor_b32 s8, exec_lo, s8
; %bb.36:                               ;   in Loop: Header=BB100_34 Depth=2
	v_add_nc_u32_e32 v5, 1, v8
	s_mov_b32 s7, -1
                                        ; implicit-def: $vgpr9
	s_delay_alu instid0(VALU_DEP_1)
	v_and_b32_e32 v8, 0x7ff, v5
; %bb.37:                               ;   in Loop: Header=BB100_34 Depth=2
	s_and_not1_saveexec_b32 s8, s8
	s_cbranch_execz .LBB100_41
; %bb.38:                               ;   in Loop: Header=BB100_34 Depth=2
	v_dual_mov_b32 v5, s34 :: v_dual_mov_b32 v6, s35
	s_mov_b32 s9, -1
	s_mov_b32 s10, exec_lo
	ds_cmpstore_rtn_b64 v[5:6], v9, v[3:4], v[5:6]
	s_waitcnt lgkmcnt(0)
	v_cmpx_eq_u64_e64 s[34:35], v[5:6]
	s_cbranch_execz .LBB100_40
; %bb.39:                               ;   in Loop: Header=BB100_34 Depth=2
	v_lshlrev_b32_e32 v5, 2, v8
	s_xor_b32 s9, exec_lo, -1
	s_delay_alu instid0(VALU_DEP_1)
	v_sub_nc_u32_e32 v5, v9, v5
	ds_add_f32 v5, v7 offset:16384
.LBB100_40:                             ;   in Loop: Header=BB100_34 Depth=2
	s_or_b32 exec_lo, exec_lo, s10
	s_delay_alu instid0(SALU_CYCLE_1) | instskip(SKIP_1) | instid1(SALU_CYCLE_1)
	s_and_not1_b32 s7, s7, exec_lo
	s_and_b32 s9, s9, exec_lo
	s_or_b32 s7, s7, s9
.LBB100_41:                             ;   in Loop: Header=BB100_34 Depth=2
	s_or_b32 exec_lo, exec_lo, s8
	s_delay_alu instid0(SALU_CYCLE_1)
	s_and_b32 s7, s7, exec_lo
                                        ; implicit-def: $vgpr9
.LBB100_42:                             ;   in Loop: Header=BB100_34 Depth=2
	s_and_not1_saveexec_b32 s6, s6
	s_cbranch_execz .LBB100_33
; %bb.43:                               ;   in Loop: Header=BB100_34 Depth=2
	v_lshlrev_b32_e32 v5, 2, v8
	s_and_not1_b32 s7, s7, exec_lo
	s_delay_alu instid0(VALU_DEP_1)
	v_sub_nc_u32_e32 v5, v9, v5
	ds_add_f32 v5, v7 offset:16384
	s_branch .LBB100_33
.LBB100_44:
	s_or_b32 exec_lo, exec_lo, s3
.LBB100_45:
	v_mbcnt_lo_u32_b32 v1, -1, 0
	v_lshrrev_b32_e32 v2, 3, v0
	v_cmp_eq_u32_e32 vcc_lo, 0x3ff, v0
	v_cmp_lt_u32_e64 s0, 63, v0
	v_cmp_lt_u32_e64 s1, 0x7f, v0
	v_xor_b32_e32 v1, 63, v1
	v_and_b32_e32 v3, 0x78, v2
	v_cmp_lt_u32_e64 s2, 0xbf, v0
	v_cmp_lt_u32_e64 s3, 0xff, v0
	;; [unrolled: 1-line block ×3, first 2 shown]
	v_lshrrev_b64 v[1:2], v1, -1
	v_add_nc_u32_e32 v10, 0, v3
	v_dual_mov_b32 v2, 0 :: v_dual_mov_b32 v5, 0
	v_cmp_lt_u32_e64 s5, 0x17f, v0
	v_cmp_lt_u32_e64 s6, 0x1bf, v0
	;; [unrolled: 1-line block ×10, first 2 shown]
	v_mov_b32_e32 v3, 0
	s_mov_b32 s16, 0
	s_waitcnt lgkmcnt(0)
	s_barrier
	buffer_gl0_inv
	s_branch .LBB100_47
.LBB100_46:                             ;   in Loop: Header=BB100_47 Depth=1
	s_or_b32 exec_lo, exec_lo, s15
	s_waitcnt lgkmcnt(0)
	s_barrier
	buffer_gl0_inv
	ds_load_b64 v[6:7], v5 offset:24696
	v_add_co_u32 v12, s15, 0x400, v12
	s_delay_alu instid0(VALU_DEP_1) | instskip(SKIP_4) | instid1(VALU_DEP_1)
	s_xor_b32 s17, s15, -1
	v_add_nc_u32_e32 v13, 0x1000, v13
	v_add_nc_u32_e32 v11, 0x2000, v11
	s_waitcnt lgkmcnt(0)
	v_add_co_u32 v2, s15, v6, v2
	v_add_co_ci_u32_e64 v3, s15, v7, v3, s15
	s_and_b32 s15, exec_lo, s17
	s_delay_alu instid0(SALU_CYCLE_1) | instskip(NEXT) | instid1(SALU_CYCLE_1)
	s_or_b32 s16, s15, s16
	s_and_not1_b32 exec_lo, exec_lo, s16
	s_cbranch_execz .LBB100_81
.LBB100_47:                             ; =>This Inner Loop Header: Depth=1
	ds_load_b64 v[6:7], v11
	ds_load_b32 v14, v13
	s_waitcnt lgkmcnt(0)
	s_barrier
	buffer_gl0_inv
	v_cmp_gt_i64_e64 s15, s[34:35], v[6:7]
	s_delay_alu instid0(VALU_DEP_1) | instskip(SKIP_1) | instid1(SALU_CYCLE_1)
	v_and_b32_e32 v8, s15, v1
	s_bcnt1_i32_b32 s17, s15
	v_mov_b32_e32 v4, s17
	s_delay_alu instid0(VALU_DEP_2)
	v_bcnt_u32_b32 v8, v8, 0
	ds_store_b64 v10, v[4:5] offset:24576
	s_waitcnt lgkmcnt(0)
	s_barrier
	buffer_gl0_inv
	s_and_saveexec_b32 s17, s0
	s_cbranch_execnz .LBB100_64
; %bb.48:                               ;   in Loop: Header=BB100_47 Depth=1
	s_or_b32 exec_lo, exec_lo, s17
	s_and_saveexec_b32 s17, s1
	s_cbranch_execnz .LBB100_65
.LBB100_49:                             ;   in Loop: Header=BB100_47 Depth=1
	s_or_b32 exec_lo, exec_lo, s17
	s_and_saveexec_b32 s17, s2
	s_cbranch_execnz .LBB100_66
.LBB100_50:                             ;   in Loop: Header=BB100_47 Depth=1
	s_or_b32 exec_lo, exec_lo, s17
	s_and_saveexec_b32 s17, s3
	s_cbranch_execnz .LBB100_67
.LBB100_51:                             ;   in Loop: Header=BB100_47 Depth=1
	s_or_b32 exec_lo, exec_lo, s17
	s_and_saveexec_b32 s17, s4
	s_cbranch_execnz .LBB100_68
.LBB100_52:                             ;   in Loop: Header=BB100_47 Depth=1
	s_or_b32 exec_lo, exec_lo, s17
	s_and_saveexec_b32 s17, s5
	s_cbranch_execnz .LBB100_69
.LBB100_53:                             ;   in Loop: Header=BB100_47 Depth=1
	s_or_b32 exec_lo, exec_lo, s17
	s_and_saveexec_b32 s17, s6
	s_cbranch_execnz .LBB100_70
.LBB100_54:                             ;   in Loop: Header=BB100_47 Depth=1
	s_or_b32 exec_lo, exec_lo, s17
	s_and_saveexec_b32 s17, s7
	s_cbranch_execnz .LBB100_71
.LBB100_55:                             ;   in Loop: Header=BB100_47 Depth=1
	s_or_b32 exec_lo, exec_lo, s17
	s_and_saveexec_b32 s17, s8
	s_cbranch_execnz .LBB100_72
.LBB100_56:                             ;   in Loop: Header=BB100_47 Depth=1
	s_or_b32 exec_lo, exec_lo, s17
	s_and_saveexec_b32 s17, s9
	s_cbranch_execnz .LBB100_73
.LBB100_57:                             ;   in Loop: Header=BB100_47 Depth=1
	s_or_b32 exec_lo, exec_lo, s17
	s_and_saveexec_b32 s17, s10
	s_cbranch_execnz .LBB100_74
.LBB100_58:                             ;   in Loop: Header=BB100_47 Depth=1
	s_or_b32 exec_lo, exec_lo, s17
	s_and_saveexec_b32 s17, s11
	s_cbranch_execnz .LBB100_75
.LBB100_59:                             ;   in Loop: Header=BB100_47 Depth=1
	s_or_b32 exec_lo, exec_lo, s17
	s_and_saveexec_b32 s17, s12
	s_cbranch_execnz .LBB100_76
.LBB100_60:                             ;   in Loop: Header=BB100_47 Depth=1
	s_or_b32 exec_lo, exec_lo, s17
	s_and_saveexec_b32 s17, s13
	s_cbranch_execnz .LBB100_77
.LBB100_61:                             ;   in Loop: Header=BB100_47 Depth=1
	s_or_b32 exec_lo, exec_lo, s17
	s_and_saveexec_b32 s17, s14
	s_cbranch_execnz .LBB100_78
.LBB100_62:                             ;   in Loop: Header=BB100_47 Depth=1
	s_or_b32 exec_lo, exec_lo, s17
	v_ashrrev_i32_e32 v9, 31, v8
	s_and_saveexec_b32 s17, s15
	s_cbranch_execnz .LBB100_79
.LBB100_63:                             ;   in Loop: Header=BB100_47 Depth=1
	s_or_b32 exec_lo, exec_lo, s17
	s_and_saveexec_b32 s15, vcc_lo
	s_cbranch_execz .LBB100_46
	s_branch .LBB100_80
.LBB100_64:                             ;   in Loop: Header=BB100_47 Depth=1
	ds_load_b32 v4, v5 offset:24576
	s_waitcnt lgkmcnt(0)
	v_add_nc_u32_e32 v8, v4, v8
	s_or_b32 exec_lo, exec_lo, s17
	s_and_saveexec_b32 s17, s1
	s_cbranch_execz .LBB100_49
.LBB100_65:                             ;   in Loop: Header=BB100_47 Depth=1
	ds_load_b32 v4, v5 offset:24584
	s_waitcnt lgkmcnt(0)
	v_add_nc_u32_e32 v8, v8, v4
	s_or_b32 exec_lo, exec_lo, s17
	s_and_saveexec_b32 s17, s2
	s_cbranch_execz .LBB100_50
.LBB100_66:                             ;   in Loop: Header=BB100_47 Depth=1
	ds_load_b32 v4, v5 offset:24592
	s_waitcnt lgkmcnt(0)
	v_add_nc_u32_e32 v8, v8, v4
	s_or_b32 exec_lo, exec_lo, s17
	s_and_saveexec_b32 s17, s3
	s_cbranch_execz .LBB100_51
.LBB100_67:                             ;   in Loop: Header=BB100_47 Depth=1
	ds_load_b32 v4, v5 offset:24600
	s_waitcnt lgkmcnt(0)
	v_add_nc_u32_e32 v8, v8, v4
	s_or_b32 exec_lo, exec_lo, s17
	s_and_saveexec_b32 s17, s4
	s_cbranch_execz .LBB100_52
.LBB100_68:                             ;   in Loop: Header=BB100_47 Depth=1
	ds_load_b32 v4, v5 offset:24608
	s_waitcnt lgkmcnt(0)
	v_add_nc_u32_e32 v8, v8, v4
	s_or_b32 exec_lo, exec_lo, s17
	s_and_saveexec_b32 s17, s5
	s_cbranch_execz .LBB100_53
.LBB100_69:                             ;   in Loop: Header=BB100_47 Depth=1
	ds_load_b32 v4, v5 offset:24616
	s_waitcnt lgkmcnt(0)
	v_add_nc_u32_e32 v8, v8, v4
	s_or_b32 exec_lo, exec_lo, s17
	s_and_saveexec_b32 s17, s6
	s_cbranch_execz .LBB100_54
.LBB100_70:                             ;   in Loop: Header=BB100_47 Depth=1
	ds_load_b32 v4, v5 offset:24624
	s_waitcnt lgkmcnt(0)
	v_add_nc_u32_e32 v8, v8, v4
	s_or_b32 exec_lo, exec_lo, s17
	s_and_saveexec_b32 s17, s7
	s_cbranch_execz .LBB100_55
.LBB100_71:                             ;   in Loop: Header=BB100_47 Depth=1
	ds_load_b32 v4, v5 offset:24632
	s_waitcnt lgkmcnt(0)
	v_add_nc_u32_e32 v8, v8, v4
	s_or_b32 exec_lo, exec_lo, s17
	s_and_saveexec_b32 s17, s8
	s_cbranch_execz .LBB100_56
.LBB100_72:                             ;   in Loop: Header=BB100_47 Depth=1
	ds_load_b32 v4, v5 offset:24640
	s_waitcnt lgkmcnt(0)
	v_add_nc_u32_e32 v8, v8, v4
	s_or_b32 exec_lo, exec_lo, s17
	s_and_saveexec_b32 s17, s9
	s_cbranch_execz .LBB100_57
.LBB100_73:                             ;   in Loop: Header=BB100_47 Depth=1
	ds_load_b32 v4, v5 offset:24648
	s_waitcnt lgkmcnt(0)
	v_add_nc_u32_e32 v8, v8, v4
	s_or_b32 exec_lo, exec_lo, s17
	s_and_saveexec_b32 s17, s10
	s_cbranch_execz .LBB100_58
.LBB100_74:                             ;   in Loop: Header=BB100_47 Depth=1
	ds_load_b32 v4, v5 offset:24656
	s_waitcnt lgkmcnt(0)
	v_add_nc_u32_e32 v8, v8, v4
	s_or_b32 exec_lo, exec_lo, s17
	s_and_saveexec_b32 s17, s11
	s_cbranch_execz .LBB100_59
.LBB100_75:                             ;   in Loop: Header=BB100_47 Depth=1
	ds_load_b32 v4, v5 offset:24664
	s_waitcnt lgkmcnt(0)
	v_add_nc_u32_e32 v8, v8, v4
	s_or_b32 exec_lo, exec_lo, s17
	s_and_saveexec_b32 s17, s12
	s_cbranch_execz .LBB100_60
.LBB100_76:                             ;   in Loop: Header=BB100_47 Depth=1
	ds_load_b32 v4, v5 offset:24672
	s_waitcnt lgkmcnt(0)
	v_add_nc_u32_e32 v8, v8, v4
	s_or_b32 exec_lo, exec_lo, s17
	s_and_saveexec_b32 s17, s13
	s_cbranch_execz .LBB100_61
.LBB100_77:                             ;   in Loop: Header=BB100_47 Depth=1
	ds_load_b32 v4, v5 offset:24680
	s_waitcnt lgkmcnt(0)
	v_add_nc_u32_e32 v8, v8, v4
	s_or_b32 exec_lo, exec_lo, s17
	s_and_saveexec_b32 s17, s14
	s_cbranch_execz .LBB100_62
.LBB100_78:                             ;   in Loop: Header=BB100_47 Depth=1
	ds_load_b32 v4, v5 offset:24688
	s_waitcnt lgkmcnt(0)
	v_add_nc_u32_e32 v8, v8, v4
	s_or_b32 exec_lo, exec_lo, s17
	s_delay_alu instid0(VALU_DEP_1)
	v_ashrrev_i32_e32 v9, 31, v8
	s_and_saveexec_b32 s17, s15
	s_cbranch_execz .LBB100_63
.LBB100_79:                             ;   in Loop: Header=BB100_47 Depth=1
	v_add3_u32 v4, v2, -1, v8
	s_delay_alu instid0(VALU_DEP_1)
	v_lshl_add_u32 v15, v4, 3, 0
	v_lshl_add_u32 v4, v4, 2, 0
	ds_store_b64 v15, v[6:7]
	ds_store_b32 v4, v14 offset:16384
	s_or_b32 exec_lo, exec_lo, s17
	s_and_saveexec_b32 s15, vcc_lo
	s_cbranch_execz .LBB100_46
.LBB100_80:                             ;   in Loop: Header=BB100_47 Depth=1
	ds_store_b64 v5, v[8:9] offset:24696
	s_branch .LBB100_46
.LBB100_81:
	s_or_b32 exec_lo, exec_lo, s16
	s_lshl_b64 s[0:1], s[36:37], 3
	v_mov_b32_e32 v1, 0
	s_add_u32 s0, s18, s0
	s_addc_u32 s1, s19, s1
	s_mov_b32 s6, exec_lo
	s_load_b128 s[0:3], s[0:1], 0x0
	s_waitcnt lgkmcnt(0)
	s_sub_u32 s4, s2, s0
	s_subb_u32 s5, s3, s1
	s_delay_alu instid0(SALU_CYCLE_1)
	v_cmpx_gt_i64_e64 s[4:5], v[0:1]
	s_cbranch_execz .LBB100_91
; %bb.82:
	s_sub_u32 s8, s0, s22
	s_subb_u32 s9, s1, 0
	s_and_b32 s6, s4, 7
	s_sub_u32 s0, s0, s2
	s_subb_u32 s1, s1, s3
	s_mov_b32 s7, 0
	v_cmp_lt_u64_e64 s12, s[0:1], -7
	s_and_b32 s2, s4, -8
	s_cmp_lg_u64 s[6:7], 0
	s_mov_b32 s3, s5
	s_cselect_b32 s13, -1, 0
	s_mov_b32 s14, s7
	s_branch .LBB100_84
.LBB100_83:                             ;   in Loop: Header=BB100_84 Depth=1
	s_waitcnt lgkmcnt(1)
	v_add_co_u32 v2, vcc_lo, v2, s22
	v_lshlrev_b64 v[7:8], 3, v[4:5]
	v_add_co_ci_u32_e32 v3, vcc_lo, 0, v3, vcc_lo
	v_add_co_u32 v0, vcc_lo, 0x400, v0
	v_add_co_ci_u32_e32 v1, vcc_lo, 0, v1, vcc_lo
	v_lshlrev_b64 v[4:5], 2, v[4:5]
	v_add_co_u32 v7, vcc_lo, s24, v7
	v_add_co_ci_u32_e32 v8, vcc_lo, s25, v8, vcc_lo
	s_delay_alu instid0(VALU_DEP_4) | instskip(NEXT) | instid1(VALU_DEP_4)
	v_cmp_le_i64_e32 vcc_lo, s[4:5], v[0:1]
	v_add_co_u32 v4, s0, s26, v4
	s_delay_alu instid0(VALU_DEP_1) | instskip(SKIP_4) | instid1(SALU_CYCLE_1)
	v_add_co_ci_u32_e64 v5, s0, s27, v5, s0
	global_store_b64 v[7:8], v[2:3], off
	s_waitcnt lgkmcnt(0)
	global_store_b32 v[4:5], v6, off
	s_or_b32 s14, vcc_lo, s14
	s_and_not1_b32 exec_lo, exec_lo, s14
	s_cbranch_execz .LBB100_91
.LBB100_84:                             ; =>This Loop Header: Depth=1
                                        ;     Child Loop BB100_86 Depth 2
                                        ;     Child Loop BB100_90 Depth 2
	v_lshl_add_u32 v2, v0, 3, 0
	v_lshlrev_b32_e32 v3, 2, v0
	s_and_not1_b32 vcc_lo, exec_lo, s12
	s_mov_b64 s[0:1], 0
	s_delay_alu instid0(VALU_DEP_1)
	v_sub_nc_u32_e32 v4, v2, v3
	ds_load_b64 v[2:3], v2
	ds_load_b32 v6, v4 offset:16384
	v_dual_mov_b32 v4, s8 :: v_dual_mov_b32 v5, s9
	s_cbranch_vccnz .LBB100_88
; %bb.85:                               ;   in Loop: Header=BB100_84 Depth=1
	v_dual_mov_b32 v4, s8 :: v_dual_mov_b32 v5, s9
	s_mov_b64 s[10:11], 0
	s_mov_b32 s1, 0
.LBB100_86:                             ;   Parent Loop BB100_84 Depth=1
                                        ; =>  This Inner Loop Header: Depth=2
	s_delay_alu instid0(SALU_CYCLE_1)
	v_mov_b32_e32 v19, s1
	s_add_u32 s10, s10, 8
	s_addc_u32 s11, s11, 0
	s_add_i32 s1, s1, 64
	s_cmp_eq_u64 s[2:3], s[10:11]
	ds_load_2addr_b64 v[7:10], v19 offset1:1
	ds_load_2addr_b64 v[11:14], v19 offset0:2 offset1:3
	ds_load_2addr_b64 v[15:18], v19 offset0:4 offset1:5
	;; [unrolled: 1-line block ×3, first 2 shown]
	s_waitcnt lgkmcnt(3)
	v_cmp_gt_i64_e32 vcc_lo, v[2:3], v[7:8]
	v_cndmask_b32_e64 v7, 0, 1, vcc_lo
	v_cmp_gt_i64_e32 vcc_lo, v[2:3], v[9:10]
	v_cndmask_b32_e64 v8, 0, 1, vcc_lo
	s_waitcnt lgkmcnt(2)
	v_cmp_gt_i64_e32 vcc_lo, v[2:3], v[11:12]
	v_cndmask_b32_e64 v9, 0, 1, vcc_lo
	v_cmp_gt_i64_e32 vcc_lo, v[2:3], v[13:14]
	v_cndmask_b32_e64 v10, 0, 1, vcc_lo
	s_waitcnt lgkmcnt(1)
	v_cmp_gt_i64_e32 vcc_lo, v[2:3], v[15:16]
	v_cndmask_b32_e64 v11, 0, 1, vcc_lo
	v_add_co_u32 v4, vcc_lo, v4, v7
	v_add_co_ci_u32_e32 v5, vcc_lo, 0, v5, vcc_lo
	v_cmp_gt_i64_e32 vcc_lo, v[2:3], v[17:18]
	s_delay_alu instid0(VALU_DEP_3) | instskip(NEXT) | instid1(VALU_DEP_1)
	v_add_co_u32 v4, s0, v4, v8
	v_add_co_ci_u32_e64 v5, s0, 0, v5, s0
	v_cndmask_b32_e64 v7, 0, 1, vcc_lo
	s_delay_alu instid0(VALU_DEP_3) | instskip(NEXT) | instid1(VALU_DEP_3)
	v_add_co_u32 v4, vcc_lo, v4, v9
	v_add_co_ci_u32_e32 v5, vcc_lo, 0, v5, vcc_lo
	s_waitcnt lgkmcnt(0)
	v_cmp_gt_i64_e32 vcc_lo, v[2:3], v[19:20]
	s_delay_alu instid0(VALU_DEP_3) | instskip(NEXT) | instid1(VALU_DEP_1)
	v_add_co_u32 v4, s0, v4, v10
	v_add_co_ci_u32_e64 v5, s0, 0, v5, s0
	v_cndmask_b32_e64 v8, 0, 1, vcc_lo
	s_delay_alu instid0(VALU_DEP_3) | instskip(NEXT) | instid1(VALU_DEP_3)
	v_add_co_u32 v4, vcc_lo, v4, v11
	v_add_co_ci_u32_e32 v5, vcc_lo, 0, v5, vcc_lo
	v_cmp_gt_i64_e32 vcc_lo, v[2:3], v[21:22]
	s_delay_alu instid0(VALU_DEP_3) | instskip(NEXT) | instid1(VALU_DEP_1)
	v_add_co_u32 v4, s0, v4, v7
	v_add_co_ci_u32_e64 v5, s0, 0, v5, s0
	v_cndmask_b32_e64 v7, 0, 1, vcc_lo
	s_delay_alu instid0(VALU_DEP_3) | instskip(NEXT) | instid1(VALU_DEP_3)
	v_add_co_u32 v4, vcc_lo, v4, v8
	v_add_co_ci_u32_e32 v5, vcc_lo, 0, v5, vcc_lo
	s_delay_alu instid0(VALU_DEP_2) | instskip(NEXT) | instid1(VALU_DEP_2)
	v_add_co_u32 v4, vcc_lo, v4, v7
	v_add_co_ci_u32_e32 v5, vcc_lo, 0, v5, vcc_lo
	s_cbranch_scc0 .LBB100_86
; %bb.87:                               ;   in Loop: Header=BB100_84 Depth=1
	s_mov_b64 s[0:1], s[2:3]
.LBB100_88:                             ;   in Loop: Header=BB100_84 Depth=1
	s_and_not1_b32 vcc_lo, exec_lo, s13
	s_cbranch_vccnz .LBB100_83
; %bb.89:                               ;   in Loop: Header=BB100_84 Depth=1
	s_lshl_b32 s0, s0, 3
	s_delay_alu instid0(SALU_CYCLE_1)
	s_add_i32 s10, s0, 0
	s_mov_b64 s[0:1], s[6:7]
.LBB100_90:                             ;   Parent Loop BB100_84 Depth=1
                                        ; =>  This Inner Loop Header: Depth=2
	v_mov_b32_e32 v7, s10
	s_add_i32 s10, s10, 8
	s_add_u32 s0, s0, -1
	s_addc_u32 s1, s1, -1
	s_delay_alu instid0(SALU_CYCLE_1) | instskip(SKIP_4) | instid1(VALU_DEP_1)
	s_cmp_lg_u64 s[0:1], 0
	ds_load_b64 v[7:8], v7
	s_waitcnt lgkmcnt(0)
	v_cmp_gt_i64_e32 vcc_lo, v[2:3], v[7:8]
	v_cndmask_b32_e64 v7, 0, 1, vcc_lo
	v_add_co_u32 v4, vcc_lo, v4, v7
	v_add_co_ci_u32_e32 v5, vcc_lo, 0, v5, vcc_lo
	s_cbranch_scc1 .LBB100_90
	s_branch .LBB100_83
.LBB100_91:
	s_nop 0
	s_sendmsg sendmsg(MSG_DEALLOC_VGPRS)
	s_endpgm
	.section	.rodata,"a",@progbits
	.p2align	6, 0x0
	.amdhsa_kernel _ZN9rocsparseL26csrgemm_fill_block_per_rowILj1024ELj32ELj2048ELj137ELj64EllfEEvT5_PKS1_S3_NS_24const_host_device_scalarIT6_EEPKT4_S3_PKS5_S9_S3_SB_S6_S9_S3_SB_S9_PS1_PS5_21rocsparse_index_base_SE_SE_SE_bbb
		.amdhsa_group_segment_fixed_size 0
		.amdhsa_private_segment_fixed_size 0
		.amdhsa_kernarg_size 156
		.amdhsa_user_sgpr_count 15
		.amdhsa_user_sgpr_dispatch_ptr 0
		.amdhsa_user_sgpr_queue_ptr 0
		.amdhsa_user_sgpr_kernarg_segment_ptr 1
		.amdhsa_user_sgpr_dispatch_id 0
		.amdhsa_user_sgpr_private_segment_size 0
		.amdhsa_wavefront_size32 1
		.amdhsa_uses_dynamic_stack 0
		.amdhsa_enable_private_segment 0
		.amdhsa_system_sgpr_workgroup_id_x 1
		.amdhsa_system_sgpr_workgroup_id_y 0
		.amdhsa_system_sgpr_workgroup_id_z 0
		.amdhsa_system_sgpr_workgroup_info 0
		.amdhsa_system_vgpr_workitem_id 0
		.amdhsa_next_free_vgpr 23
		.amdhsa_next_free_sgpr 44
		.amdhsa_reserve_vcc 1
		.amdhsa_float_round_mode_32 0
		.amdhsa_float_round_mode_16_64 0
		.amdhsa_float_denorm_mode_32 3
		.amdhsa_float_denorm_mode_16_64 3
		.amdhsa_dx10_clamp 1
		.amdhsa_ieee_mode 1
		.amdhsa_fp16_overflow 0
		.amdhsa_workgroup_processor_mode 1
		.amdhsa_memory_ordered 1
		.amdhsa_forward_progress 0
		.amdhsa_shared_vgpr_count 0
		.amdhsa_exception_fp_ieee_invalid_op 0
		.amdhsa_exception_fp_denorm_src 0
		.amdhsa_exception_fp_ieee_div_zero 0
		.amdhsa_exception_fp_ieee_overflow 0
		.amdhsa_exception_fp_ieee_underflow 0
		.amdhsa_exception_fp_ieee_inexact 0
		.amdhsa_exception_int_div_zero 0
	.end_amdhsa_kernel
	.section	.text._ZN9rocsparseL26csrgemm_fill_block_per_rowILj1024ELj32ELj2048ELj137ELj64EllfEEvT5_PKS1_S3_NS_24const_host_device_scalarIT6_EEPKT4_S3_PKS5_S9_S3_SB_S6_S9_S3_SB_S9_PS1_PS5_21rocsparse_index_base_SE_SE_SE_bbb,"axG",@progbits,_ZN9rocsparseL26csrgemm_fill_block_per_rowILj1024ELj32ELj2048ELj137ELj64EllfEEvT5_PKS1_S3_NS_24const_host_device_scalarIT6_EEPKT4_S3_PKS5_S9_S3_SB_S6_S9_S3_SB_S9_PS1_PS5_21rocsparse_index_base_SE_SE_SE_bbb,comdat
.Lfunc_end100:
	.size	_ZN9rocsparseL26csrgemm_fill_block_per_rowILj1024ELj32ELj2048ELj137ELj64EllfEEvT5_PKS1_S3_NS_24const_host_device_scalarIT6_EEPKT4_S3_PKS5_S9_S3_SB_S6_S9_S3_SB_S9_PS1_PS5_21rocsparse_index_base_SE_SE_SE_bbb, .Lfunc_end100-_ZN9rocsparseL26csrgemm_fill_block_per_rowILj1024ELj32ELj2048ELj137ELj64EllfEEvT5_PKS1_S3_NS_24const_host_device_scalarIT6_EEPKT4_S3_PKS5_S9_S3_SB_S6_S9_S3_SB_S9_PS1_PS5_21rocsparse_index_base_SE_SE_SE_bbb
                                        ; -- End function
	.section	.AMDGPU.csdata,"",@progbits
; Kernel info:
; codeLenInByte = 3604
; NumSgprs: 46
; NumVgprs: 23
; ScratchSize: 0
; MemoryBound: 0
; FloatMode: 240
; IeeeMode: 1
; LDSByteSize: 0 bytes/workgroup (compile time only)
; SGPRBlocks: 5
; VGPRBlocks: 2
; NumSGPRsForWavesPerEU: 46
; NumVGPRsForWavesPerEU: 23
; Occupancy: 16
; WaveLimiterHint : 1
; COMPUTE_PGM_RSRC2:SCRATCH_EN: 0
; COMPUTE_PGM_RSRC2:USER_SGPR: 15
; COMPUTE_PGM_RSRC2:TRAP_HANDLER: 0
; COMPUTE_PGM_RSRC2:TGID_X_EN: 1
; COMPUTE_PGM_RSRC2:TGID_Y_EN: 0
; COMPUTE_PGM_RSRC2:TGID_Z_EN: 0
; COMPUTE_PGM_RSRC2:TIDIG_COMP_CNT: 0
	.section	.text._ZN9rocsparseL26csrgemm_fill_block_per_rowILj1024ELj64ELj4096ELj137ELj32EllfEEvT5_PKS1_S3_NS_24const_host_device_scalarIT6_EEPKT4_S3_PKS5_S9_S3_SB_S6_S9_S3_SB_S9_PS1_PS5_21rocsparse_index_base_SE_SE_SE_bbb,"axG",@progbits,_ZN9rocsparseL26csrgemm_fill_block_per_rowILj1024ELj64ELj4096ELj137ELj32EllfEEvT5_PKS1_S3_NS_24const_host_device_scalarIT6_EEPKT4_S3_PKS5_S9_S3_SB_S6_S9_S3_SB_S9_PS1_PS5_21rocsparse_index_base_SE_SE_SE_bbb,comdat
	.globl	_ZN9rocsparseL26csrgemm_fill_block_per_rowILj1024ELj64ELj4096ELj137ELj32EllfEEvT5_PKS1_S3_NS_24const_host_device_scalarIT6_EEPKT4_S3_PKS5_S9_S3_SB_S6_S9_S3_SB_S9_PS1_PS5_21rocsparse_index_base_SE_SE_SE_bbb ; -- Begin function _ZN9rocsparseL26csrgemm_fill_block_per_rowILj1024ELj64ELj4096ELj137ELj32EllfEEvT5_PKS1_S3_NS_24const_host_device_scalarIT6_EEPKT4_S3_PKS5_S9_S3_SB_S6_S9_S3_SB_S9_PS1_PS5_21rocsparse_index_base_SE_SE_SE_bbb
	.p2align	8
	.type	_ZN9rocsparseL26csrgemm_fill_block_per_rowILj1024ELj64ELj4096ELj137ELj32EllfEEvT5_PKS1_S3_NS_24const_host_device_scalarIT6_EEPKT4_S3_PKS5_S9_S3_SB_S6_S9_S3_SB_S9_PS1_PS5_21rocsparse_index_base_SE_SE_SE_bbb,@function
_ZN9rocsparseL26csrgemm_fill_block_per_rowILj1024ELj64ELj4096ELj137ELj32EllfEEvT5_PKS1_S3_NS_24const_host_device_scalarIT6_EEPKT4_S3_PKS5_S9_S3_SB_S6_S9_S3_SB_S9_PS1_PS5_21rocsparse_index_base_SE_SE_SE_bbb: ; @_ZN9rocsparseL26csrgemm_fill_block_per_rowILj1024ELj64ELj4096ELj137ELj32EllfEEvT5_PKS1_S3_NS_24const_host_device_scalarIT6_EEPKT4_S3_PKS5_S9_S3_SB_S6_S9_S3_SB_S9_PS1_PS5_21rocsparse_index_base_SE_SE_SE_bbb
; %bb.0:
	s_clause 0x3
	s_load_b32 s3, s[0:1], 0x98
	s_load_b128 s[44:47], s[0:1], 0x88
	s_load_b64 s[4:5], s[0:1], 0x18
	s_load_b64 s[20:21], s[0:1], 0x50
	s_mov_b32 s2, s15
	s_waitcnt lgkmcnt(0)
	s_bitcmp1_b32 s3, 0
	s_cselect_b32 s23, -1, 0
	s_bitcmp1_b32 s3, 16
	s_cselect_b32 s24, -1, 0
	s_xor_b32 s6, s23, -1
	s_delay_alu instid0(SALU_CYCLE_1) | instskip(NEXT) | instid1(SALU_CYCLE_1)
	s_or_b32 s6, s6, s24
	s_and_b32 vcc_lo, exec_lo, s6
	s_cbranch_vccnz .LBB101_2
; %bb.1:
	s_load_b32 s4, s[4:5], 0x0
	s_waitcnt lgkmcnt(0)
	v_mov_b32_e32 v15, s4
	s_branch .LBB101_3
.LBB101_2:
	v_cndmask_b32_e64 v15, 0, s4, s23
.LBB101_3:
	s_clause 0x4
	s_load_b128 s[48:51], s[0:1], 0x78
	s_load_b256 s[36:43], s[0:1], 0x58
	s_load_b128 s[12:15], s[0:1], 0x40
	s_load_b128 s[16:19], s[0:1], 0x8
	s_load_b256 s[4:11], s[0:1], 0x20
	s_bitcmp1_b32 s3, 8
	s_cselect_b32 s22, -1, 0
	s_delay_alu instid0(SALU_CYCLE_1) | instskip(NEXT) | instid1(SALU_CYCLE_1)
	s_xor_b32 s3, s22, -1
	s_or_b32 s3, s3, s24
	s_delay_alu instid0(SALU_CYCLE_1)
	s_and_b32 vcc_lo, exec_lo, s3
	s_cbranch_vccnz .LBB101_5
; %bb.4:
	s_load_b32 s3, s[20:21], 0x0
	s_waitcnt lgkmcnt(0)
	v_mov_b32_e32 v14, s3
	s_branch .LBB101_6
.LBB101_5:
	v_cndmask_b32_e64 v14, 0, s20, s22
.LBB101_6:
	s_load_b64 s[34:35], s[0:1], 0x0
	v_lshl_add_u32 v11, v0, 3, 0
	v_lshlrev_b32_e32 v1, 2, v0
	v_or_b32_e32 v12, 0xfffffc00, v0
	v_mov_b32_e32 v3, 0
	s_mov_b32 s0, 0
	v_mov_b32_e32 v4, v11
	v_add3_u32 v13, v1, 0, 0x8000
	s_delay_alu instid0(VALU_DEP_1)
	v_dual_mov_b32 v5, v12 :: v_dual_mov_b32 v6, v13
	s_waitcnt lgkmcnt(0)
	v_dual_mov_b32 v1, s34 :: v_dual_mov_b32 v2, s35
.LBB101_7:                              ; =>This Inner Loop Header: Depth=1
	s_delay_alu instid0(VALU_DEP_2)
	v_add_nc_u32_e32 v5, 0x400, v5
	ds_store_b64 v4, v[1:2]
	ds_store_b32 v6, v3
	v_add_nc_u32_e32 v6, 0x1000, v6
	v_add_nc_u32_e32 v4, 0x2000, v4
	v_cmp_lt_u32_e32 vcc_lo, 0xbff, v5
	s_or_b32 s0, vcc_lo, s0
	s_delay_alu instid0(SALU_CYCLE_1)
	s_and_not1_b32 exec_lo, exec_lo, s0
	s_cbranch_execnz .LBB101_7
; %bb.8:
	s_or_b32 exec_lo, exec_lo, s0
	s_waitcnt lgkmcnt(0)
	s_barrier
	buffer_gl0_inv
	s_load_b64 s[0:1], s[16:17], 0x0
	s_mov_b32 s3, 0
	s_waitcnt lgkmcnt(0)
	s_lshl_b64 s[0:1], s[0:1], 3
	s_delay_alu instid0(SALU_CYCLE_1) | instskip(SKIP_2) | instid1(SALU_CYCLE_1)
	s_add_u32 s16, s18, s0
	s_addc_u32 s17, s19, s1
	s_lshl_b64 s[0:1], s[2:3], 3
	s_add_u32 s0, s16, s0
	s_addc_u32 s1, s17, s1
	s_and_b32 vcc_lo, exec_lo, s23
	s_load_b64 s[52:53], s[0:1], 0x0
	s_cbranch_vccz .LBB101_28
; %bb.9:
	s_waitcnt lgkmcnt(0)
	s_lshl_b64 s[0:1], s[52:53], 3
	v_lshrrev_b32_e32 v1, 6, v0
	s_add_u32 s0, s4, s0
	s_addc_u32 s1, s5, s1
	s_load_b128 s[0:3], s[0:1], 0x0
	s_delay_alu instid0(VALU_DEP_1) | instskip(NEXT) | instid1(VALU_DEP_1)
	v_sub_co_u32 v1, s4, v1, s44
	v_sub_co_ci_u32_e64 v2, null, 0, 0, s4
	s_waitcnt lgkmcnt(0)
	s_delay_alu instid0(VALU_DEP_2) | instskip(NEXT) | instid1(VALU_DEP_2)
	v_add_co_u32 v1, vcc_lo, s0, v1
	v_add_co_ci_u32_e32 v2, vcc_lo, s1, v2, vcc_lo
	s_sub_u32 s0, s2, s44
	s_subb_u32 s1, s3, 0
	s_mov_b32 s2, exec_lo
	s_delay_alu instid0(VALU_DEP_1)
	v_cmpx_gt_i64_e64 s[0:1], v[1:2]
	s_cbranch_execz .LBB101_27
; %bb.10:
	v_and_b32_e32 v3, 63, v0
	s_mov_b32 s4, s45
	s_delay_alu instid0(VALU_DEP_1) | instskip(NEXT) | instid1(VALU_DEP_1)
	v_sub_co_u32 v16, s3, v3, s45
	v_sub_co_ci_u32_e64 v17, null, 0, 0, s3
	s_mov_b32 s3, 0
	s_branch .LBB101_12
.LBB101_11:                             ;   in Loop: Header=BB101_12 Depth=1
	s_or_b32 exec_lo, exec_lo, s5
	v_add_co_u32 v1, vcc_lo, v1, 16
	v_add_co_ci_u32_e32 v2, vcc_lo, 0, v2, vcc_lo
	s_delay_alu instid0(VALU_DEP_1) | instskip(SKIP_1) | instid1(SALU_CYCLE_1)
	v_cmp_le_i64_e32 vcc_lo, s[0:1], v[1:2]
	s_or_b32 s3, vcc_lo, s3
	s_and_not1_b32 exec_lo, exec_lo, s3
	s_cbranch_execz .LBB101_27
.LBB101_12:                             ; =>This Loop Header: Depth=1
                                        ;     Child Loop BB101_15 Depth 2
                                        ;       Child Loop BB101_17 Depth 3
	v_lshlrev_b64 v[3:4], 3, v[1:2]
	s_mov_b32 s5, exec_lo
	s_delay_alu instid0(VALU_DEP_1) | instskip(NEXT) | instid1(VALU_DEP_2)
	v_add_co_u32 v3, vcc_lo, s6, v3
	v_add_co_ci_u32_e32 v4, vcc_lo, s7, v4, vcc_lo
	global_load_b64 v[3:4], v[3:4], off
	s_waitcnt vmcnt(0)
	v_sub_co_u32 v3, vcc_lo, v3, s44
	v_subrev_co_ci_u32_e32 v4, vcc_lo, 0, v4, vcc_lo
	s_delay_alu instid0(VALU_DEP_1) | instskip(NEXT) | instid1(VALU_DEP_1)
	v_lshlrev_b64 v[3:4], 3, v[3:4]
	v_add_co_u32 v3, vcc_lo, s10, v3
	s_delay_alu instid0(VALU_DEP_2)
	v_add_co_ci_u32_e32 v4, vcc_lo, s11, v4, vcc_lo
	global_load_b128 v[5:8], v[3:4], off
	s_waitcnt vmcnt(0)
	v_sub_co_u32 v3, vcc_lo, v7, s4
	v_subrev_co_ci_u32_e32 v4, vcc_lo, 0, v8, vcc_lo
	v_add_co_u32 v5, vcc_lo, v5, v16
	v_add_co_ci_u32_e32 v6, vcc_lo, v6, v17, vcc_lo
	s_delay_alu instid0(VALU_DEP_1)
	v_cmpx_lt_i64_e64 v[5:6], v[3:4]
	s_cbranch_execz .LBB101_11
; %bb.13:                               ;   in Loop: Header=BB101_12 Depth=1
	v_lshlrev_b64 v[7:8], 2, v[1:2]
	s_mov_b32 s16, 0
	s_delay_alu instid0(VALU_DEP_1) | instskip(NEXT) | instid1(VALU_DEP_2)
	v_add_co_u32 v7, vcc_lo, s8, v7
	v_add_co_ci_u32_e32 v8, vcc_lo, s9, v8, vcc_lo
	global_load_b32 v7, v[7:8], off
	s_waitcnt vmcnt(0)
	v_mul_f32_e32 v18, v15, v7
	s_branch .LBB101_15
.LBB101_14:                             ;   in Loop: Header=BB101_15 Depth=2
	s_or_b32 exec_lo, exec_lo, s17
	v_add_co_u32 v5, vcc_lo, v5, 64
	v_add_co_ci_u32_e32 v6, vcc_lo, 0, v6, vcc_lo
	s_delay_alu instid0(VALU_DEP_1) | instskip(SKIP_1) | instid1(SALU_CYCLE_1)
	v_cmp_ge_i64_e32 vcc_lo, v[5:6], v[3:4]
	s_or_b32 s16, vcc_lo, s16
	s_and_not1_b32 exec_lo, exec_lo, s16
	s_cbranch_execz .LBB101_11
.LBB101_15:                             ;   Parent Loop BB101_12 Depth=1
                                        ; =>  This Loop Header: Depth=2
                                        ;       Child Loop BB101_17 Depth 3
	v_lshlrev_b64 v[7:8], 3, v[5:6]
	v_lshlrev_b64 v[9:10], 2, v[5:6]
	s_mov_b32 s17, 0
	s_delay_alu instid0(VALU_DEP_2) | instskip(NEXT) | instid1(VALU_DEP_3)
	v_add_co_u32 v7, vcc_lo, s12, v7
	v_add_co_ci_u32_e32 v8, vcc_lo, s13, v8, vcc_lo
	s_delay_alu instid0(VALU_DEP_3) | instskip(NEXT) | instid1(VALU_DEP_4)
	v_add_co_u32 v9, vcc_lo, s14, v9
	v_add_co_ci_u32_e32 v10, vcc_lo, s15, v10, vcc_lo
	global_load_b64 v[7:8], v[7:8], off
	global_load_b32 v9, v[9:10], off
	s_waitcnt vmcnt(1)
	v_sub_co_u32 v7, vcc_lo, v7, s4
	v_subrev_co_ci_u32_e32 v8, vcc_lo, 0, v8, vcc_lo
	s_delay_alu instid0(VALU_DEP_2) | instskip(SKIP_1) | instid1(VALU_DEP_1)
	v_mul_lo_u32 v10, 0x89, v7
	s_waitcnt vmcnt(0)
	v_dual_mul_f32 v19, v18, v9 :: v_dual_and_b32 v20, 0xfff, v10
	s_branch .LBB101_17
.LBB101_16:                             ;   in Loop: Header=BB101_17 Depth=3
	s_or_b32 exec_lo, exec_lo, s18
	s_xor_b32 s18, s19, -1
	s_delay_alu instid0(SALU_CYCLE_1) | instskip(NEXT) | instid1(SALU_CYCLE_1)
	s_and_b32 s18, exec_lo, s18
	s_or_b32 s17, s18, s17
	s_delay_alu instid0(SALU_CYCLE_1)
	s_and_not1_b32 exec_lo, exec_lo, s17
	s_cbranch_execz .LBB101_14
.LBB101_17:                             ;   Parent Loop BB101_12 Depth=1
                                        ;     Parent Loop BB101_15 Depth=2
                                        ; =>    This Inner Loop Header: Depth=3
	s_delay_alu instid0(VALU_DEP_1)
	v_lshl_add_u32 v21, v20, 3, 0
	s_mov_b32 s18, exec_lo
                                        ; implicit-def: $sgpr19
	ds_load_b64 v[9:10], v21
	s_waitcnt lgkmcnt(0)
	v_cmpx_ne_u64_e64 v[9:10], v[7:8]
	s_xor_b32 s18, exec_lo, s18
	s_cbranch_execz .LBB101_25
; %bb.18:                               ;   in Loop: Header=BB101_17 Depth=3
	s_mov_b32 s20, exec_lo
                                        ; implicit-def: $sgpr19
	v_cmpx_ne_u64_e64 s[34:35], v[9:10]
	s_xor_b32 s20, exec_lo, s20
; %bb.19:                               ;   in Loop: Header=BB101_17 Depth=3
	v_add_nc_u32_e32 v9, 1, v20
	s_mov_b32 s19, -1
                                        ; implicit-def: $vgpr21
	s_delay_alu instid0(VALU_DEP_1)
	v_and_b32_e32 v20, 0xfff, v9
; %bb.20:                               ;   in Loop: Header=BB101_17 Depth=3
	s_and_not1_saveexec_b32 s20, s20
	s_cbranch_execz .LBB101_24
; %bb.21:                               ;   in Loop: Header=BB101_17 Depth=3
	v_dual_mov_b32 v9, s34 :: v_dual_mov_b32 v10, s35
	s_mov_b32 s21, -1
	s_mov_b32 s23, exec_lo
	ds_cmpstore_rtn_b64 v[9:10], v21, v[7:8], v[9:10]
	s_waitcnt lgkmcnt(0)
	v_cmpx_eq_u64_e64 s[34:35], v[9:10]
	s_cbranch_execz .LBB101_23
; %bb.22:                               ;   in Loop: Header=BB101_17 Depth=3
	v_lshlrev_b32_e32 v9, 2, v20
	s_xor_b32 s21, exec_lo, -1
	s_delay_alu instid0(VALU_DEP_1)
	v_sub_nc_u32_e32 v9, v21, v9
	ds_add_f32 v9, v19 offset:32768
.LBB101_23:                             ;   in Loop: Header=BB101_17 Depth=3
	s_or_b32 exec_lo, exec_lo, s23
	s_delay_alu instid0(SALU_CYCLE_1) | instskip(SKIP_1) | instid1(SALU_CYCLE_1)
	s_and_not1_b32 s19, s19, exec_lo
	s_and_b32 s21, s21, exec_lo
	s_or_b32 s19, s19, s21
.LBB101_24:                             ;   in Loop: Header=BB101_17 Depth=3
	s_or_b32 exec_lo, exec_lo, s20
	s_delay_alu instid0(SALU_CYCLE_1)
	s_and_b32 s19, s19, exec_lo
                                        ; implicit-def: $vgpr21
.LBB101_25:                             ;   in Loop: Header=BB101_17 Depth=3
	s_and_not1_saveexec_b32 s18, s18
	s_cbranch_execz .LBB101_16
; %bb.26:                               ;   in Loop: Header=BB101_17 Depth=3
	v_lshlrev_b32_e32 v9, 2, v20
	s_and_not1_b32 s19, s19, exec_lo
	s_delay_alu instid0(VALU_DEP_1)
	v_sub_nc_u32_e32 v9, v21, v9
	ds_add_f32 v9, v19 offset:32768
	s_branch .LBB101_16
.LBB101_27:
	s_or_b32 exec_lo, exec_lo, s2
.LBB101_28:
	s_delay_alu instid0(SALU_CYCLE_1)
	s_and_not1_b32 vcc_lo, exec_lo, s22
	s_cbranch_vccnz .LBB101_45
; %bb.29:
	s_waitcnt lgkmcnt(0)
	s_lshl_b64 s[0:1], s[52:53], 3
	v_sub_co_u32 v1, s4, v0, s47
	s_add_u32 s0, s36, s0
	s_addc_u32 s1, s37, s1
	v_sub_co_ci_u32_e64 v2, null, 0, 0, s4
	s_load_b128 s[0:3], s[0:1], 0x0
	s_waitcnt lgkmcnt(0)
	v_add_co_u32 v1, vcc_lo, s0, v1
	s_delay_alu instid0(VALU_DEP_2)
	v_add_co_ci_u32_e32 v2, vcc_lo, s1, v2, vcc_lo
	s_sub_u32 s0, s2, s47
	s_subb_u32 s1, s3, 0
	s_mov_b32 s2, 0
	s_mov_b32 s3, exec_lo
	v_cmpx_gt_i64_e64 s[0:1], v[1:2]
	s_cbranch_execz .LBB101_44
; %bb.30:
	s_mov_b32 s4, s47
	s_branch .LBB101_32
.LBB101_31:                             ;   in Loop: Header=BB101_32 Depth=1
	s_or_b32 exec_lo, exec_lo, s5
	v_add_co_u32 v1, vcc_lo, 0x400, v1
	v_add_co_ci_u32_e32 v2, vcc_lo, 0, v2, vcc_lo
	s_delay_alu instid0(VALU_DEP_1) | instskip(SKIP_1) | instid1(SALU_CYCLE_1)
	v_cmp_le_i64_e32 vcc_lo, s[0:1], v[1:2]
	s_or_b32 s2, vcc_lo, s2
	s_and_not1_b32 exec_lo, exec_lo, s2
	s_cbranch_execz .LBB101_44
.LBB101_32:                             ; =>This Loop Header: Depth=1
                                        ;     Child Loop BB101_34 Depth 2
	v_lshlrev_b64 v[3:4], 3, v[1:2]
	v_lshlrev_b64 v[5:6], 2, v[1:2]
	s_mov_b32 s5, 0
	s_delay_alu instid0(VALU_DEP_2) | instskip(NEXT) | instid1(VALU_DEP_3)
	v_add_co_u32 v3, vcc_lo, s38, v3
	v_add_co_ci_u32_e32 v4, vcc_lo, s39, v4, vcc_lo
	s_delay_alu instid0(VALU_DEP_3) | instskip(NEXT) | instid1(VALU_DEP_4)
	v_add_co_u32 v5, vcc_lo, s40, v5
	v_add_co_ci_u32_e32 v6, vcc_lo, s41, v6, vcc_lo
	global_load_b64 v[3:4], v[3:4], off
	global_load_b32 v5, v[5:6], off
	s_waitcnt vmcnt(1)
	v_sub_co_u32 v3, vcc_lo, v3, s4
	v_subrev_co_ci_u32_e32 v4, vcc_lo, 0, v4, vcc_lo
	s_delay_alu instid0(VALU_DEP_2) | instskip(SKIP_1) | instid1(VALU_DEP_1)
	v_mul_lo_u32 v6, 0x89, v3
	s_waitcnt vmcnt(0)
	v_dual_mul_f32 v7, v14, v5 :: v_dual_and_b32 v8, 0xfff, v6
	s_branch .LBB101_34
.LBB101_33:                             ;   in Loop: Header=BB101_34 Depth=2
	s_or_b32 exec_lo, exec_lo, s6
	s_xor_b32 s6, s7, -1
	s_delay_alu instid0(SALU_CYCLE_1) | instskip(NEXT) | instid1(SALU_CYCLE_1)
	s_and_b32 s6, exec_lo, s6
	s_or_b32 s5, s6, s5
	s_delay_alu instid0(SALU_CYCLE_1)
	s_and_not1_b32 exec_lo, exec_lo, s5
	s_cbranch_execz .LBB101_31
.LBB101_34:                             ;   Parent Loop BB101_32 Depth=1
                                        ; =>  This Inner Loop Header: Depth=2
	s_delay_alu instid0(VALU_DEP_1)
	v_lshl_add_u32 v9, v8, 3, 0
	s_mov_b32 s6, exec_lo
                                        ; implicit-def: $sgpr7
	ds_load_b64 v[5:6], v9
	s_waitcnt lgkmcnt(0)
	v_cmpx_ne_u64_e64 v[5:6], v[3:4]
	s_xor_b32 s6, exec_lo, s6
	s_cbranch_execz .LBB101_42
; %bb.35:                               ;   in Loop: Header=BB101_34 Depth=2
	s_mov_b32 s8, exec_lo
                                        ; implicit-def: $sgpr7
	v_cmpx_ne_u64_e64 s[34:35], v[5:6]
	s_xor_b32 s8, exec_lo, s8
; %bb.36:                               ;   in Loop: Header=BB101_34 Depth=2
	v_add_nc_u32_e32 v5, 1, v8
	s_mov_b32 s7, -1
                                        ; implicit-def: $vgpr9
	s_delay_alu instid0(VALU_DEP_1)
	v_and_b32_e32 v8, 0xfff, v5
; %bb.37:                               ;   in Loop: Header=BB101_34 Depth=2
	s_and_not1_saveexec_b32 s8, s8
	s_cbranch_execz .LBB101_41
; %bb.38:                               ;   in Loop: Header=BB101_34 Depth=2
	v_dual_mov_b32 v5, s34 :: v_dual_mov_b32 v6, s35
	s_mov_b32 s9, -1
	s_mov_b32 s10, exec_lo
	ds_cmpstore_rtn_b64 v[5:6], v9, v[3:4], v[5:6]
	s_waitcnt lgkmcnt(0)
	v_cmpx_eq_u64_e64 s[34:35], v[5:6]
	s_cbranch_execz .LBB101_40
; %bb.39:                               ;   in Loop: Header=BB101_34 Depth=2
	v_lshlrev_b32_e32 v5, 2, v8
	s_xor_b32 s9, exec_lo, -1
	s_delay_alu instid0(VALU_DEP_1)
	v_sub_nc_u32_e32 v5, v9, v5
	ds_add_f32 v5, v7 offset:32768
.LBB101_40:                             ;   in Loop: Header=BB101_34 Depth=2
	s_or_b32 exec_lo, exec_lo, s10
	s_delay_alu instid0(SALU_CYCLE_1) | instskip(SKIP_1) | instid1(SALU_CYCLE_1)
	s_and_not1_b32 s7, s7, exec_lo
	s_and_b32 s9, s9, exec_lo
	s_or_b32 s7, s7, s9
.LBB101_41:                             ;   in Loop: Header=BB101_34 Depth=2
	s_or_b32 exec_lo, exec_lo, s8
	s_delay_alu instid0(SALU_CYCLE_1)
	s_and_b32 s7, s7, exec_lo
                                        ; implicit-def: $vgpr9
.LBB101_42:                             ;   in Loop: Header=BB101_34 Depth=2
	s_and_not1_saveexec_b32 s6, s6
	s_cbranch_execz .LBB101_33
; %bb.43:                               ;   in Loop: Header=BB101_34 Depth=2
	v_lshlrev_b32_e32 v5, 2, v8
	s_and_not1_b32 s7, s7, exec_lo
	s_delay_alu instid0(VALU_DEP_1)
	v_sub_nc_u32_e32 v5, v9, v5
	ds_add_f32 v5, v7 offset:32768
	s_branch .LBB101_33
.LBB101_44:
	s_or_b32 exec_lo, exec_lo, s3
.LBB101_45:
	v_mbcnt_lo_u32_b32 v1, -1, 0
	v_lshrrev_b32_e32 v2, 2, v0
	v_cmp_eq_u32_e32 vcc_lo, 0x3ff, v0
	v_cmp_lt_u32_e64 s0, 31, v0
	v_cmp_lt_u32_e64 s1, 63, v0
	v_xor_b32_e32 v1, 63, v1
	v_and_b32_e32 v3, 0xf8, v2
	v_cmp_lt_u32_e64 s2, 0x5f, v0
	v_cmp_lt_u32_e64 s3, 0x7f, v0
	;; [unrolled: 1-line block ×3, first 2 shown]
	v_lshrrev_b64 v[1:2], v1, -1
	v_add_nc_u32_e32 v10, 0, v3
	v_dual_mov_b32 v2, 0 :: v_dual_mov_b32 v5, 0
	v_cmp_lt_u32_e64 s5, 0xbf, v0
	v_cmp_lt_u32_e64 s6, 0xdf, v0
	;; [unrolled: 1-line block ×26, first 2 shown]
	v_mov_b32_e32 v3, 0
	s_mov_b32 s36, 0
	s_waitcnt lgkmcnt(0)
	s_barrier
	buffer_gl0_inv
	s_branch .LBB101_47
.LBB101_46:                             ;   in Loop: Header=BB101_47 Depth=1
	s_or_b32 exec_lo, exec_lo, s31
	s_waitcnt lgkmcnt(0)
	s_barrier
	buffer_gl0_inv
	ds_load_b64 v[6:7], v5 offset:49400
	v_add_nc_u32_e32 v12, 0x400, v12
	v_add_nc_u32_e32 v13, 0x1000, v13
	;; [unrolled: 1-line block ×3, first 2 shown]
	s_delay_alu instid0(VALU_DEP_3) | instskip(NEXT) | instid1(VALU_DEP_1)
	v_cmp_lt_u32_e64 s31, 0xbff, v12
	s_or_b32 s36, s31, s36
	s_waitcnt lgkmcnt(0)
	v_add_co_u32 v2, s33, v6, v2
	s_delay_alu instid0(VALU_DEP_1)
	v_add_co_ci_u32_e64 v3, s33, v7, v3, s33
	s_and_not1_b32 exec_lo, exec_lo, s36
	s_cbranch_execz .LBB101_113
.LBB101_47:                             ; =>This Inner Loop Header: Depth=1
	ds_load_b64 v[6:7], v11
	ds_load_b32 v14, v13
	s_waitcnt lgkmcnt(0)
	s_barrier
	buffer_gl0_inv
	v_cmp_gt_i64_e64 s31, s[34:35], v[6:7]
	s_delay_alu instid0(VALU_DEP_1) | instskip(SKIP_1) | instid1(SALU_CYCLE_1)
	v_and_b32_e32 v8, s31, v1
	s_bcnt1_i32_b32 s33, s31
	v_mov_b32_e32 v4, s33
	s_delay_alu instid0(VALU_DEP_2)
	v_bcnt_u32_b32 v8, v8, 0
	ds_store_b64 v10, v[4:5] offset:49152
	s_waitcnt lgkmcnt(0)
	s_barrier
	buffer_gl0_inv
	s_and_saveexec_b32 s33, s0
	s_cbranch_execnz .LBB101_80
; %bb.48:                               ;   in Loop: Header=BB101_47 Depth=1
	s_or_b32 exec_lo, exec_lo, s33
	s_and_saveexec_b32 s33, s1
	s_cbranch_execnz .LBB101_81
.LBB101_49:                             ;   in Loop: Header=BB101_47 Depth=1
	s_or_b32 exec_lo, exec_lo, s33
	s_and_saveexec_b32 s33, s2
	s_cbranch_execnz .LBB101_82
.LBB101_50:                             ;   in Loop: Header=BB101_47 Depth=1
	s_or_b32 exec_lo, exec_lo, s33
	s_and_saveexec_b32 s33, s3
	s_cbranch_execnz .LBB101_83
.LBB101_51:                             ;   in Loop: Header=BB101_47 Depth=1
	s_or_b32 exec_lo, exec_lo, s33
	s_and_saveexec_b32 s33, s4
	s_cbranch_execnz .LBB101_84
.LBB101_52:                             ;   in Loop: Header=BB101_47 Depth=1
	s_or_b32 exec_lo, exec_lo, s33
	s_and_saveexec_b32 s33, s5
	s_cbranch_execnz .LBB101_85
.LBB101_53:                             ;   in Loop: Header=BB101_47 Depth=1
	s_or_b32 exec_lo, exec_lo, s33
	s_and_saveexec_b32 s33, s6
	s_cbranch_execnz .LBB101_86
.LBB101_54:                             ;   in Loop: Header=BB101_47 Depth=1
	s_or_b32 exec_lo, exec_lo, s33
	s_and_saveexec_b32 s33, s7
	s_cbranch_execnz .LBB101_87
.LBB101_55:                             ;   in Loop: Header=BB101_47 Depth=1
	s_or_b32 exec_lo, exec_lo, s33
	s_and_saveexec_b32 s33, s8
	s_cbranch_execnz .LBB101_88
.LBB101_56:                             ;   in Loop: Header=BB101_47 Depth=1
	s_or_b32 exec_lo, exec_lo, s33
	s_and_saveexec_b32 s33, s9
	s_cbranch_execnz .LBB101_89
.LBB101_57:                             ;   in Loop: Header=BB101_47 Depth=1
	s_or_b32 exec_lo, exec_lo, s33
	s_and_saveexec_b32 s33, s10
	s_cbranch_execnz .LBB101_90
.LBB101_58:                             ;   in Loop: Header=BB101_47 Depth=1
	s_or_b32 exec_lo, exec_lo, s33
	s_and_saveexec_b32 s33, s11
	s_cbranch_execnz .LBB101_91
.LBB101_59:                             ;   in Loop: Header=BB101_47 Depth=1
	s_or_b32 exec_lo, exec_lo, s33
	s_and_saveexec_b32 s33, s12
	s_cbranch_execnz .LBB101_92
.LBB101_60:                             ;   in Loop: Header=BB101_47 Depth=1
	s_or_b32 exec_lo, exec_lo, s33
	s_and_saveexec_b32 s33, s13
	s_cbranch_execnz .LBB101_93
.LBB101_61:                             ;   in Loop: Header=BB101_47 Depth=1
	s_or_b32 exec_lo, exec_lo, s33
	s_and_saveexec_b32 s33, s14
	s_cbranch_execnz .LBB101_94
.LBB101_62:                             ;   in Loop: Header=BB101_47 Depth=1
	s_or_b32 exec_lo, exec_lo, s33
	s_and_saveexec_b32 s33, s15
	s_cbranch_execnz .LBB101_95
.LBB101_63:                             ;   in Loop: Header=BB101_47 Depth=1
	s_or_b32 exec_lo, exec_lo, s33
	s_and_saveexec_b32 s33, s16
	s_cbranch_execnz .LBB101_96
.LBB101_64:                             ;   in Loop: Header=BB101_47 Depth=1
	s_or_b32 exec_lo, exec_lo, s33
	s_and_saveexec_b32 s33, s17
	s_cbranch_execnz .LBB101_97
.LBB101_65:                             ;   in Loop: Header=BB101_47 Depth=1
	s_or_b32 exec_lo, exec_lo, s33
	s_and_saveexec_b32 s33, s18
	s_cbranch_execnz .LBB101_98
.LBB101_66:                             ;   in Loop: Header=BB101_47 Depth=1
	s_or_b32 exec_lo, exec_lo, s33
	s_and_saveexec_b32 s33, s19
	s_cbranch_execnz .LBB101_99
.LBB101_67:                             ;   in Loop: Header=BB101_47 Depth=1
	s_or_b32 exec_lo, exec_lo, s33
	s_and_saveexec_b32 s33, s20
	s_cbranch_execnz .LBB101_100
.LBB101_68:                             ;   in Loop: Header=BB101_47 Depth=1
	s_or_b32 exec_lo, exec_lo, s33
	s_and_saveexec_b32 s33, s21
	s_cbranch_execnz .LBB101_101
.LBB101_69:                             ;   in Loop: Header=BB101_47 Depth=1
	s_or_b32 exec_lo, exec_lo, s33
	s_and_saveexec_b32 s33, s22
	s_cbranch_execnz .LBB101_102
.LBB101_70:                             ;   in Loop: Header=BB101_47 Depth=1
	s_or_b32 exec_lo, exec_lo, s33
	s_and_saveexec_b32 s33, s23
	s_cbranch_execnz .LBB101_103
.LBB101_71:                             ;   in Loop: Header=BB101_47 Depth=1
	s_or_b32 exec_lo, exec_lo, s33
	s_and_saveexec_b32 s33, s24
	s_cbranch_execnz .LBB101_104
.LBB101_72:                             ;   in Loop: Header=BB101_47 Depth=1
	s_or_b32 exec_lo, exec_lo, s33
	s_and_saveexec_b32 s33, s25
	s_cbranch_execnz .LBB101_105
.LBB101_73:                             ;   in Loop: Header=BB101_47 Depth=1
	s_or_b32 exec_lo, exec_lo, s33
	s_and_saveexec_b32 s33, s26
	s_cbranch_execnz .LBB101_106
.LBB101_74:                             ;   in Loop: Header=BB101_47 Depth=1
	s_or_b32 exec_lo, exec_lo, s33
	s_and_saveexec_b32 s33, s27
	s_cbranch_execnz .LBB101_107
.LBB101_75:                             ;   in Loop: Header=BB101_47 Depth=1
	s_or_b32 exec_lo, exec_lo, s33
	s_and_saveexec_b32 s33, s28
	s_cbranch_execnz .LBB101_108
.LBB101_76:                             ;   in Loop: Header=BB101_47 Depth=1
	s_or_b32 exec_lo, exec_lo, s33
	s_and_saveexec_b32 s33, s29
	s_cbranch_execnz .LBB101_109
.LBB101_77:                             ;   in Loop: Header=BB101_47 Depth=1
	s_or_b32 exec_lo, exec_lo, s33
	s_and_saveexec_b32 s33, s30
	s_cbranch_execnz .LBB101_110
.LBB101_78:                             ;   in Loop: Header=BB101_47 Depth=1
	s_or_b32 exec_lo, exec_lo, s33
	v_ashrrev_i32_e32 v9, 31, v8
	s_and_saveexec_b32 s33, s31
	s_cbranch_execnz .LBB101_111
.LBB101_79:                             ;   in Loop: Header=BB101_47 Depth=1
	s_or_b32 exec_lo, exec_lo, s33
	s_and_saveexec_b32 s31, vcc_lo
	s_cbranch_execz .LBB101_46
	s_branch .LBB101_112
.LBB101_80:                             ;   in Loop: Header=BB101_47 Depth=1
	ds_load_b32 v4, v5 offset:49152
	s_waitcnt lgkmcnt(0)
	v_add_nc_u32_e32 v8, v4, v8
	s_or_b32 exec_lo, exec_lo, s33
	s_and_saveexec_b32 s33, s1
	s_cbranch_execz .LBB101_49
.LBB101_81:                             ;   in Loop: Header=BB101_47 Depth=1
	ds_load_b32 v4, v5 offset:49160
	s_waitcnt lgkmcnt(0)
	v_add_nc_u32_e32 v8, v8, v4
	s_or_b32 exec_lo, exec_lo, s33
	s_and_saveexec_b32 s33, s2
	s_cbranch_execz .LBB101_50
.LBB101_82:                             ;   in Loop: Header=BB101_47 Depth=1
	ds_load_b32 v4, v5 offset:49168
	s_waitcnt lgkmcnt(0)
	v_add_nc_u32_e32 v8, v8, v4
	s_or_b32 exec_lo, exec_lo, s33
	s_and_saveexec_b32 s33, s3
	s_cbranch_execz .LBB101_51
.LBB101_83:                             ;   in Loop: Header=BB101_47 Depth=1
	ds_load_b32 v4, v5 offset:49176
	s_waitcnt lgkmcnt(0)
	v_add_nc_u32_e32 v8, v8, v4
	s_or_b32 exec_lo, exec_lo, s33
	s_and_saveexec_b32 s33, s4
	s_cbranch_execz .LBB101_52
.LBB101_84:                             ;   in Loop: Header=BB101_47 Depth=1
	ds_load_b32 v4, v5 offset:49184
	s_waitcnt lgkmcnt(0)
	v_add_nc_u32_e32 v8, v8, v4
	s_or_b32 exec_lo, exec_lo, s33
	s_and_saveexec_b32 s33, s5
	s_cbranch_execz .LBB101_53
.LBB101_85:                             ;   in Loop: Header=BB101_47 Depth=1
	ds_load_b32 v4, v5 offset:49192
	s_waitcnt lgkmcnt(0)
	v_add_nc_u32_e32 v8, v8, v4
	s_or_b32 exec_lo, exec_lo, s33
	s_and_saveexec_b32 s33, s6
	s_cbranch_execz .LBB101_54
.LBB101_86:                             ;   in Loop: Header=BB101_47 Depth=1
	ds_load_b32 v4, v5 offset:49200
	s_waitcnt lgkmcnt(0)
	v_add_nc_u32_e32 v8, v8, v4
	s_or_b32 exec_lo, exec_lo, s33
	s_and_saveexec_b32 s33, s7
	s_cbranch_execz .LBB101_55
.LBB101_87:                             ;   in Loop: Header=BB101_47 Depth=1
	ds_load_b32 v4, v5 offset:49208
	s_waitcnt lgkmcnt(0)
	v_add_nc_u32_e32 v8, v8, v4
	s_or_b32 exec_lo, exec_lo, s33
	s_and_saveexec_b32 s33, s8
	s_cbranch_execz .LBB101_56
.LBB101_88:                             ;   in Loop: Header=BB101_47 Depth=1
	ds_load_b32 v4, v5 offset:49216
	s_waitcnt lgkmcnt(0)
	v_add_nc_u32_e32 v8, v8, v4
	s_or_b32 exec_lo, exec_lo, s33
	s_and_saveexec_b32 s33, s9
	s_cbranch_execz .LBB101_57
.LBB101_89:                             ;   in Loop: Header=BB101_47 Depth=1
	ds_load_b32 v4, v5 offset:49224
	s_waitcnt lgkmcnt(0)
	v_add_nc_u32_e32 v8, v8, v4
	s_or_b32 exec_lo, exec_lo, s33
	s_and_saveexec_b32 s33, s10
	s_cbranch_execz .LBB101_58
.LBB101_90:                             ;   in Loop: Header=BB101_47 Depth=1
	ds_load_b32 v4, v5 offset:49232
	s_waitcnt lgkmcnt(0)
	v_add_nc_u32_e32 v8, v8, v4
	s_or_b32 exec_lo, exec_lo, s33
	s_and_saveexec_b32 s33, s11
	s_cbranch_execz .LBB101_59
.LBB101_91:                             ;   in Loop: Header=BB101_47 Depth=1
	ds_load_b32 v4, v5 offset:49240
	s_waitcnt lgkmcnt(0)
	v_add_nc_u32_e32 v8, v8, v4
	s_or_b32 exec_lo, exec_lo, s33
	s_and_saveexec_b32 s33, s12
	s_cbranch_execz .LBB101_60
.LBB101_92:                             ;   in Loop: Header=BB101_47 Depth=1
	ds_load_b32 v4, v5 offset:49248
	s_waitcnt lgkmcnt(0)
	v_add_nc_u32_e32 v8, v8, v4
	s_or_b32 exec_lo, exec_lo, s33
	s_and_saveexec_b32 s33, s13
	s_cbranch_execz .LBB101_61
.LBB101_93:                             ;   in Loop: Header=BB101_47 Depth=1
	ds_load_b32 v4, v5 offset:49256
	s_waitcnt lgkmcnt(0)
	v_add_nc_u32_e32 v8, v8, v4
	s_or_b32 exec_lo, exec_lo, s33
	s_and_saveexec_b32 s33, s14
	s_cbranch_execz .LBB101_62
.LBB101_94:                             ;   in Loop: Header=BB101_47 Depth=1
	ds_load_b32 v4, v5 offset:49264
	s_waitcnt lgkmcnt(0)
	v_add_nc_u32_e32 v8, v8, v4
	s_or_b32 exec_lo, exec_lo, s33
	s_and_saveexec_b32 s33, s15
	s_cbranch_execz .LBB101_63
.LBB101_95:                             ;   in Loop: Header=BB101_47 Depth=1
	ds_load_b32 v4, v5 offset:49272
	s_waitcnt lgkmcnt(0)
	v_add_nc_u32_e32 v8, v8, v4
	s_or_b32 exec_lo, exec_lo, s33
	s_and_saveexec_b32 s33, s16
	s_cbranch_execz .LBB101_64
.LBB101_96:                             ;   in Loop: Header=BB101_47 Depth=1
	ds_load_b32 v4, v5 offset:49280
	s_waitcnt lgkmcnt(0)
	v_add_nc_u32_e32 v8, v8, v4
	s_or_b32 exec_lo, exec_lo, s33
	s_and_saveexec_b32 s33, s17
	s_cbranch_execz .LBB101_65
.LBB101_97:                             ;   in Loop: Header=BB101_47 Depth=1
	ds_load_b32 v4, v5 offset:49288
	s_waitcnt lgkmcnt(0)
	v_add_nc_u32_e32 v8, v8, v4
	s_or_b32 exec_lo, exec_lo, s33
	s_and_saveexec_b32 s33, s18
	s_cbranch_execz .LBB101_66
.LBB101_98:                             ;   in Loop: Header=BB101_47 Depth=1
	ds_load_b32 v4, v5 offset:49296
	s_waitcnt lgkmcnt(0)
	v_add_nc_u32_e32 v8, v8, v4
	s_or_b32 exec_lo, exec_lo, s33
	s_and_saveexec_b32 s33, s19
	s_cbranch_execz .LBB101_67
.LBB101_99:                             ;   in Loop: Header=BB101_47 Depth=1
	ds_load_b32 v4, v5 offset:49304
	s_waitcnt lgkmcnt(0)
	v_add_nc_u32_e32 v8, v8, v4
	s_or_b32 exec_lo, exec_lo, s33
	s_and_saveexec_b32 s33, s20
	s_cbranch_execz .LBB101_68
.LBB101_100:                            ;   in Loop: Header=BB101_47 Depth=1
	ds_load_b32 v4, v5 offset:49312
	s_waitcnt lgkmcnt(0)
	v_add_nc_u32_e32 v8, v8, v4
	s_or_b32 exec_lo, exec_lo, s33
	s_and_saveexec_b32 s33, s21
	s_cbranch_execz .LBB101_69
.LBB101_101:                            ;   in Loop: Header=BB101_47 Depth=1
	ds_load_b32 v4, v5 offset:49320
	s_waitcnt lgkmcnt(0)
	v_add_nc_u32_e32 v8, v8, v4
	s_or_b32 exec_lo, exec_lo, s33
	s_and_saveexec_b32 s33, s22
	s_cbranch_execz .LBB101_70
.LBB101_102:                            ;   in Loop: Header=BB101_47 Depth=1
	ds_load_b32 v4, v5 offset:49328
	s_waitcnt lgkmcnt(0)
	v_add_nc_u32_e32 v8, v8, v4
	s_or_b32 exec_lo, exec_lo, s33
	s_and_saveexec_b32 s33, s23
	s_cbranch_execz .LBB101_71
.LBB101_103:                            ;   in Loop: Header=BB101_47 Depth=1
	ds_load_b32 v4, v5 offset:49336
	s_waitcnt lgkmcnt(0)
	v_add_nc_u32_e32 v8, v8, v4
	s_or_b32 exec_lo, exec_lo, s33
	s_and_saveexec_b32 s33, s24
	s_cbranch_execz .LBB101_72
.LBB101_104:                            ;   in Loop: Header=BB101_47 Depth=1
	ds_load_b32 v4, v5 offset:49344
	s_waitcnt lgkmcnt(0)
	v_add_nc_u32_e32 v8, v8, v4
	s_or_b32 exec_lo, exec_lo, s33
	s_and_saveexec_b32 s33, s25
	s_cbranch_execz .LBB101_73
.LBB101_105:                            ;   in Loop: Header=BB101_47 Depth=1
	ds_load_b32 v4, v5 offset:49352
	s_waitcnt lgkmcnt(0)
	v_add_nc_u32_e32 v8, v8, v4
	s_or_b32 exec_lo, exec_lo, s33
	s_and_saveexec_b32 s33, s26
	s_cbranch_execz .LBB101_74
.LBB101_106:                            ;   in Loop: Header=BB101_47 Depth=1
	ds_load_b32 v4, v5 offset:49360
	s_waitcnt lgkmcnt(0)
	v_add_nc_u32_e32 v8, v8, v4
	s_or_b32 exec_lo, exec_lo, s33
	s_and_saveexec_b32 s33, s27
	s_cbranch_execz .LBB101_75
.LBB101_107:                            ;   in Loop: Header=BB101_47 Depth=1
	ds_load_b32 v4, v5 offset:49368
	s_waitcnt lgkmcnt(0)
	v_add_nc_u32_e32 v8, v8, v4
	s_or_b32 exec_lo, exec_lo, s33
	s_and_saveexec_b32 s33, s28
	s_cbranch_execz .LBB101_76
.LBB101_108:                            ;   in Loop: Header=BB101_47 Depth=1
	ds_load_b32 v4, v5 offset:49376
	s_waitcnt lgkmcnt(0)
	v_add_nc_u32_e32 v8, v8, v4
	s_or_b32 exec_lo, exec_lo, s33
	s_and_saveexec_b32 s33, s29
	s_cbranch_execz .LBB101_77
.LBB101_109:                            ;   in Loop: Header=BB101_47 Depth=1
	ds_load_b32 v4, v5 offset:49384
	s_waitcnt lgkmcnt(0)
	v_add_nc_u32_e32 v8, v8, v4
	s_or_b32 exec_lo, exec_lo, s33
	s_and_saveexec_b32 s33, s30
	s_cbranch_execz .LBB101_78
.LBB101_110:                            ;   in Loop: Header=BB101_47 Depth=1
	ds_load_b32 v4, v5 offset:49392
	s_waitcnt lgkmcnt(0)
	v_add_nc_u32_e32 v8, v8, v4
	s_or_b32 exec_lo, exec_lo, s33
	s_delay_alu instid0(VALU_DEP_1)
	v_ashrrev_i32_e32 v9, 31, v8
	s_and_saveexec_b32 s33, s31
	s_cbranch_execz .LBB101_79
.LBB101_111:                            ;   in Loop: Header=BB101_47 Depth=1
	v_add3_u32 v4, v2, -1, v8
	s_delay_alu instid0(VALU_DEP_1)
	v_lshl_add_u32 v15, v4, 3, 0
	v_lshl_add_u32 v4, v4, 2, 0
	ds_store_b64 v15, v[6:7]
	ds_store_b32 v4, v14 offset:32768
	s_or_b32 exec_lo, exec_lo, s33
	s_and_saveexec_b32 s31, vcc_lo
	s_cbranch_execz .LBB101_46
.LBB101_112:                            ;   in Loop: Header=BB101_47 Depth=1
	ds_store_b64 v5, v[8:9] offset:49400
	s_branch .LBB101_46
.LBB101_113:
	s_or_b32 exec_lo, exec_lo, s36
	s_lshl_b64 s[0:1], s[52:53], 3
	v_mov_b32_e32 v1, 0
	s_add_u32 s0, s42, s0
	s_addc_u32 s1, s43, s1
	s_mov_b32 s6, exec_lo
	s_load_b128 s[0:3], s[0:1], 0x0
	s_waitcnt lgkmcnt(0)
	s_sub_u32 s4, s2, s0
	s_subb_u32 s5, s3, s1
	s_delay_alu instid0(SALU_CYCLE_1)
	v_cmpx_gt_i64_e64 s[4:5], v[0:1]
	s_cbranch_execz .LBB101_123
; %bb.114:
	s_sub_u32 s8, s0, s46
	s_subb_u32 s9, s1, 0
	s_and_b32 s6, s4, 7
	s_sub_u32 s0, s0, s2
	s_subb_u32 s1, s1, s3
	s_mov_b32 s7, 0
	v_cmp_lt_u64_e64 s12, s[0:1], -7
	s_and_b32 s2, s4, -8
	s_cmp_lg_u64 s[6:7], 0
	s_mov_b32 s3, s5
	s_cselect_b32 s13, -1, 0
	s_mov_b32 s14, s7
	s_branch .LBB101_116
.LBB101_115:                            ;   in Loop: Header=BB101_116 Depth=1
	s_waitcnt lgkmcnt(1)
	v_add_co_u32 v2, vcc_lo, v2, s46
	v_lshlrev_b64 v[7:8], 3, v[4:5]
	v_add_co_ci_u32_e32 v3, vcc_lo, 0, v3, vcc_lo
	v_add_co_u32 v0, vcc_lo, 0x400, v0
	v_add_co_ci_u32_e32 v1, vcc_lo, 0, v1, vcc_lo
	v_lshlrev_b64 v[4:5], 2, v[4:5]
	v_add_co_u32 v7, vcc_lo, s48, v7
	v_add_co_ci_u32_e32 v8, vcc_lo, s49, v8, vcc_lo
	s_delay_alu instid0(VALU_DEP_4) | instskip(NEXT) | instid1(VALU_DEP_4)
	v_cmp_le_i64_e32 vcc_lo, s[4:5], v[0:1]
	v_add_co_u32 v4, s0, s50, v4
	s_delay_alu instid0(VALU_DEP_1) | instskip(SKIP_4) | instid1(SALU_CYCLE_1)
	v_add_co_ci_u32_e64 v5, s0, s51, v5, s0
	global_store_b64 v[7:8], v[2:3], off
	s_waitcnt lgkmcnt(0)
	global_store_b32 v[4:5], v6, off
	s_or_b32 s14, vcc_lo, s14
	s_and_not1_b32 exec_lo, exec_lo, s14
	s_cbranch_execz .LBB101_123
.LBB101_116:                            ; =>This Loop Header: Depth=1
                                        ;     Child Loop BB101_118 Depth 2
                                        ;     Child Loop BB101_122 Depth 2
	v_lshl_add_u32 v2, v0, 3, 0
	v_lshlrev_b32_e32 v3, 2, v0
	s_and_not1_b32 vcc_lo, exec_lo, s12
	s_mov_b64 s[0:1], 0
	s_delay_alu instid0(VALU_DEP_1)
	v_sub_nc_u32_e32 v4, v2, v3
	ds_load_b64 v[2:3], v2
	ds_load_b32 v6, v4 offset:32768
	v_dual_mov_b32 v4, s8 :: v_dual_mov_b32 v5, s9
	s_cbranch_vccnz .LBB101_120
; %bb.117:                              ;   in Loop: Header=BB101_116 Depth=1
	v_dual_mov_b32 v4, s8 :: v_dual_mov_b32 v5, s9
	s_mov_b64 s[10:11], 0
	s_mov_b32 s1, 0
.LBB101_118:                            ;   Parent Loop BB101_116 Depth=1
                                        ; =>  This Inner Loop Header: Depth=2
	s_delay_alu instid0(SALU_CYCLE_1)
	v_mov_b32_e32 v19, s1
	s_add_u32 s10, s10, 8
	s_addc_u32 s11, s11, 0
	s_add_i32 s1, s1, 64
	s_cmp_eq_u64 s[2:3], s[10:11]
	ds_load_2addr_b64 v[7:10], v19 offset1:1
	ds_load_2addr_b64 v[11:14], v19 offset0:2 offset1:3
	ds_load_2addr_b64 v[15:18], v19 offset0:4 offset1:5
	;; [unrolled: 1-line block ×3, first 2 shown]
	s_waitcnt lgkmcnt(3)
	v_cmp_gt_i64_e32 vcc_lo, v[2:3], v[7:8]
	v_cndmask_b32_e64 v7, 0, 1, vcc_lo
	v_cmp_gt_i64_e32 vcc_lo, v[2:3], v[9:10]
	v_cndmask_b32_e64 v8, 0, 1, vcc_lo
	s_waitcnt lgkmcnt(2)
	v_cmp_gt_i64_e32 vcc_lo, v[2:3], v[11:12]
	v_cndmask_b32_e64 v9, 0, 1, vcc_lo
	v_cmp_gt_i64_e32 vcc_lo, v[2:3], v[13:14]
	v_cndmask_b32_e64 v10, 0, 1, vcc_lo
	s_waitcnt lgkmcnt(1)
	v_cmp_gt_i64_e32 vcc_lo, v[2:3], v[15:16]
	v_cndmask_b32_e64 v11, 0, 1, vcc_lo
	v_add_co_u32 v4, vcc_lo, v4, v7
	v_add_co_ci_u32_e32 v5, vcc_lo, 0, v5, vcc_lo
	v_cmp_gt_i64_e32 vcc_lo, v[2:3], v[17:18]
	s_delay_alu instid0(VALU_DEP_3) | instskip(NEXT) | instid1(VALU_DEP_1)
	v_add_co_u32 v4, s0, v4, v8
	v_add_co_ci_u32_e64 v5, s0, 0, v5, s0
	v_cndmask_b32_e64 v7, 0, 1, vcc_lo
	s_delay_alu instid0(VALU_DEP_3) | instskip(NEXT) | instid1(VALU_DEP_3)
	v_add_co_u32 v4, vcc_lo, v4, v9
	v_add_co_ci_u32_e32 v5, vcc_lo, 0, v5, vcc_lo
	s_waitcnt lgkmcnt(0)
	v_cmp_gt_i64_e32 vcc_lo, v[2:3], v[19:20]
	s_delay_alu instid0(VALU_DEP_3) | instskip(NEXT) | instid1(VALU_DEP_1)
	v_add_co_u32 v4, s0, v4, v10
	v_add_co_ci_u32_e64 v5, s0, 0, v5, s0
	v_cndmask_b32_e64 v8, 0, 1, vcc_lo
	s_delay_alu instid0(VALU_DEP_3) | instskip(NEXT) | instid1(VALU_DEP_3)
	v_add_co_u32 v4, vcc_lo, v4, v11
	v_add_co_ci_u32_e32 v5, vcc_lo, 0, v5, vcc_lo
	v_cmp_gt_i64_e32 vcc_lo, v[2:3], v[21:22]
	s_delay_alu instid0(VALU_DEP_3) | instskip(NEXT) | instid1(VALU_DEP_1)
	v_add_co_u32 v4, s0, v4, v7
	v_add_co_ci_u32_e64 v5, s0, 0, v5, s0
	v_cndmask_b32_e64 v7, 0, 1, vcc_lo
	s_delay_alu instid0(VALU_DEP_3) | instskip(NEXT) | instid1(VALU_DEP_3)
	v_add_co_u32 v4, vcc_lo, v4, v8
	v_add_co_ci_u32_e32 v5, vcc_lo, 0, v5, vcc_lo
	s_delay_alu instid0(VALU_DEP_2) | instskip(NEXT) | instid1(VALU_DEP_2)
	v_add_co_u32 v4, vcc_lo, v4, v7
	v_add_co_ci_u32_e32 v5, vcc_lo, 0, v5, vcc_lo
	s_cbranch_scc0 .LBB101_118
; %bb.119:                              ;   in Loop: Header=BB101_116 Depth=1
	s_mov_b64 s[0:1], s[2:3]
.LBB101_120:                            ;   in Loop: Header=BB101_116 Depth=1
	s_and_not1_b32 vcc_lo, exec_lo, s13
	s_cbranch_vccnz .LBB101_115
; %bb.121:                              ;   in Loop: Header=BB101_116 Depth=1
	s_lshl_b32 s0, s0, 3
	s_delay_alu instid0(SALU_CYCLE_1)
	s_add_i32 s10, s0, 0
	s_mov_b64 s[0:1], s[6:7]
.LBB101_122:                            ;   Parent Loop BB101_116 Depth=1
                                        ; =>  This Inner Loop Header: Depth=2
	v_mov_b32_e32 v7, s10
	s_add_i32 s10, s10, 8
	s_add_u32 s0, s0, -1
	s_addc_u32 s1, s1, -1
	s_delay_alu instid0(SALU_CYCLE_1) | instskip(SKIP_4) | instid1(VALU_DEP_1)
	s_cmp_lg_u64 s[0:1], 0
	ds_load_b64 v[7:8], v7
	s_waitcnt lgkmcnt(0)
	v_cmp_gt_i64_e32 vcc_lo, v[2:3], v[7:8]
	v_cndmask_b32_e64 v7, 0, 1, vcc_lo
	v_add_co_u32 v4, vcc_lo, v4, v7
	v_add_co_ci_u32_e32 v5, vcc_lo, 0, v5, vcc_lo
	s_cbranch_scc1 .LBB101_122
	s_branch .LBB101_115
.LBB101_123:
	s_nop 0
	s_sendmsg sendmsg(MSG_DEALLOC_VGPRS)
	s_endpgm
	.section	.rodata,"a",@progbits
	.p2align	6, 0x0
	.amdhsa_kernel _ZN9rocsparseL26csrgemm_fill_block_per_rowILj1024ELj64ELj4096ELj137ELj32EllfEEvT5_PKS1_S3_NS_24const_host_device_scalarIT6_EEPKT4_S3_PKS5_S9_S3_SB_S6_S9_S3_SB_S9_PS1_PS5_21rocsparse_index_base_SE_SE_SE_bbb
		.amdhsa_group_segment_fixed_size 0
		.amdhsa_private_segment_fixed_size 0
		.amdhsa_kernarg_size 156
		.amdhsa_user_sgpr_count 15
		.amdhsa_user_sgpr_dispatch_ptr 0
		.amdhsa_user_sgpr_queue_ptr 0
		.amdhsa_user_sgpr_kernarg_segment_ptr 1
		.amdhsa_user_sgpr_dispatch_id 0
		.amdhsa_user_sgpr_private_segment_size 0
		.amdhsa_wavefront_size32 1
		.amdhsa_uses_dynamic_stack 0
		.amdhsa_enable_private_segment 0
		.amdhsa_system_sgpr_workgroup_id_x 1
		.amdhsa_system_sgpr_workgroup_id_y 0
		.amdhsa_system_sgpr_workgroup_id_z 0
		.amdhsa_system_sgpr_workgroup_info 0
		.amdhsa_system_vgpr_workitem_id 0
		.amdhsa_next_free_vgpr 23
		.amdhsa_next_free_sgpr 54
		.amdhsa_reserve_vcc 1
		.amdhsa_float_round_mode_32 0
		.amdhsa_float_round_mode_16_64 0
		.amdhsa_float_denorm_mode_32 3
		.amdhsa_float_denorm_mode_16_64 3
		.amdhsa_dx10_clamp 1
		.amdhsa_ieee_mode 1
		.amdhsa_fp16_overflow 0
		.amdhsa_workgroup_processor_mode 1
		.amdhsa_memory_ordered 1
		.amdhsa_forward_progress 0
		.amdhsa_shared_vgpr_count 0
		.amdhsa_exception_fp_ieee_invalid_op 0
		.amdhsa_exception_fp_denorm_src 0
		.amdhsa_exception_fp_ieee_div_zero 0
		.amdhsa_exception_fp_ieee_overflow 0
		.amdhsa_exception_fp_ieee_underflow 0
		.amdhsa_exception_fp_ieee_inexact 0
		.amdhsa_exception_int_div_zero 0
	.end_amdhsa_kernel
	.section	.text._ZN9rocsparseL26csrgemm_fill_block_per_rowILj1024ELj64ELj4096ELj137ELj32EllfEEvT5_PKS1_S3_NS_24const_host_device_scalarIT6_EEPKT4_S3_PKS5_S9_S3_SB_S6_S9_S3_SB_S9_PS1_PS5_21rocsparse_index_base_SE_SE_SE_bbb,"axG",@progbits,_ZN9rocsparseL26csrgemm_fill_block_per_rowILj1024ELj64ELj4096ELj137ELj32EllfEEvT5_PKS1_S3_NS_24const_host_device_scalarIT6_EEPKT4_S3_PKS5_S9_S3_SB_S6_S9_S3_SB_S9_PS1_PS5_21rocsparse_index_base_SE_SE_SE_bbb,comdat
.Lfunc_end101:
	.size	_ZN9rocsparseL26csrgemm_fill_block_per_rowILj1024ELj64ELj4096ELj137ELj32EllfEEvT5_PKS1_S3_NS_24const_host_device_scalarIT6_EEPKT4_S3_PKS5_S9_S3_SB_S6_S9_S3_SB_S9_PS1_PS5_21rocsparse_index_base_SE_SE_SE_bbb, .Lfunc_end101-_ZN9rocsparseL26csrgemm_fill_block_per_rowILj1024ELj64ELj4096ELj137ELj32EllfEEvT5_PKS1_S3_NS_24const_host_device_scalarIT6_EEPKT4_S3_PKS5_S9_S3_SB_S6_S9_S3_SB_S9_PS1_PS5_21rocsparse_index_base_SE_SE_SE_bbb
                                        ; -- End function
	.section	.AMDGPU.csdata,"",@progbits
; Kernel info:
; codeLenInByte = 4428
; NumSgprs: 56
; NumVgprs: 23
; ScratchSize: 0
; MemoryBound: 0
; FloatMode: 240
; IeeeMode: 1
; LDSByteSize: 0 bytes/workgroup (compile time only)
; SGPRBlocks: 6
; VGPRBlocks: 2
; NumSGPRsForWavesPerEU: 56
; NumVGPRsForWavesPerEU: 23
; Occupancy: 16
; WaveLimiterHint : 1
; COMPUTE_PGM_RSRC2:SCRATCH_EN: 0
; COMPUTE_PGM_RSRC2:USER_SGPR: 15
; COMPUTE_PGM_RSRC2:TRAP_HANDLER: 0
; COMPUTE_PGM_RSRC2:TGID_X_EN: 1
; COMPUTE_PGM_RSRC2:TGID_Y_EN: 0
; COMPUTE_PGM_RSRC2:TGID_Z_EN: 0
; COMPUTE_PGM_RSRC2:TIDIG_COMP_CNT: 0
	.section	.text._ZN9rocsparseL26csrgemm_fill_block_per_rowILj1024ELj64ELj4096ELj137ELj64EllfEEvT5_PKS1_S3_NS_24const_host_device_scalarIT6_EEPKT4_S3_PKS5_S9_S3_SB_S6_S9_S3_SB_S9_PS1_PS5_21rocsparse_index_base_SE_SE_SE_bbb,"axG",@progbits,_ZN9rocsparseL26csrgemm_fill_block_per_rowILj1024ELj64ELj4096ELj137ELj64EllfEEvT5_PKS1_S3_NS_24const_host_device_scalarIT6_EEPKT4_S3_PKS5_S9_S3_SB_S6_S9_S3_SB_S9_PS1_PS5_21rocsparse_index_base_SE_SE_SE_bbb,comdat
	.globl	_ZN9rocsparseL26csrgemm_fill_block_per_rowILj1024ELj64ELj4096ELj137ELj64EllfEEvT5_PKS1_S3_NS_24const_host_device_scalarIT6_EEPKT4_S3_PKS5_S9_S3_SB_S6_S9_S3_SB_S9_PS1_PS5_21rocsparse_index_base_SE_SE_SE_bbb ; -- Begin function _ZN9rocsparseL26csrgemm_fill_block_per_rowILj1024ELj64ELj4096ELj137ELj64EllfEEvT5_PKS1_S3_NS_24const_host_device_scalarIT6_EEPKT4_S3_PKS5_S9_S3_SB_S6_S9_S3_SB_S9_PS1_PS5_21rocsparse_index_base_SE_SE_SE_bbb
	.p2align	8
	.type	_ZN9rocsparseL26csrgemm_fill_block_per_rowILj1024ELj64ELj4096ELj137ELj64EllfEEvT5_PKS1_S3_NS_24const_host_device_scalarIT6_EEPKT4_S3_PKS5_S9_S3_SB_S6_S9_S3_SB_S9_PS1_PS5_21rocsparse_index_base_SE_SE_SE_bbb,@function
_ZN9rocsparseL26csrgemm_fill_block_per_rowILj1024ELj64ELj4096ELj137ELj64EllfEEvT5_PKS1_S3_NS_24const_host_device_scalarIT6_EEPKT4_S3_PKS5_S9_S3_SB_S6_S9_S3_SB_S9_PS1_PS5_21rocsparse_index_base_SE_SE_SE_bbb: ; @_ZN9rocsparseL26csrgemm_fill_block_per_rowILj1024ELj64ELj4096ELj137ELj64EllfEEvT5_PKS1_S3_NS_24const_host_device_scalarIT6_EEPKT4_S3_PKS5_S9_S3_SB_S6_S9_S3_SB_S9_PS1_PS5_21rocsparse_index_base_SE_SE_SE_bbb
; %bb.0:
	s_clause 0x3
	s_load_b32 s3, s[0:1], 0x98
	s_load_b128 s[20:23], s[0:1], 0x88
	s_load_b64 s[4:5], s[0:1], 0x18
	s_load_b64 s[34:35], s[0:1], 0x50
	s_mov_b32 s2, s15
	s_waitcnt lgkmcnt(0)
	s_bitcmp1_b32 s3, 0
	s_cselect_b32 s40, -1, 0
	s_bitcmp1_b32 s3, 16
	s_cselect_b32 s41, -1, 0
	s_xor_b32 s6, s40, -1
	s_delay_alu instid0(SALU_CYCLE_1) | instskip(NEXT) | instid1(SALU_CYCLE_1)
	s_or_b32 s6, s6, s41
	s_and_b32 vcc_lo, exec_lo, s6
	s_cbranch_vccnz .LBB102_2
; %bb.1:
	s_load_b32 s4, s[4:5], 0x0
	s_waitcnt lgkmcnt(0)
	v_mov_b32_e32 v16, s4
	s_branch .LBB102_3
.LBB102_2:
	v_cndmask_b32_e64 v16, 0, s4, s40
.LBB102_3:
	s_clause 0x4
	s_load_b128 s[24:27], s[0:1], 0x78
	s_load_b256 s[12:19], s[0:1], 0x58
	s_load_b128 s[28:31], s[0:1], 0x40
	s_load_b128 s[36:39], s[0:1], 0x8
	s_load_b256 s[4:11], s[0:1], 0x20
	s_bitcmp1_b32 s3, 8
	s_cselect_b32 s33, -1, 0
	s_delay_alu instid0(SALU_CYCLE_1) | instskip(NEXT) | instid1(SALU_CYCLE_1)
	s_xor_b32 s3, s33, -1
	s_or_b32 s3, s3, s41
	s_delay_alu instid0(SALU_CYCLE_1)
	s_and_b32 vcc_lo, exec_lo, s3
	s_cbranch_vccnz .LBB102_5
; %bb.4:
	s_load_b32 s3, s[34:35], 0x0
	s_waitcnt lgkmcnt(0)
	v_mov_b32_e32 v14, s3
	s_branch .LBB102_6
.LBB102_5:
	v_cndmask_b32_e64 v14, 0, s34, s33
.LBB102_6:
	s_load_b64 s[34:35], s[0:1], 0x0
	v_lshl_add_u32 v11, v0, 3, 0
	v_lshlrev_b32_e32 v1, 2, v0
	v_or_b32_e32 v12, 0xfffffc00, v0
	v_mov_b32_e32 v3, 0
	s_mov_b32 s0, 0
	v_mov_b32_e32 v4, v11
	v_add3_u32 v13, v1, 0, 0x8000
	s_delay_alu instid0(VALU_DEP_1)
	v_dual_mov_b32 v5, v12 :: v_dual_mov_b32 v6, v13
	s_waitcnt lgkmcnt(0)
	v_dual_mov_b32 v1, s34 :: v_dual_mov_b32 v2, s35
.LBB102_7:                              ; =>This Inner Loop Header: Depth=1
	s_delay_alu instid0(VALU_DEP_2)
	v_add_nc_u32_e32 v5, 0x400, v5
	ds_store_b64 v4, v[1:2]
	ds_store_b32 v6, v3
	v_add_nc_u32_e32 v6, 0x1000, v6
	v_add_nc_u32_e32 v4, 0x2000, v4
	v_cmp_lt_u32_e32 vcc_lo, 0xbff, v5
	s_or_b32 s0, vcc_lo, s0
	s_delay_alu instid0(SALU_CYCLE_1)
	s_and_not1_b32 exec_lo, exec_lo, s0
	s_cbranch_execnz .LBB102_7
; %bb.8:
	s_or_b32 exec_lo, exec_lo, s0
	s_waitcnt lgkmcnt(0)
	s_barrier
	buffer_gl0_inv
	s_load_b64 s[0:1], s[36:37], 0x0
	s_mov_b32 s3, 0
	v_lshrrev_b32_e32 v15, 6, v0
	s_waitcnt lgkmcnt(0)
	s_lshl_b64 s[0:1], s[0:1], 3
	s_delay_alu instid0(SALU_CYCLE_1) | instskip(SKIP_2) | instid1(SALU_CYCLE_1)
	s_add_u32 s36, s38, s0
	s_addc_u32 s37, s39, s1
	s_lshl_b64 s[0:1], s[2:3], 3
	s_add_u32 s0, s36, s0
	s_addc_u32 s1, s37, s1
	s_and_b32 vcc_lo, exec_lo, s40
	s_load_b64 s[36:37], s[0:1], 0x0
	s_cbranch_vccz .LBB102_28
; %bb.9:
	s_waitcnt lgkmcnt(0)
	s_lshl_b64 s[0:1], s[36:37], 3
	s_delay_alu instid0(SALU_CYCLE_1)
	s_add_u32 s0, s4, s0
	s_addc_u32 s1, s5, s1
	v_sub_co_u32 v1, s4, v15, s20
	s_load_b128 s[0:3], s[0:1], 0x0
	v_sub_co_ci_u32_e64 v2, null, 0, 0, s4
	s_waitcnt lgkmcnt(0)
	s_delay_alu instid0(VALU_DEP_2) | instskip(NEXT) | instid1(VALU_DEP_2)
	v_add_co_u32 v1, vcc_lo, s0, v1
	v_add_co_ci_u32_e32 v2, vcc_lo, s1, v2, vcc_lo
	s_sub_u32 s0, s2, s20
	s_subb_u32 s1, s3, 0
	s_mov_b32 s2, exec_lo
	s_delay_alu instid0(VALU_DEP_1)
	v_cmpx_gt_i64_e64 s[0:1], v[1:2]
	s_cbranch_execz .LBB102_27
; %bb.10:
	v_and_b32_e32 v3, 63, v0
	s_mov_b32 s4, s21
	s_delay_alu instid0(VALU_DEP_1) | instskip(NEXT) | instid1(VALU_DEP_1)
	v_sub_co_u32 v17, s3, v3, s21
	v_sub_co_ci_u32_e64 v18, null, 0, 0, s3
	s_mov_b32 s3, 0
	s_branch .LBB102_12
.LBB102_11:                             ;   in Loop: Header=BB102_12 Depth=1
	s_or_b32 exec_lo, exec_lo, s5
	v_add_co_u32 v1, vcc_lo, v1, 16
	v_add_co_ci_u32_e32 v2, vcc_lo, 0, v2, vcc_lo
	s_delay_alu instid0(VALU_DEP_1) | instskip(SKIP_1) | instid1(SALU_CYCLE_1)
	v_cmp_le_i64_e32 vcc_lo, s[0:1], v[1:2]
	s_or_b32 s3, vcc_lo, s3
	s_and_not1_b32 exec_lo, exec_lo, s3
	s_cbranch_execz .LBB102_27
.LBB102_12:                             ; =>This Loop Header: Depth=1
                                        ;     Child Loop BB102_15 Depth 2
                                        ;       Child Loop BB102_17 Depth 3
	v_lshlrev_b64 v[3:4], 3, v[1:2]
	s_mov_b32 s5, exec_lo
	s_delay_alu instid0(VALU_DEP_1) | instskip(NEXT) | instid1(VALU_DEP_2)
	v_add_co_u32 v3, vcc_lo, s6, v3
	v_add_co_ci_u32_e32 v4, vcc_lo, s7, v4, vcc_lo
	global_load_b64 v[3:4], v[3:4], off
	s_waitcnt vmcnt(0)
	v_sub_co_u32 v3, vcc_lo, v3, s20
	v_subrev_co_ci_u32_e32 v4, vcc_lo, 0, v4, vcc_lo
	s_delay_alu instid0(VALU_DEP_1) | instskip(NEXT) | instid1(VALU_DEP_1)
	v_lshlrev_b64 v[3:4], 3, v[3:4]
	v_add_co_u32 v3, vcc_lo, s10, v3
	s_delay_alu instid0(VALU_DEP_2)
	v_add_co_ci_u32_e32 v4, vcc_lo, s11, v4, vcc_lo
	global_load_b128 v[5:8], v[3:4], off
	s_waitcnt vmcnt(0)
	v_sub_co_u32 v3, vcc_lo, v7, s4
	v_subrev_co_ci_u32_e32 v4, vcc_lo, 0, v8, vcc_lo
	v_add_co_u32 v5, vcc_lo, v5, v17
	v_add_co_ci_u32_e32 v6, vcc_lo, v6, v18, vcc_lo
	s_delay_alu instid0(VALU_DEP_1)
	v_cmpx_lt_i64_e64 v[5:6], v[3:4]
	s_cbranch_execz .LBB102_11
; %bb.13:                               ;   in Loop: Header=BB102_12 Depth=1
	v_lshlrev_b64 v[7:8], 2, v[1:2]
	s_mov_b32 s21, 0
	s_delay_alu instid0(VALU_DEP_1) | instskip(NEXT) | instid1(VALU_DEP_2)
	v_add_co_u32 v7, vcc_lo, s8, v7
	v_add_co_ci_u32_e32 v8, vcc_lo, s9, v8, vcc_lo
	global_load_b32 v7, v[7:8], off
	s_waitcnt vmcnt(0)
	v_mul_f32_e32 v19, v16, v7
	s_branch .LBB102_15
.LBB102_14:                             ;   in Loop: Header=BB102_15 Depth=2
	s_or_b32 exec_lo, exec_lo, s38
	v_add_co_u32 v5, vcc_lo, v5, 64
	v_add_co_ci_u32_e32 v6, vcc_lo, 0, v6, vcc_lo
	s_delay_alu instid0(VALU_DEP_1) | instskip(SKIP_1) | instid1(SALU_CYCLE_1)
	v_cmp_ge_i64_e32 vcc_lo, v[5:6], v[3:4]
	s_or_b32 s21, vcc_lo, s21
	s_and_not1_b32 exec_lo, exec_lo, s21
	s_cbranch_execz .LBB102_11
.LBB102_15:                             ;   Parent Loop BB102_12 Depth=1
                                        ; =>  This Loop Header: Depth=2
                                        ;       Child Loop BB102_17 Depth 3
	v_lshlrev_b64 v[7:8], 3, v[5:6]
	v_lshlrev_b64 v[9:10], 2, v[5:6]
	s_mov_b32 s38, 0
	s_delay_alu instid0(VALU_DEP_2) | instskip(NEXT) | instid1(VALU_DEP_3)
	v_add_co_u32 v7, vcc_lo, s28, v7
	v_add_co_ci_u32_e32 v8, vcc_lo, s29, v8, vcc_lo
	s_delay_alu instid0(VALU_DEP_3) | instskip(NEXT) | instid1(VALU_DEP_4)
	v_add_co_u32 v9, vcc_lo, s30, v9
	v_add_co_ci_u32_e32 v10, vcc_lo, s31, v10, vcc_lo
	global_load_b64 v[7:8], v[7:8], off
	global_load_b32 v9, v[9:10], off
	s_waitcnt vmcnt(1)
	v_sub_co_u32 v7, vcc_lo, v7, s4
	v_subrev_co_ci_u32_e32 v8, vcc_lo, 0, v8, vcc_lo
	s_delay_alu instid0(VALU_DEP_2) | instskip(SKIP_1) | instid1(VALU_DEP_1)
	v_mul_lo_u32 v10, 0x89, v7
	s_waitcnt vmcnt(0)
	v_dual_mul_f32 v20, v19, v9 :: v_dual_and_b32 v21, 0xfff, v10
	s_branch .LBB102_17
.LBB102_16:                             ;   in Loop: Header=BB102_17 Depth=3
	s_or_b32 exec_lo, exec_lo, s39
	s_xor_b32 s39, s40, -1
	s_delay_alu instid0(SALU_CYCLE_1) | instskip(NEXT) | instid1(SALU_CYCLE_1)
	s_and_b32 s39, exec_lo, s39
	s_or_b32 s38, s39, s38
	s_delay_alu instid0(SALU_CYCLE_1)
	s_and_not1_b32 exec_lo, exec_lo, s38
	s_cbranch_execz .LBB102_14
.LBB102_17:                             ;   Parent Loop BB102_12 Depth=1
                                        ;     Parent Loop BB102_15 Depth=2
                                        ; =>    This Inner Loop Header: Depth=3
	s_delay_alu instid0(VALU_DEP_1)
	v_lshl_add_u32 v22, v21, 3, 0
	s_mov_b32 s39, exec_lo
                                        ; implicit-def: $sgpr40
	ds_load_b64 v[9:10], v22
	s_waitcnt lgkmcnt(0)
	v_cmpx_ne_u64_e64 v[9:10], v[7:8]
	s_xor_b32 s39, exec_lo, s39
	s_cbranch_execz .LBB102_25
; %bb.18:                               ;   in Loop: Header=BB102_17 Depth=3
	s_mov_b32 s41, exec_lo
                                        ; implicit-def: $sgpr40
	v_cmpx_ne_u64_e64 s[34:35], v[9:10]
	s_xor_b32 s41, exec_lo, s41
; %bb.19:                               ;   in Loop: Header=BB102_17 Depth=3
	v_add_nc_u32_e32 v9, 1, v21
	s_mov_b32 s40, -1
                                        ; implicit-def: $vgpr22
	s_delay_alu instid0(VALU_DEP_1)
	v_and_b32_e32 v21, 0xfff, v9
; %bb.20:                               ;   in Loop: Header=BB102_17 Depth=3
	s_and_not1_saveexec_b32 s41, s41
	s_cbranch_execz .LBB102_24
; %bb.21:                               ;   in Loop: Header=BB102_17 Depth=3
	v_dual_mov_b32 v9, s34 :: v_dual_mov_b32 v10, s35
	s_mov_b32 s42, -1
	s_mov_b32 s43, exec_lo
	ds_cmpstore_rtn_b64 v[9:10], v22, v[7:8], v[9:10]
	s_waitcnt lgkmcnt(0)
	v_cmpx_eq_u64_e64 s[34:35], v[9:10]
	s_cbranch_execz .LBB102_23
; %bb.22:                               ;   in Loop: Header=BB102_17 Depth=3
	v_lshlrev_b32_e32 v9, 2, v21
	s_xor_b32 s42, exec_lo, -1
	s_delay_alu instid0(VALU_DEP_1)
	v_sub_nc_u32_e32 v9, v22, v9
	ds_add_f32 v9, v20 offset:32768
.LBB102_23:                             ;   in Loop: Header=BB102_17 Depth=3
	s_or_b32 exec_lo, exec_lo, s43
	s_delay_alu instid0(SALU_CYCLE_1) | instskip(SKIP_1) | instid1(SALU_CYCLE_1)
	s_and_not1_b32 s40, s40, exec_lo
	s_and_b32 s42, s42, exec_lo
	s_or_b32 s40, s40, s42
.LBB102_24:                             ;   in Loop: Header=BB102_17 Depth=3
	s_or_b32 exec_lo, exec_lo, s41
	s_delay_alu instid0(SALU_CYCLE_1)
	s_and_b32 s40, s40, exec_lo
                                        ; implicit-def: $vgpr22
.LBB102_25:                             ;   in Loop: Header=BB102_17 Depth=3
	s_and_not1_saveexec_b32 s39, s39
	s_cbranch_execz .LBB102_16
; %bb.26:                               ;   in Loop: Header=BB102_17 Depth=3
	v_lshlrev_b32_e32 v9, 2, v21
	s_and_not1_b32 s40, s40, exec_lo
	s_delay_alu instid0(VALU_DEP_1)
	v_sub_nc_u32_e32 v9, v22, v9
	ds_add_f32 v9, v20 offset:32768
	s_branch .LBB102_16
.LBB102_27:
	s_or_b32 exec_lo, exec_lo, s2
.LBB102_28:
	s_delay_alu instid0(SALU_CYCLE_1)
	s_and_not1_b32 vcc_lo, exec_lo, s33
	s_cbranch_vccnz .LBB102_45
; %bb.29:
	s_waitcnt lgkmcnt(0)
	s_lshl_b64 s[0:1], s[36:37], 3
	v_sub_co_u32 v1, s4, v0, s23
	s_add_u32 s0, s12, s0
	s_addc_u32 s1, s13, s1
	v_sub_co_ci_u32_e64 v2, null, 0, 0, s4
	s_load_b128 s[0:3], s[0:1], 0x0
	s_waitcnt lgkmcnt(0)
	v_add_co_u32 v1, vcc_lo, s0, v1
	s_delay_alu instid0(VALU_DEP_2)
	v_add_co_ci_u32_e32 v2, vcc_lo, s1, v2, vcc_lo
	s_sub_u32 s0, s2, s23
	s_subb_u32 s1, s3, 0
	s_mov_b32 s2, 0
	s_mov_b32 s3, exec_lo
	v_cmpx_gt_i64_e64 s[0:1], v[1:2]
	s_cbranch_execz .LBB102_44
; %bb.30:
	s_mov_b32 s4, s23
	s_branch .LBB102_32
.LBB102_31:                             ;   in Loop: Header=BB102_32 Depth=1
	s_or_b32 exec_lo, exec_lo, s5
	v_add_co_u32 v1, vcc_lo, 0x400, v1
	v_add_co_ci_u32_e32 v2, vcc_lo, 0, v2, vcc_lo
	s_delay_alu instid0(VALU_DEP_1) | instskip(SKIP_1) | instid1(SALU_CYCLE_1)
	v_cmp_le_i64_e32 vcc_lo, s[0:1], v[1:2]
	s_or_b32 s2, vcc_lo, s2
	s_and_not1_b32 exec_lo, exec_lo, s2
	s_cbranch_execz .LBB102_44
.LBB102_32:                             ; =>This Loop Header: Depth=1
                                        ;     Child Loop BB102_34 Depth 2
	v_lshlrev_b64 v[3:4], 3, v[1:2]
	v_lshlrev_b64 v[5:6], 2, v[1:2]
	s_mov_b32 s5, 0
	s_delay_alu instid0(VALU_DEP_2) | instskip(NEXT) | instid1(VALU_DEP_3)
	v_add_co_u32 v3, vcc_lo, s14, v3
	v_add_co_ci_u32_e32 v4, vcc_lo, s15, v4, vcc_lo
	s_delay_alu instid0(VALU_DEP_3) | instskip(NEXT) | instid1(VALU_DEP_4)
	v_add_co_u32 v5, vcc_lo, s16, v5
	v_add_co_ci_u32_e32 v6, vcc_lo, s17, v6, vcc_lo
	global_load_b64 v[3:4], v[3:4], off
	global_load_b32 v5, v[5:6], off
	s_waitcnt vmcnt(1)
	v_sub_co_u32 v3, vcc_lo, v3, s4
	v_subrev_co_ci_u32_e32 v4, vcc_lo, 0, v4, vcc_lo
	s_delay_alu instid0(VALU_DEP_2) | instskip(SKIP_1) | instid1(VALU_DEP_1)
	v_mul_lo_u32 v6, 0x89, v3
	s_waitcnt vmcnt(0)
	v_dual_mul_f32 v7, v14, v5 :: v_dual_and_b32 v8, 0xfff, v6
	s_branch .LBB102_34
.LBB102_33:                             ;   in Loop: Header=BB102_34 Depth=2
	s_or_b32 exec_lo, exec_lo, s6
	s_xor_b32 s6, s7, -1
	s_delay_alu instid0(SALU_CYCLE_1) | instskip(NEXT) | instid1(SALU_CYCLE_1)
	s_and_b32 s6, exec_lo, s6
	s_or_b32 s5, s6, s5
	s_delay_alu instid0(SALU_CYCLE_1)
	s_and_not1_b32 exec_lo, exec_lo, s5
	s_cbranch_execz .LBB102_31
.LBB102_34:                             ;   Parent Loop BB102_32 Depth=1
                                        ; =>  This Inner Loop Header: Depth=2
	s_delay_alu instid0(VALU_DEP_1)
	v_lshl_add_u32 v9, v8, 3, 0
	s_mov_b32 s6, exec_lo
                                        ; implicit-def: $sgpr7
	ds_load_b64 v[5:6], v9
	s_waitcnt lgkmcnt(0)
	v_cmpx_ne_u64_e64 v[5:6], v[3:4]
	s_xor_b32 s6, exec_lo, s6
	s_cbranch_execz .LBB102_42
; %bb.35:                               ;   in Loop: Header=BB102_34 Depth=2
	s_mov_b32 s8, exec_lo
                                        ; implicit-def: $sgpr7
	v_cmpx_ne_u64_e64 s[34:35], v[5:6]
	s_xor_b32 s8, exec_lo, s8
; %bb.36:                               ;   in Loop: Header=BB102_34 Depth=2
	v_add_nc_u32_e32 v5, 1, v8
	s_mov_b32 s7, -1
                                        ; implicit-def: $vgpr9
	s_delay_alu instid0(VALU_DEP_1)
	v_and_b32_e32 v8, 0xfff, v5
; %bb.37:                               ;   in Loop: Header=BB102_34 Depth=2
	s_and_not1_saveexec_b32 s8, s8
	s_cbranch_execz .LBB102_41
; %bb.38:                               ;   in Loop: Header=BB102_34 Depth=2
	v_dual_mov_b32 v5, s34 :: v_dual_mov_b32 v6, s35
	s_mov_b32 s9, -1
	s_mov_b32 s10, exec_lo
	ds_cmpstore_rtn_b64 v[5:6], v9, v[3:4], v[5:6]
	s_waitcnt lgkmcnt(0)
	v_cmpx_eq_u64_e64 s[34:35], v[5:6]
	s_cbranch_execz .LBB102_40
; %bb.39:                               ;   in Loop: Header=BB102_34 Depth=2
	v_lshlrev_b32_e32 v5, 2, v8
	s_xor_b32 s9, exec_lo, -1
	s_delay_alu instid0(VALU_DEP_1)
	v_sub_nc_u32_e32 v5, v9, v5
	ds_add_f32 v5, v7 offset:32768
.LBB102_40:                             ;   in Loop: Header=BB102_34 Depth=2
	s_or_b32 exec_lo, exec_lo, s10
	s_delay_alu instid0(SALU_CYCLE_1) | instskip(SKIP_1) | instid1(SALU_CYCLE_1)
	s_and_not1_b32 s7, s7, exec_lo
	s_and_b32 s9, s9, exec_lo
	s_or_b32 s7, s7, s9
.LBB102_41:                             ;   in Loop: Header=BB102_34 Depth=2
	s_or_b32 exec_lo, exec_lo, s8
	s_delay_alu instid0(SALU_CYCLE_1)
	s_and_b32 s7, s7, exec_lo
                                        ; implicit-def: $vgpr9
.LBB102_42:                             ;   in Loop: Header=BB102_34 Depth=2
	s_and_not1_saveexec_b32 s6, s6
	s_cbranch_execz .LBB102_33
; %bb.43:                               ;   in Loop: Header=BB102_34 Depth=2
	v_lshlrev_b32_e32 v5, 2, v8
	s_and_not1_b32 s7, s7, exec_lo
	s_delay_alu instid0(VALU_DEP_1)
	v_sub_nc_u32_e32 v5, v9, v5
	ds_add_f32 v5, v7 offset:32768
	s_branch .LBB102_33
.LBB102_44:
	s_or_b32 exec_lo, exec_lo, s3
.LBB102_45:
	v_mbcnt_lo_u32_b32 v1, -1, 0
	v_lshl_add_u32 v10, v15, 3, 0
	v_cmp_eq_u32_e32 vcc_lo, 0x3ff, v0
	v_cmp_lt_u32_e64 s0, 63, v0
	v_cmp_lt_u32_e64 s1, 0x7f, v0
	v_xor_b32_e32 v1, 63, v1
	v_cmp_lt_u32_e64 s2, 0xbf, v0
	v_cmp_lt_u32_e64 s3, 0xff, v0
	;; [unrolled: 1-line block ×4, first 2 shown]
	v_lshrrev_b64 v[1:2], v1, -1
	v_dual_mov_b32 v2, 0 :: v_dual_mov_b32 v5, 0
	v_cmp_lt_u32_e64 s6, 0x1bf, v0
	v_cmp_lt_u32_e64 s7, 0x1ff, v0
	v_cmp_lt_u32_e64 s8, 0x23f, v0
	v_cmp_lt_u32_e64 s9, 0x27f, v0
	v_cmp_lt_u32_e64 s10, 0x2bf, v0
	v_cmp_lt_u32_e64 s11, 0x2ff, v0
	v_cmp_lt_u32_e64 s12, 0x33f, v0
	v_cmp_lt_u32_e64 s13, 0x37f, v0
	v_cmp_lt_u32_e64 s14, 0x3bf, v0
	v_mov_b32_e32 v3, 0
	s_mov_b32 s17, 0
	s_waitcnt lgkmcnt(0)
	s_barrier
	buffer_gl0_inv
	s_branch .LBB102_47
.LBB102_46:                             ;   in Loop: Header=BB102_47 Depth=1
	s_or_b32 exec_lo, exec_lo, s15
	s_waitcnt lgkmcnt(0)
	s_barrier
	buffer_gl0_inv
	ds_load_b64 v[6:7], v5 offset:49272
	v_add_nc_u32_e32 v12, 0x400, v12
	v_add_nc_u32_e32 v13, 0x1000, v13
	;; [unrolled: 1-line block ×3, first 2 shown]
	s_delay_alu instid0(VALU_DEP_3) | instskip(NEXT) | instid1(VALU_DEP_1)
	v_cmp_lt_u32_e64 s15, 0xbff, v12
	s_or_b32 s17, s15, s17
	s_waitcnt lgkmcnt(0)
	v_add_co_u32 v2, s16, v6, v2
	s_delay_alu instid0(VALU_DEP_1)
	v_add_co_ci_u32_e64 v3, s16, v7, v3, s16
	s_and_not1_b32 exec_lo, exec_lo, s17
	s_cbranch_execz .LBB102_81
.LBB102_47:                             ; =>This Inner Loop Header: Depth=1
	ds_load_b64 v[6:7], v11
	ds_load_b32 v14, v13
	s_waitcnt lgkmcnt(0)
	s_barrier
	buffer_gl0_inv
	v_cmp_gt_i64_e64 s15, s[34:35], v[6:7]
	s_delay_alu instid0(VALU_DEP_1) | instskip(SKIP_1) | instid1(SALU_CYCLE_1)
	v_and_b32_e32 v8, s15, v1
	s_bcnt1_i32_b32 s16, s15
	v_mov_b32_e32 v4, s16
	s_delay_alu instid0(VALU_DEP_2)
	v_bcnt_u32_b32 v8, v8, 0
	ds_store_b64 v10, v[4:5] offset:49152
	s_waitcnt lgkmcnt(0)
	s_barrier
	buffer_gl0_inv
	s_and_saveexec_b32 s16, s0
	s_cbranch_execnz .LBB102_64
; %bb.48:                               ;   in Loop: Header=BB102_47 Depth=1
	s_or_b32 exec_lo, exec_lo, s16
	s_and_saveexec_b32 s16, s1
	s_cbranch_execnz .LBB102_65
.LBB102_49:                             ;   in Loop: Header=BB102_47 Depth=1
	s_or_b32 exec_lo, exec_lo, s16
	s_and_saveexec_b32 s16, s2
	s_cbranch_execnz .LBB102_66
.LBB102_50:                             ;   in Loop: Header=BB102_47 Depth=1
	s_or_b32 exec_lo, exec_lo, s16
	s_and_saveexec_b32 s16, s3
	s_cbranch_execnz .LBB102_67
.LBB102_51:                             ;   in Loop: Header=BB102_47 Depth=1
	s_or_b32 exec_lo, exec_lo, s16
	s_and_saveexec_b32 s16, s4
	s_cbranch_execnz .LBB102_68
.LBB102_52:                             ;   in Loop: Header=BB102_47 Depth=1
	s_or_b32 exec_lo, exec_lo, s16
	s_and_saveexec_b32 s16, s5
	s_cbranch_execnz .LBB102_69
.LBB102_53:                             ;   in Loop: Header=BB102_47 Depth=1
	s_or_b32 exec_lo, exec_lo, s16
	s_and_saveexec_b32 s16, s6
	s_cbranch_execnz .LBB102_70
.LBB102_54:                             ;   in Loop: Header=BB102_47 Depth=1
	s_or_b32 exec_lo, exec_lo, s16
	s_and_saveexec_b32 s16, s7
	s_cbranch_execnz .LBB102_71
.LBB102_55:                             ;   in Loop: Header=BB102_47 Depth=1
	s_or_b32 exec_lo, exec_lo, s16
	s_and_saveexec_b32 s16, s8
	s_cbranch_execnz .LBB102_72
.LBB102_56:                             ;   in Loop: Header=BB102_47 Depth=1
	s_or_b32 exec_lo, exec_lo, s16
	s_and_saveexec_b32 s16, s9
	s_cbranch_execnz .LBB102_73
.LBB102_57:                             ;   in Loop: Header=BB102_47 Depth=1
	s_or_b32 exec_lo, exec_lo, s16
	s_and_saveexec_b32 s16, s10
	s_cbranch_execnz .LBB102_74
.LBB102_58:                             ;   in Loop: Header=BB102_47 Depth=1
	s_or_b32 exec_lo, exec_lo, s16
	s_and_saveexec_b32 s16, s11
	s_cbranch_execnz .LBB102_75
.LBB102_59:                             ;   in Loop: Header=BB102_47 Depth=1
	s_or_b32 exec_lo, exec_lo, s16
	s_and_saveexec_b32 s16, s12
	s_cbranch_execnz .LBB102_76
.LBB102_60:                             ;   in Loop: Header=BB102_47 Depth=1
	s_or_b32 exec_lo, exec_lo, s16
	s_and_saveexec_b32 s16, s13
	s_cbranch_execnz .LBB102_77
.LBB102_61:                             ;   in Loop: Header=BB102_47 Depth=1
	s_or_b32 exec_lo, exec_lo, s16
	s_and_saveexec_b32 s16, s14
	s_cbranch_execnz .LBB102_78
.LBB102_62:                             ;   in Loop: Header=BB102_47 Depth=1
	s_or_b32 exec_lo, exec_lo, s16
	v_ashrrev_i32_e32 v9, 31, v8
	s_and_saveexec_b32 s16, s15
	s_cbranch_execnz .LBB102_79
.LBB102_63:                             ;   in Loop: Header=BB102_47 Depth=1
	s_or_b32 exec_lo, exec_lo, s16
	s_and_saveexec_b32 s15, vcc_lo
	s_cbranch_execz .LBB102_46
	s_branch .LBB102_80
.LBB102_64:                             ;   in Loop: Header=BB102_47 Depth=1
	ds_load_b32 v4, v5 offset:49152
	s_waitcnt lgkmcnt(0)
	v_add_nc_u32_e32 v8, v4, v8
	s_or_b32 exec_lo, exec_lo, s16
	s_and_saveexec_b32 s16, s1
	s_cbranch_execz .LBB102_49
.LBB102_65:                             ;   in Loop: Header=BB102_47 Depth=1
	ds_load_b32 v4, v5 offset:49160
	s_waitcnt lgkmcnt(0)
	v_add_nc_u32_e32 v8, v8, v4
	s_or_b32 exec_lo, exec_lo, s16
	s_and_saveexec_b32 s16, s2
	s_cbranch_execz .LBB102_50
.LBB102_66:                             ;   in Loop: Header=BB102_47 Depth=1
	ds_load_b32 v4, v5 offset:49168
	s_waitcnt lgkmcnt(0)
	v_add_nc_u32_e32 v8, v8, v4
	s_or_b32 exec_lo, exec_lo, s16
	s_and_saveexec_b32 s16, s3
	s_cbranch_execz .LBB102_51
.LBB102_67:                             ;   in Loop: Header=BB102_47 Depth=1
	ds_load_b32 v4, v5 offset:49176
	s_waitcnt lgkmcnt(0)
	v_add_nc_u32_e32 v8, v8, v4
	s_or_b32 exec_lo, exec_lo, s16
	s_and_saveexec_b32 s16, s4
	s_cbranch_execz .LBB102_52
.LBB102_68:                             ;   in Loop: Header=BB102_47 Depth=1
	ds_load_b32 v4, v5 offset:49184
	s_waitcnt lgkmcnt(0)
	v_add_nc_u32_e32 v8, v8, v4
	s_or_b32 exec_lo, exec_lo, s16
	s_and_saveexec_b32 s16, s5
	s_cbranch_execz .LBB102_53
.LBB102_69:                             ;   in Loop: Header=BB102_47 Depth=1
	ds_load_b32 v4, v5 offset:49192
	s_waitcnt lgkmcnt(0)
	v_add_nc_u32_e32 v8, v8, v4
	s_or_b32 exec_lo, exec_lo, s16
	s_and_saveexec_b32 s16, s6
	s_cbranch_execz .LBB102_54
.LBB102_70:                             ;   in Loop: Header=BB102_47 Depth=1
	ds_load_b32 v4, v5 offset:49200
	s_waitcnt lgkmcnt(0)
	v_add_nc_u32_e32 v8, v8, v4
	s_or_b32 exec_lo, exec_lo, s16
	s_and_saveexec_b32 s16, s7
	s_cbranch_execz .LBB102_55
.LBB102_71:                             ;   in Loop: Header=BB102_47 Depth=1
	ds_load_b32 v4, v5 offset:49208
	s_waitcnt lgkmcnt(0)
	v_add_nc_u32_e32 v8, v8, v4
	s_or_b32 exec_lo, exec_lo, s16
	s_and_saveexec_b32 s16, s8
	s_cbranch_execz .LBB102_56
.LBB102_72:                             ;   in Loop: Header=BB102_47 Depth=1
	ds_load_b32 v4, v5 offset:49216
	s_waitcnt lgkmcnt(0)
	v_add_nc_u32_e32 v8, v8, v4
	s_or_b32 exec_lo, exec_lo, s16
	s_and_saveexec_b32 s16, s9
	s_cbranch_execz .LBB102_57
.LBB102_73:                             ;   in Loop: Header=BB102_47 Depth=1
	ds_load_b32 v4, v5 offset:49224
	s_waitcnt lgkmcnt(0)
	v_add_nc_u32_e32 v8, v8, v4
	s_or_b32 exec_lo, exec_lo, s16
	s_and_saveexec_b32 s16, s10
	s_cbranch_execz .LBB102_58
.LBB102_74:                             ;   in Loop: Header=BB102_47 Depth=1
	ds_load_b32 v4, v5 offset:49232
	s_waitcnt lgkmcnt(0)
	v_add_nc_u32_e32 v8, v8, v4
	s_or_b32 exec_lo, exec_lo, s16
	s_and_saveexec_b32 s16, s11
	s_cbranch_execz .LBB102_59
.LBB102_75:                             ;   in Loop: Header=BB102_47 Depth=1
	ds_load_b32 v4, v5 offset:49240
	s_waitcnt lgkmcnt(0)
	v_add_nc_u32_e32 v8, v8, v4
	s_or_b32 exec_lo, exec_lo, s16
	s_and_saveexec_b32 s16, s12
	s_cbranch_execz .LBB102_60
.LBB102_76:                             ;   in Loop: Header=BB102_47 Depth=1
	ds_load_b32 v4, v5 offset:49248
	s_waitcnt lgkmcnt(0)
	v_add_nc_u32_e32 v8, v8, v4
	s_or_b32 exec_lo, exec_lo, s16
	s_and_saveexec_b32 s16, s13
	s_cbranch_execz .LBB102_61
.LBB102_77:                             ;   in Loop: Header=BB102_47 Depth=1
	ds_load_b32 v4, v5 offset:49256
	s_waitcnt lgkmcnt(0)
	v_add_nc_u32_e32 v8, v8, v4
	s_or_b32 exec_lo, exec_lo, s16
	s_and_saveexec_b32 s16, s14
	s_cbranch_execz .LBB102_62
.LBB102_78:                             ;   in Loop: Header=BB102_47 Depth=1
	ds_load_b32 v4, v5 offset:49264
	s_waitcnt lgkmcnt(0)
	v_add_nc_u32_e32 v8, v8, v4
	s_or_b32 exec_lo, exec_lo, s16
	s_delay_alu instid0(VALU_DEP_1)
	v_ashrrev_i32_e32 v9, 31, v8
	s_and_saveexec_b32 s16, s15
	s_cbranch_execz .LBB102_63
.LBB102_79:                             ;   in Loop: Header=BB102_47 Depth=1
	v_add3_u32 v4, v2, -1, v8
	s_delay_alu instid0(VALU_DEP_1)
	v_lshl_add_u32 v15, v4, 3, 0
	v_lshl_add_u32 v4, v4, 2, 0
	ds_store_b64 v15, v[6:7]
	ds_store_b32 v4, v14 offset:32768
	s_or_b32 exec_lo, exec_lo, s16
	s_and_saveexec_b32 s15, vcc_lo
	s_cbranch_execz .LBB102_46
.LBB102_80:                             ;   in Loop: Header=BB102_47 Depth=1
	ds_store_b64 v5, v[8:9] offset:49272
	s_branch .LBB102_46
.LBB102_81:
	s_or_b32 exec_lo, exec_lo, s17
	s_lshl_b64 s[0:1], s[36:37], 3
	v_mov_b32_e32 v1, 0
	s_add_u32 s0, s18, s0
	s_addc_u32 s1, s19, s1
	s_mov_b32 s6, exec_lo
	s_load_b128 s[0:3], s[0:1], 0x0
	s_waitcnt lgkmcnt(0)
	s_sub_u32 s4, s2, s0
	s_subb_u32 s5, s3, s1
	s_delay_alu instid0(SALU_CYCLE_1)
	v_cmpx_gt_i64_e64 s[4:5], v[0:1]
	s_cbranch_execz .LBB102_91
; %bb.82:
	s_sub_u32 s8, s0, s22
	s_subb_u32 s9, s1, 0
	s_and_b32 s6, s4, 7
	s_sub_u32 s0, s0, s2
	s_subb_u32 s1, s1, s3
	s_mov_b32 s7, 0
	v_cmp_lt_u64_e64 s12, s[0:1], -7
	s_and_b32 s2, s4, -8
	s_cmp_lg_u64 s[6:7], 0
	s_mov_b32 s3, s5
	s_cselect_b32 s13, -1, 0
	s_mov_b32 s14, s7
	s_branch .LBB102_84
.LBB102_83:                             ;   in Loop: Header=BB102_84 Depth=1
	s_waitcnt lgkmcnt(1)
	v_add_co_u32 v2, vcc_lo, v2, s22
	v_lshlrev_b64 v[7:8], 3, v[4:5]
	v_add_co_ci_u32_e32 v3, vcc_lo, 0, v3, vcc_lo
	v_add_co_u32 v0, vcc_lo, 0x400, v0
	v_add_co_ci_u32_e32 v1, vcc_lo, 0, v1, vcc_lo
	v_lshlrev_b64 v[4:5], 2, v[4:5]
	v_add_co_u32 v7, vcc_lo, s24, v7
	v_add_co_ci_u32_e32 v8, vcc_lo, s25, v8, vcc_lo
	s_delay_alu instid0(VALU_DEP_4) | instskip(NEXT) | instid1(VALU_DEP_4)
	v_cmp_le_i64_e32 vcc_lo, s[4:5], v[0:1]
	v_add_co_u32 v4, s0, s26, v4
	s_delay_alu instid0(VALU_DEP_1) | instskip(SKIP_4) | instid1(SALU_CYCLE_1)
	v_add_co_ci_u32_e64 v5, s0, s27, v5, s0
	global_store_b64 v[7:8], v[2:3], off
	s_waitcnt lgkmcnt(0)
	global_store_b32 v[4:5], v6, off
	s_or_b32 s14, vcc_lo, s14
	s_and_not1_b32 exec_lo, exec_lo, s14
	s_cbranch_execz .LBB102_91
.LBB102_84:                             ; =>This Loop Header: Depth=1
                                        ;     Child Loop BB102_86 Depth 2
                                        ;     Child Loop BB102_90 Depth 2
	v_lshl_add_u32 v2, v0, 3, 0
	v_lshlrev_b32_e32 v3, 2, v0
	s_and_not1_b32 vcc_lo, exec_lo, s12
	s_mov_b64 s[0:1], 0
	s_delay_alu instid0(VALU_DEP_1)
	v_sub_nc_u32_e32 v4, v2, v3
	ds_load_b64 v[2:3], v2
	ds_load_b32 v6, v4 offset:32768
	v_dual_mov_b32 v4, s8 :: v_dual_mov_b32 v5, s9
	s_cbranch_vccnz .LBB102_88
; %bb.85:                               ;   in Loop: Header=BB102_84 Depth=1
	v_dual_mov_b32 v4, s8 :: v_dual_mov_b32 v5, s9
	s_mov_b64 s[10:11], 0
	s_mov_b32 s1, 0
.LBB102_86:                             ;   Parent Loop BB102_84 Depth=1
                                        ; =>  This Inner Loop Header: Depth=2
	s_delay_alu instid0(SALU_CYCLE_1)
	v_mov_b32_e32 v19, s1
	s_add_u32 s10, s10, 8
	s_addc_u32 s11, s11, 0
	s_add_i32 s1, s1, 64
	s_cmp_eq_u64 s[2:3], s[10:11]
	ds_load_2addr_b64 v[7:10], v19 offset1:1
	ds_load_2addr_b64 v[11:14], v19 offset0:2 offset1:3
	ds_load_2addr_b64 v[15:18], v19 offset0:4 offset1:5
	;; [unrolled: 1-line block ×3, first 2 shown]
	s_waitcnt lgkmcnt(3)
	v_cmp_gt_i64_e32 vcc_lo, v[2:3], v[7:8]
	v_cndmask_b32_e64 v7, 0, 1, vcc_lo
	v_cmp_gt_i64_e32 vcc_lo, v[2:3], v[9:10]
	v_cndmask_b32_e64 v8, 0, 1, vcc_lo
	s_waitcnt lgkmcnt(2)
	v_cmp_gt_i64_e32 vcc_lo, v[2:3], v[11:12]
	v_cndmask_b32_e64 v9, 0, 1, vcc_lo
	v_cmp_gt_i64_e32 vcc_lo, v[2:3], v[13:14]
	v_cndmask_b32_e64 v10, 0, 1, vcc_lo
	s_waitcnt lgkmcnt(1)
	v_cmp_gt_i64_e32 vcc_lo, v[2:3], v[15:16]
	v_cndmask_b32_e64 v11, 0, 1, vcc_lo
	v_add_co_u32 v4, vcc_lo, v4, v7
	v_add_co_ci_u32_e32 v5, vcc_lo, 0, v5, vcc_lo
	v_cmp_gt_i64_e32 vcc_lo, v[2:3], v[17:18]
	s_delay_alu instid0(VALU_DEP_3) | instskip(NEXT) | instid1(VALU_DEP_1)
	v_add_co_u32 v4, s0, v4, v8
	v_add_co_ci_u32_e64 v5, s0, 0, v5, s0
	v_cndmask_b32_e64 v7, 0, 1, vcc_lo
	s_delay_alu instid0(VALU_DEP_3) | instskip(NEXT) | instid1(VALU_DEP_3)
	v_add_co_u32 v4, vcc_lo, v4, v9
	v_add_co_ci_u32_e32 v5, vcc_lo, 0, v5, vcc_lo
	s_waitcnt lgkmcnt(0)
	v_cmp_gt_i64_e32 vcc_lo, v[2:3], v[19:20]
	s_delay_alu instid0(VALU_DEP_3) | instskip(NEXT) | instid1(VALU_DEP_1)
	v_add_co_u32 v4, s0, v4, v10
	v_add_co_ci_u32_e64 v5, s0, 0, v5, s0
	v_cndmask_b32_e64 v8, 0, 1, vcc_lo
	s_delay_alu instid0(VALU_DEP_3) | instskip(NEXT) | instid1(VALU_DEP_3)
	v_add_co_u32 v4, vcc_lo, v4, v11
	v_add_co_ci_u32_e32 v5, vcc_lo, 0, v5, vcc_lo
	v_cmp_gt_i64_e32 vcc_lo, v[2:3], v[21:22]
	s_delay_alu instid0(VALU_DEP_3) | instskip(NEXT) | instid1(VALU_DEP_1)
	v_add_co_u32 v4, s0, v4, v7
	v_add_co_ci_u32_e64 v5, s0, 0, v5, s0
	v_cndmask_b32_e64 v7, 0, 1, vcc_lo
	s_delay_alu instid0(VALU_DEP_3) | instskip(NEXT) | instid1(VALU_DEP_3)
	v_add_co_u32 v4, vcc_lo, v4, v8
	v_add_co_ci_u32_e32 v5, vcc_lo, 0, v5, vcc_lo
	s_delay_alu instid0(VALU_DEP_2) | instskip(NEXT) | instid1(VALU_DEP_2)
	v_add_co_u32 v4, vcc_lo, v4, v7
	v_add_co_ci_u32_e32 v5, vcc_lo, 0, v5, vcc_lo
	s_cbranch_scc0 .LBB102_86
; %bb.87:                               ;   in Loop: Header=BB102_84 Depth=1
	s_mov_b64 s[0:1], s[2:3]
.LBB102_88:                             ;   in Loop: Header=BB102_84 Depth=1
	s_and_not1_b32 vcc_lo, exec_lo, s13
	s_cbranch_vccnz .LBB102_83
; %bb.89:                               ;   in Loop: Header=BB102_84 Depth=1
	s_lshl_b32 s0, s0, 3
	s_delay_alu instid0(SALU_CYCLE_1)
	s_add_i32 s10, s0, 0
	s_mov_b64 s[0:1], s[6:7]
.LBB102_90:                             ;   Parent Loop BB102_84 Depth=1
                                        ; =>  This Inner Loop Header: Depth=2
	v_mov_b32_e32 v7, s10
	s_add_i32 s10, s10, 8
	s_add_u32 s0, s0, -1
	s_addc_u32 s1, s1, -1
	s_delay_alu instid0(SALU_CYCLE_1) | instskip(SKIP_4) | instid1(VALU_DEP_1)
	s_cmp_lg_u64 s[0:1], 0
	ds_load_b64 v[7:8], v7
	s_waitcnt lgkmcnt(0)
	v_cmp_gt_i64_e32 vcc_lo, v[2:3], v[7:8]
	v_cndmask_b32_e64 v7, 0, 1, vcc_lo
	v_add_co_u32 v4, vcc_lo, v4, v7
	v_add_co_ci_u32_e32 v5, vcc_lo, 0, v5, vcc_lo
	s_cbranch_scc1 .LBB102_90
	s_branch .LBB102_83
.LBB102_91:
	s_nop 0
	s_sendmsg sendmsg(MSG_DEALLOC_VGPRS)
	s_endpgm
	.section	.rodata,"a",@progbits
	.p2align	6, 0x0
	.amdhsa_kernel _ZN9rocsparseL26csrgemm_fill_block_per_rowILj1024ELj64ELj4096ELj137ELj64EllfEEvT5_PKS1_S3_NS_24const_host_device_scalarIT6_EEPKT4_S3_PKS5_S9_S3_SB_S6_S9_S3_SB_S9_PS1_PS5_21rocsparse_index_base_SE_SE_SE_bbb
		.amdhsa_group_segment_fixed_size 0
		.amdhsa_private_segment_fixed_size 0
		.amdhsa_kernarg_size 156
		.amdhsa_user_sgpr_count 15
		.amdhsa_user_sgpr_dispatch_ptr 0
		.amdhsa_user_sgpr_queue_ptr 0
		.amdhsa_user_sgpr_kernarg_segment_ptr 1
		.amdhsa_user_sgpr_dispatch_id 0
		.amdhsa_user_sgpr_private_segment_size 0
		.amdhsa_wavefront_size32 1
		.amdhsa_uses_dynamic_stack 0
		.amdhsa_enable_private_segment 0
		.amdhsa_system_sgpr_workgroup_id_x 1
		.amdhsa_system_sgpr_workgroup_id_y 0
		.amdhsa_system_sgpr_workgroup_id_z 0
		.amdhsa_system_sgpr_workgroup_info 0
		.amdhsa_system_vgpr_workitem_id 0
		.amdhsa_next_free_vgpr 23
		.amdhsa_next_free_sgpr 44
		.amdhsa_reserve_vcc 1
		.amdhsa_float_round_mode_32 0
		.amdhsa_float_round_mode_16_64 0
		.amdhsa_float_denorm_mode_32 3
		.amdhsa_float_denorm_mode_16_64 3
		.amdhsa_dx10_clamp 1
		.amdhsa_ieee_mode 1
		.amdhsa_fp16_overflow 0
		.amdhsa_workgroup_processor_mode 1
		.amdhsa_memory_ordered 1
		.amdhsa_forward_progress 0
		.amdhsa_shared_vgpr_count 0
		.amdhsa_exception_fp_ieee_invalid_op 0
		.amdhsa_exception_fp_denorm_src 0
		.amdhsa_exception_fp_ieee_div_zero 0
		.amdhsa_exception_fp_ieee_overflow 0
		.amdhsa_exception_fp_ieee_underflow 0
		.amdhsa_exception_fp_ieee_inexact 0
		.amdhsa_exception_int_div_zero 0
	.end_amdhsa_kernel
	.section	.text._ZN9rocsparseL26csrgemm_fill_block_per_rowILj1024ELj64ELj4096ELj137ELj64EllfEEvT5_PKS1_S3_NS_24const_host_device_scalarIT6_EEPKT4_S3_PKS5_S9_S3_SB_S6_S9_S3_SB_S9_PS1_PS5_21rocsparse_index_base_SE_SE_SE_bbb,"axG",@progbits,_ZN9rocsparseL26csrgemm_fill_block_per_rowILj1024ELj64ELj4096ELj137ELj64EllfEEvT5_PKS1_S3_NS_24const_host_device_scalarIT6_EEPKT4_S3_PKS5_S9_S3_SB_S6_S9_S3_SB_S9_PS1_PS5_21rocsparse_index_base_SE_SE_SE_bbb,comdat
.Lfunc_end102:
	.size	_ZN9rocsparseL26csrgemm_fill_block_per_rowILj1024ELj64ELj4096ELj137ELj64EllfEEvT5_PKS1_S3_NS_24const_host_device_scalarIT6_EEPKT4_S3_PKS5_S9_S3_SB_S6_S9_S3_SB_S9_PS1_PS5_21rocsparse_index_base_SE_SE_SE_bbb, .Lfunc_end102-_ZN9rocsparseL26csrgemm_fill_block_per_rowILj1024ELj64ELj4096ELj137ELj64EllfEEvT5_PKS1_S3_NS_24const_host_device_scalarIT6_EEPKT4_S3_PKS5_S9_S3_SB_S6_S9_S3_SB_S9_PS1_PS5_21rocsparse_index_base_SE_SE_SE_bbb
                                        ; -- End function
	.section	.AMDGPU.csdata,"",@progbits
; Kernel info:
; codeLenInByte = 3592
; NumSgprs: 46
; NumVgprs: 23
; ScratchSize: 0
; MemoryBound: 0
; FloatMode: 240
; IeeeMode: 1
; LDSByteSize: 0 bytes/workgroup (compile time only)
; SGPRBlocks: 5
; VGPRBlocks: 2
; NumSGPRsForWavesPerEU: 46
; NumVGPRsForWavesPerEU: 23
; Occupancy: 16
; WaveLimiterHint : 1
; COMPUTE_PGM_RSRC2:SCRATCH_EN: 0
; COMPUTE_PGM_RSRC2:USER_SGPR: 15
; COMPUTE_PGM_RSRC2:TRAP_HANDLER: 0
; COMPUTE_PGM_RSRC2:TGID_X_EN: 1
; COMPUTE_PGM_RSRC2:TGID_Y_EN: 0
; COMPUTE_PGM_RSRC2:TGID_Z_EN: 0
; COMPUTE_PGM_RSRC2:TIDIG_COMP_CNT: 0
	.section	.text._ZN9rocsparseL26csrgemm_fill_block_per_rowILj1024ELj64ELj8192ELj137ELj32EllfEEvT5_PKS1_S3_NS_24const_host_device_scalarIT6_EEPKT4_S3_PKS5_S9_S3_SB_S6_S9_S3_SB_S9_PS1_PS5_21rocsparse_index_base_SE_SE_SE_bbb,"axG",@progbits,_ZN9rocsparseL26csrgemm_fill_block_per_rowILj1024ELj64ELj8192ELj137ELj32EllfEEvT5_PKS1_S3_NS_24const_host_device_scalarIT6_EEPKT4_S3_PKS5_S9_S3_SB_S6_S9_S3_SB_S9_PS1_PS5_21rocsparse_index_base_SE_SE_SE_bbb,comdat
	.globl	_ZN9rocsparseL26csrgemm_fill_block_per_rowILj1024ELj64ELj8192ELj137ELj32EllfEEvT5_PKS1_S3_NS_24const_host_device_scalarIT6_EEPKT4_S3_PKS5_S9_S3_SB_S6_S9_S3_SB_S9_PS1_PS5_21rocsparse_index_base_SE_SE_SE_bbb ; -- Begin function _ZN9rocsparseL26csrgemm_fill_block_per_rowILj1024ELj64ELj8192ELj137ELj32EllfEEvT5_PKS1_S3_NS_24const_host_device_scalarIT6_EEPKT4_S3_PKS5_S9_S3_SB_S6_S9_S3_SB_S9_PS1_PS5_21rocsparse_index_base_SE_SE_SE_bbb
	.p2align	8
	.type	_ZN9rocsparseL26csrgemm_fill_block_per_rowILj1024ELj64ELj8192ELj137ELj32EllfEEvT5_PKS1_S3_NS_24const_host_device_scalarIT6_EEPKT4_S3_PKS5_S9_S3_SB_S6_S9_S3_SB_S9_PS1_PS5_21rocsparse_index_base_SE_SE_SE_bbb,@function
_ZN9rocsparseL26csrgemm_fill_block_per_rowILj1024ELj64ELj8192ELj137ELj32EllfEEvT5_PKS1_S3_NS_24const_host_device_scalarIT6_EEPKT4_S3_PKS5_S9_S3_SB_S6_S9_S3_SB_S9_PS1_PS5_21rocsparse_index_base_SE_SE_SE_bbb: ; @_ZN9rocsparseL26csrgemm_fill_block_per_rowILj1024ELj64ELj8192ELj137ELj32EllfEEvT5_PKS1_S3_NS_24const_host_device_scalarIT6_EEPKT4_S3_PKS5_S9_S3_SB_S6_S9_S3_SB_S9_PS1_PS5_21rocsparse_index_base_SE_SE_SE_bbb
; %bb.0:
	s_clause 0x4
	s_load_b32 s3, s[0:1], 0x98
	s_load_b128 s[4:7], s[0:1], 0x8
	s_load_b64 s[10:11], s[0:1], 0x18
	s_load_b128 s[36:39], s[0:1], 0x88
	s_load_b64 s[8:9], s[0:1], 0x50
	s_mov_b32 s2, s15
	s_waitcnt lgkmcnt(0)
	s_bitcmp1_b32 s3, 0
	s_cselect_b32 s12, -1, 0
	s_bitcmp1_b32 s3, 16
	s_cselect_b32 s13, -1, 0
	s_xor_b32 s14, s12, -1
	s_delay_alu instid0(SALU_CYCLE_1) | instskip(NEXT) | instid1(SALU_CYCLE_1)
	s_or_b32 s14, s14, s13
	s_and_b32 vcc_lo, exec_lo, s14
	s_cbranch_vccnz .LBB103_2
; %bb.1:
	s_load_b32 s10, s[10:11], 0x0
	s_waitcnt lgkmcnt(0)
	v_mov_b32_e32 v14, s10
	s_branch .LBB103_3
.LBB103_2:
	v_cndmask_b32_e64 v14, 0, s10, s12
.LBB103_3:
	s_bitcmp1_b32 s3, 8
	s_cselect_b32 s14, -1, 0
	s_delay_alu instid0(SALU_CYCLE_1) | instskip(NEXT) | instid1(SALU_CYCLE_1)
	s_xor_b32 s3, s14, -1
	s_or_b32 s3, s3, s13
	s_delay_alu instid0(SALU_CYCLE_1)
	s_and_b32 vcc_lo, exec_lo, s3
	s_cbranch_vccnz .LBB103_5
; %bb.4:
	s_load_b32 s3, s[8:9], 0x0
	s_waitcnt lgkmcnt(0)
	v_mov_b32_e32 v13, s3
	s_branch .LBB103_6
.LBB103_5:
	v_cndmask_b32_e64 v13, 0, s8, s14
.LBB103_6:
	s_load_b64 s[34:35], s[0:1], 0x0
	v_lshlrev_b32_e32 v1, 2, v0
	v_mov_b32_e32 v21, 0
	v_lshl_add_u32 v12, v0, 3, 0
	s_mov_b32 s3, 0
	s_delay_alu instid0(VALU_DEP_3)
	v_add3_u32 v11, 0, v1, 0x10000
	s_waitcnt lgkmcnt(0)
	v_mov_b32_e32 v1, s34
	v_dual_mov_b32 v3, s34 :: v_dual_mov_b32 v2, s35
	v_dual_mov_b32 v4, s35 :: v_dual_mov_b32 v5, s34
	;; [unrolled: 1-line block ×7, first 2 shown]
	v_mov_b32_e32 v18, s35
	ds_store_2addr_stride64_b32 v11, v21, v21 offset1:16
	ds_store_2addr_stride64_b32 v11, v21, v21 offset0:32 offset1:48
	ds_store_2addr_stride64_b32 v11, v21, v21 offset0:64 offset1:80
	;; [unrolled: 1-line block ×3, first 2 shown]
	ds_store_2addr_stride64_b64 v12, v[1:2], v[3:4] offset1:16
	ds_store_2addr_stride64_b64 v12, v[5:6], v[7:8] offset0:32 offset1:48
	ds_store_2addr_stride64_b64 v12, v[9:10], v[15:16] offset0:64 offset1:80
	ds_store_2addr_stride64_b64 v12, v[17:18], v[19:20] offset0:96 offset1:112
	s_waitcnt lgkmcnt(0)
	s_barrier
	buffer_gl0_inv
	s_load_b64 s[4:5], s[4:5], 0x0
	s_waitcnt lgkmcnt(0)
	s_lshl_b64 s[4:5], s[4:5], 3
	s_delay_alu instid0(SALU_CYCLE_1) | instskip(SKIP_2) | instid1(SALU_CYCLE_1)
	s_add_u32 s4, s6, s4
	s_addc_u32 s5, s7, s5
	s_lshl_b64 s[2:3], s[2:3], 3
	s_add_u32 s2, s4, s2
	s_addc_u32 s3, s5, s3
	s_and_not1_b32 vcc_lo, exec_lo, s12
	s_load_b64 s[44:45], s[2:3], 0x0
	s_cbranch_vccnz .LBB103_26
; %bb.7:
	s_load_b64 s[2:3], s[0:1], 0x20
	s_waitcnt lgkmcnt(0)
	s_lshl_b64 s[4:5], s[44:45], 3
	v_lshrrev_b32_e32 v1, 6, v0
	s_mov_b32 s15, exec_lo
	s_add_u32 s2, s2, s4
	s_addc_u32 s3, s3, s5
	s_load_b128 s[4:7], s[2:3], 0x0
	v_sub_co_u32 v1, s2, v1, s36
	s_delay_alu instid0(VALU_DEP_1) | instskip(SKIP_1) | instid1(VALU_DEP_2)
	v_sub_co_ci_u32_e64 v2, null, 0, 0, s2
	s_waitcnt lgkmcnt(0)
	v_add_co_u32 v1, vcc_lo, s4, v1
	s_delay_alu instid0(VALU_DEP_2)
	v_add_co_ci_u32_e32 v2, vcc_lo, s5, v2, vcc_lo
	s_sub_u32 s2, s6, s36
	s_subb_u32 s3, s7, 0
	s_delay_alu instid0(VALU_DEP_1) | instid1(SALU_CYCLE_1)
	v_cmpx_gt_i64_e64 s[2:3], v[1:2]
	s_cbranch_execz .LBB103_25
; %bb.8:
	s_clause 0x1
	s_load_b64 s[12:13], s[0:1], 0x48
	s_load_b256 s[4:11], s[0:1], 0x28
	v_and_b32_e32 v3, 63, v0
	s_mov_b32 s17, s37
	s_delay_alu instid0(VALU_DEP_1) | instskip(NEXT) | instid1(VALU_DEP_1)
	v_sub_co_u32 v15, s16, v3, s37
	v_sub_co_ci_u32_e64 v16, null, 0, 0, s16
	s_mov_b32 s16, 0
	s_branch .LBB103_10
.LBB103_9:                              ;   in Loop: Header=BB103_10 Depth=1
	s_or_b32 exec_lo, exec_lo, s18
	v_add_co_u32 v1, vcc_lo, v1, 16
	v_add_co_ci_u32_e32 v2, vcc_lo, 0, v2, vcc_lo
	s_delay_alu instid0(VALU_DEP_1) | instskip(SKIP_1) | instid1(SALU_CYCLE_1)
	v_cmp_le_i64_e32 vcc_lo, s[2:3], v[1:2]
	s_or_b32 s16, vcc_lo, s16
	s_and_not1_b32 exec_lo, exec_lo, s16
	s_cbranch_execz .LBB103_25
.LBB103_10:                             ; =>This Loop Header: Depth=1
                                        ;     Child Loop BB103_13 Depth 2
                                        ;       Child Loop BB103_15 Depth 3
	v_lshlrev_b64 v[3:4], 3, v[1:2]
	s_mov_b32 s18, exec_lo
	s_waitcnt lgkmcnt(0)
	s_delay_alu instid0(VALU_DEP_1) | instskip(NEXT) | instid1(VALU_DEP_2)
	v_add_co_u32 v3, vcc_lo, s4, v3
	v_add_co_ci_u32_e32 v4, vcc_lo, s5, v4, vcc_lo
	global_load_b64 v[3:4], v[3:4], off
	s_waitcnt vmcnt(0)
	v_sub_co_u32 v3, vcc_lo, v3, s36
	v_subrev_co_ci_u32_e32 v4, vcc_lo, 0, v4, vcc_lo
	s_delay_alu instid0(VALU_DEP_1) | instskip(NEXT) | instid1(VALU_DEP_1)
	v_lshlrev_b64 v[3:4], 3, v[3:4]
	v_add_co_u32 v3, vcc_lo, s8, v3
	s_delay_alu instid0(VALU_DEP_2)
	v_add_co_ci_u32_e32 v4, vcc_lo, s9, v4, vcc_lo
	global_load_b128 v[5:8], v[3:4], off
	s_waitcnt vmcnt(0)
	v_sub_co_u32 v3, vcc_lo, v7, s17
	v_subrev_co_ci_u32_e32 v4, vcc_lo, 0, v8, vcc_lo
	v_add_co_u32 v5, vcc_lo, v5, v15
	v_add_co_ci_u32_e32 v6, vcc_lo, v6, v16, vcc_lo
	s_delay_alu instid0(VALU_DEP_1)
	v_cmpx_lt_i64_e64 v[5:6], v[3:4]
	s_cbranch_execz .LBB103_9
; %bb.11:                               ;   in Loop: Header=BB103_10 Depth=1
	v_lshlrev_b64 v[7:8], 2, v[1:2]
	s_mov_b32 s19, 0
	s_delay_alu instid0(VALU_DEP_1) | instskip(NEXT) | instid1(VALU_DEP_2)
	v_add_co_u32 v7, vcc_lo, s6, v7
	v_add_co_ci_u32_e32 v8, vcc_lo, s7, v8, vcc_lo
	global_load_b32 v7, v[7:8], off
	s_waitcnt vmcnt(0)
	v_mul_f32_e32 v17, v14, v7
	s_branch .LBB103_13
.LBB103_12:                             ;   in Loop: Header=BB103_13 Depth=2
	s_or_b32 exec_lo, exec_lo, s20
	v_add_co_u32 v5, vcc_lo, v5, 64
	v_add_co_ci_u32_e32 v6, vcc_lo, 0, v6, vcc_lo
	s_delay_alu instid0(VALU_DEP_1) | instskip(SKIP_1) | instid1(SALU_CYCLE_1)
	v_cmp_ge_i64_e32 vcc_lo, v[5:6], v[3:4]
	s_or_b32 s19, vcc_lo, s19
	s_and_not1_b32 exec_lo, exec_lo, s19
	s_cbranch_execz .LBB103_9
.LBB103_13:                             ;   Parent Loop BB103_10 Depth=1
                                        ; =>  This Loop Header: Depth=2
                                        ;       Child Loop BB103_15 Depth 3
	v_lshlrev_b64 v[7:8], 3, v[5:6]
	v_lshlrev_b64 v[9:10], 2, v[5:6]
	s_mov_b32 s20, 0
	s_delay_alu instid0(VALU_DEP_2) | instskip(NEXT) | instid1(VALU_DEP_3)
	v_add_co_u32 v7, vcc_lo, s10, v7
	v_add_co_ci_u32_e32 v8, vcc_lo, s11, v8, vcc_lo
	s_delay_alu instid0(VALU_DEP_3) | instskip(NEXT) | instid1(VALU_DEP_4)
	v_add_co_u32 v9, vcc_lo, s12, v9
	v_add_co_ci_u32_e32 v10, vcc_lo, s13, v10, vcc_lo
	global_load_b64 v[7:8], v[7:8], off
	global_load_b32 v9, v[9:10], off
	s_waitcnt vmcnt(1)
	v_sub_co_u32 v7, vcc_lo, v7, s17
	v_subrev_co_ci_u32_e32 v8, vcc_lo, 0, v8, vcc_lo
	s_delay_alu instid0(VALU_DEP_2) | instskip(SKIP_1) | instid1(VALU_DEP_1)
	v_mul_lo_u32 v10, 0x89, v7
	s_waitcnt vmcnt(0)
	v_dual_mul_f32 v18, v17, v9 :: v_dual_and_b32 v19, 0x1fff, v10
	s_branch .LBB103_15
.LBB103_14:                             ;   in Loop: Header=BB103_15 Depth=3
	s_or_b32 exec_lo, exec_lo, s21
	s_xor_b32 s21, s22, -1
	s_delay_alu instid0(SALU_CYCLE_1) | instskip(NEXT) | instid1(SALU_CYCLE_1)
	s_and_b32 s21, exec_lo, s21
	s_or_b32 s20, s21, s20
	s_delay_alu instid0(SALU_CYCLE_1)
	s_and_not1_b32 exec_lo, exec_lo, s20
	s_cbranch_execz .LBB103_12
.LBB103_15:                             ;   Parent Loop BB103_10 Depth=1
                                        ;     Parent Loop BB103_13 Depth=2
                                        ; =>    This Inner Loop Header: Depth=3
	s_delay_alu instid0(VALU_DEP_1)
	v_lshl_add_u32 v20, v19, 3, 0
	s_mov_b32 s21, exec_lo
                                        ; implicit-def: $sgpr22
	ds_load_b64 v[9:10], v20
	s_waitcnt lgkmcnt(0)
	v_cmpx_ne_u64_e64 v[9:10], v[7:8]
	s_xor_b32 s21, exec_lo, s21
	s_cbranch_execz .LBB103_23
; %bb.16:                               ;   in Loop: Header=BB103_15 Depth=3
	s_mov_b32 s23, exec_lo
                                        ; implicit-def: $sgpr22
	v_cmpx_ne_u64_e64 s[34:35], v[9:10]
	s_xor_b32 s23, exec_lo, s23
; %bb.17:                               ;   in Loop: Header=BB103_15 Depth=3
	v_add_nc_u32_e32 v9, 1, v19
	s_mov_b32 s22, -1
                                        ; implicit-def: $vgpr20
	s_delay_alu instid0(VALU_DEP_1)
	v_and_b32_e32 v19, 0x1fff, v9
; %bb.18:                               ;   in Loop: Header=BB103_15 Depth=3
	s_and_not1_saveexec_b32 s23, s23
	s_cbranch_execz .LBB103_22
; %bb.19:                               ;   in Loop: Header=BB103_15 Depth=3
	v_dual_mov_b32 v9, s34 :: v_dual_mov_b32 v10, s35
	s_mov_b32 s24, -1
	s_mov_b32 s25, exec_lo
	ds_cmpstore_rtn_b64 v[9:10], v20, v[7:8], v[9:10]
	s_waitcnt lgkmcnt(0)
	v_cmpx_eq_u64_e64 s[34:35], v[9:10]
	s_cbranch_execz .LBB103_21
; %bb.20:                               ;   in Loop: Header=BB103_15 Depth=3
	v_lshlrev_b32_e32 v9, 2, v19
	s_xor_b32 s24, exec_lo, -1
	s_delay_alu instid0(VALU_DEP_1)
	v_add3_u32 v9, 0, v9, 0x10000
	ds_add_f32 v9, v18
.LBB103_21:                             ;   in Loop: Header=BB103_15 Depth=3
	s_or_b32 exec_lo, exec_lo, s25
	s_delay_alu instid0(SALU_CYCLE_1) | instskip(SKIP_1) | instid1(SALU_CYCLE_1)
	s_and_not1_b32 s22, s22, exec_lo
	s_and_b32 s24, s24, exec_lo
	s_or_b32 s22, s22, s24
.LBB103_22:                             ;   in Loop: Header=BB103_15 Depth=3
	s_or_b32 exec_lo, exec_lo, s23
	s_delay_alu instid0(SALU_CYCLE_1)
	s_and_b32 s22, s22, exec_lo
.LBB103_23:                             ;   in Loop: Header=BB103_15 Depth=3
	s_and_not1_saveexec_b32 s21, s21
	s_cbranch_execz .LBB103_14
; %bb.24:                               ;   in Loop: Header=BB103_15 Depth=3
	v_lshlrev_b32_e32 v9, 2, v19
	s_and_not1_b32 s22, s22, exec_lo
	s_delay_alu instid0(VALU_DEP_1)
	v_add3_u32 v9, 0, v9, 0x10000
	ds_add_f32 v9, v18
	s_branch .LBB103_14
.LBB103_25:
	s_or_b32 exec_lo, exec_lo, s15
.LBB103_26:
	s_clause 0x1
	s_load_b64 s[36:37], s[0:1], 0x80
	s_load_b128 s[40:43], s[0:1], 0x70
	s_and_not1_b32 vcc_lo, exec_lo, s14
	s_cbranch_vccnz .LBB103_43
; %bb.27:
	s_load_b64 s[2:3], s[0:1], 0x58
	s_waitcnt lgkmcnt(0)
	s_lshl_b64 s[4:5], s[44:45], 3
	s_delay_alu instid0(SALU_CYCLE_1) | instskip(SKIP_3) | instid1(VALU_DEP_1)
	s_add_u32 s2, s2, s4
	s_addc_u32 s3, s3, s5
	s_load_b128 s[4:7], s[2:3], 0x0
	v_sub_co_u32 v1, s2, v0, s39
	v_sub_co_ci_u32_e64 v2, null, 0, 0, s2
	s_waitcnt lgkmcnt(0)
	s_delay_alu instid0(VALU_DEP_2) | instskip(NEXT) | instid1(VALU_DEP_2)
	v_add_co_u32 v1, vcc_lo, s4, v1
	v_add_co_ci_u32_e32 v2, vcc_lo, s5, v2, vcc_lo
	s_sub_u32 s4, s6, s39
	s_subb_u32 s5, s7, 0
	s_mov_b32 s6, 0
	s_mov_b32 s7, exec_lo
	v_cmpx_gt_i64_e64 s[4:5], v[1:2]
	s_cbranch_execz .LBB103_42
; %bb.28:
	s_load_b128 s[0:3], s[0:1], 0x60
	s_mov_b32 s8, s39
	s_branch .LBB103_30
.LBB103_29:                             ;   in Loop: Header=BB103_30 Depth=1
	s_or_b32 exec_lo, exec_lo, s9
	v_add_co_u32 v1, vcc_lo, 0x400, v1
	v_add_co_ci_u32_e32 v2, vcc_lo, 0, v2, vcc_lo
	s_delay_alu instid0(VALU_DEP_1) | instskip(SKIP_1) | instid1(SALU_CYCLE_1)
	v_cmp_le_i64_e32 vcc_lo, s[4:5], v[1:2]
	s_or_b32 s6, vcc_lo, s6
	s_and_not1_b32 exec_lo, exec_lo, s6
	s_cbranch_execz .LBB103_42
.LBB103_30:                             ; =>This Loop Header: Depth=1
                                        ;     Child Loop BB103_32 Depth 2
	v_lshlrev_b64 v[3:4], 3, v[1:2]
	v_lshlrev_b64 v[5:6], 2, v[1:2]
	s_mov_b32 s9, 0
	s_waitcnt lgkmcnt(0)
	s_delay_alu instid0(VALU_DEP_2) | instskip(NEXT) | instid1(VALU_DEP_3)
	v_add_co_u32 v3, vcc_lo, s0, v3
	v_add_co_ci_u32_e32 v4, vcc_lo, s1, v4, vcc_lo
	s_delay_alu instid0(VALU_DEP_3)
	v_add_co_u32 v5, vcc_lo, s2, v5
	v_add_co_ci_u32_e32 v6, vcc_lo, s3, v6, vcc_lo
	global_load_b64 v[3:4], v[3:4], off
	global_load_b32 v5, v[5:6], off
	s_waitcnt vmcnt(1)
	v_sub_co_u32 v3, vcc_lo, v3, s8
	v_subrev_co_ci_u32_e32 v4, vcc_lo, 0, v4, vcc_lo
	s_delay_alu instid0(VALU_DEP_2) | instskip(SKIP_1) | instid1(VALU_DEP_1)
	v_mul_lo_u32 v6, 0x89, v3
	s_waitcnt vmcnt(0)
	v_dual_mul_f32 v7, v13, v5 :: v_dual_and_b32 v8, 0x1fff, v6
	s_branch .LBB103_32
.LBB103_31:                             ;   in Loop: Header=BB103_32 Depth=2
	s_or_b32 exec_lo, exec_lo, s10
	s_xor_b32 s10, s11, -1
	s_delay_alu instid0(SALU_CYCLE_1) | instskip(NEXT) | instid1(SALU_CYCLE_1)
	s_and_b32 s10, exec_lo, s10
	s_or_b32 s9, s10, s9
	s_delay_alu instid0(SALU_CYCLE_1)
	s_and_not1_b32 exec_lo, exec_lo, s9
	s_cbranch_execz .LBB103_29
.LBB103_32:                             ;   Parent Loop BB103_30 Depth=1
                                        ; =>  This Inner Loop Header: Depth=2
	s_delay_alu instid0(VALU_DEP_1)
	v_lshl_add_u32 v9, v8, 3, 0
	s_mov_b32 s10, exec_lo
                                        ; implicit-def: $sgpr11
	ds_load_b64 v[5:6], v9
	s_waitcnt lgkmcnt(0)
	v_cmpx_ne_u64_e64 v[5:6], v[3:4]
	s_xor_b32 s10, exec_lo, s10
	s_cbranch_execz .LBB103_40
; %bb.33:                               ;   in Loop: Header=BB103_32 Depth=2
	s_mov_b32 s12, exec_lo
                                        ; implicit-def: $sgpr11
	v_cmpx_ne_u64_e64 s[34:35], v[5:6]
	s_xor_b32 s12, exec_lo, s12
; %bb.34:                               ;   in Loop: Header=BB103_32 Depth=2
	v_add_nc_u32_e32 v5, 1, v8
	s_mov_b32 s11, -1
                                        ; implicit-def: $vgpr9
	s_delay_alu instid0(VALU_DEP_1)
	v_and_b32_e32 v8, 0x1fff, v5
; %bb.35:                               ;   in Loop: Header=BB103_32 Depth=2
	s_and_not1_saveexec_b32 s12, s12
	s_cbranch_execz .LBB103_39
; %bb.36:                               ;   in Loop: Header=BB103_32 Depth=2
	v_dual_mov_b32 v5, s34 :: v_dual_mov_b32 v6, s35
	s_mov_b32 s13, -1
	s_mov_b32 s14, exec_lo
	ds_cmpstore_rtn_b64 v[5:6], v9, v[3:4], v[5:6]
	s_waitcnt lgkmcnt(0)
	v_cmpx_eq_u64_e64 s[34:35], v[5:6]
	s_cbranch_execz .LBB103_38
; %bb.37:                               ;   in Loop: Header=BB103_32 Depth=2
	v_lshlrev_b32_e32 v5, 2, v8
	s_xor_b32 s13, exec_lo, -1
	s_delay_alu instid0(VALU_DEP_1)
	v_add3_u32 v5, 0, v5, 0x10000
	ds_add_f32 v5, v7
.LBB103_38:                             ;   in Loop: Header=BB103_32 Depth=2
	s_or_b32 exec_lo, exec_lo, s14
	s_delay_alu instid0(SALU_CYCLE_1) | instskip(SKIP_1) | instid1(SALU_CYCLE_1)
	s_and_not1_b32 s11, s11, exec_lo
	s_and_b32 s13, s13, exec_lo
	s_or_b32 s11, s11, s13
.LBB103_39:                             ;   in Loop: Header=BB103_32 Depth=2
	s_or_b32 exec_lo, exec_lo, s12
	s_delay_alu instid0(SALU_CYCLE_1)
	s_and_b32 s11, s11, exec_lo
.LBB103_40:                             ;   in Loop: Header=BB103_32 Depth=2
	s_and_not1_saveexec_b32 s10, s10
	s_cbranch_execz .LBB103_31
; %bb.41:                               ;   in Loop: Header=BB103_32 Depth=2
	v_lshlrev_b32_e32 v5, 2, v8
	s_and_not1_b32 s11, s11, exec_lo
	s_delay_alu instid0(VALU_DEP_1)
	v_add3_u32 v5, 0, v5, 0x10000
	ds_add_f32 v5, v7
	s_branch .LBB103_31
.LBB103_42:
	s_or_b32 exec_lo, exec_lo, s7
.LBB103_43:
	v_mbcnt_lo_u32_b32 v1, -1, 0
	v_lshrrev_b32_e32 v2, 2, v0
	s_add_i32 s73, 0, 0x180f8
	v_cmp_eq_u32_e32 vcc_lo, 0x3ff, v0
	v_cmp_lt_u32_e64 s0, 31, v0
	v_xor_b32_e32 v1, 63, v1
	v_dual_mov_b32 v14, s73 :: v_dual_and_b32 v3, 0xf8, v2
	v_cmp_lt_u32_e64 s1, 63, v0
	v_cmp_lt_u32_e64 s2, 0x5f, v0
	s_delay_alu instid0(VALU_DEP_4) | instskip(NEXT) | instid1(VALU_DEP_4)
	v_lshrrev_b64 v[1:2], v1, -1
	v_add3_u32 v10, 0, 0x18000, v3
	v_dual_mov_b32 v2, 0 :: v_dual_mov_b32 v5, 0
	v_cmp_lt_u32_e64 s3, 0x7f, v0
	v_cmp_lt_u32_e64 s4, 0x9f, v0
	;; [unrolled: 1-line block ×28, first 2 shown]
	v_or_b32_e32 v13, 0xfffffc00, v0
	v_mov_b32_e32 v3, 0
	s_mov_b32 s39, 0
	s_add_i32 s46, 0, 0x18000
	s_add_i32 s47, 0, 0x18008
	;; [unrolled: 1-line block ×31, first 2 shown]
	s_waitcnt lgkmcnt(0)
	s_barrier
	buffer_gl0_inv
	s_branch .LBB103_45
.LBB103_44:                             ;   in Loop: Header=BB103_45 Depth=1
	s_or_b32 exec_lo, exec_lo, s31
	s_waitcnt lgkmcnt(0)
	s_barrier
	buffer_gl0_inv
	ds_load_b64 v[6:7], v14
	v_add_nc_u32_e32 v13, 0x400, v13
	v_add_nc_u32_e32 v11, 0x1000, v11
	;; [unrolled: 1-line block ×3, first 2 shown]
	s_delay_alu instid0(VALU_DEP_3) | instskip(NEXT) | instid1(VALU_DEP_1)
	v_cmp_lt_u32_e64 s31, 0x1bff, v13
	s_or_b32 s39, s31, s39
	s_waitcnt lgkmcnt(0)
	v_add_co_u32 v2, s33, v6, v2
	s_delay_alu instid0(VALU_DEP_1)
	v_add_co_ci_u32_e64 v3, s33, v7, v3, s33
	s_and_not1_b32 exec_lo, exec_lo, s39
	s_cbranch_execz .LBB103_111
.LBB103_45:                             ; =>This Inner Loop Header: Depth=1
	ds_load_b64 v[6:7], v12
	ds_load_b32 v15, v11
	s_waitcnt lgkmcnt(0)
	s_barrier
	buffer_gl0_inv
	v_cmp_gt_i64_e64 s31, s[34:35], v[6:7]
	s_delay_alu instid0(VALU_DEP_1) | instskip(SKIP_1) | instid1(SALU_CYCLE_1)
	v_and_b32_e32 v8, s31, v1
	s_bcnt1_i32_b32 s33, s31
	v_mov_b32_e32 v4, s33
	s_delay_alu instid0(VALU_DEP_2)
	v_bcnt_u32_b32 v8, v8, 0
	ds_store_b64 v10, v[4:5]
	s_waitcnt lgkmcnt(0)
	s_barrier
	buffer_gl0_inv
	s_and_saveexec_b32 s33, s0
	s_cbranch_execnz .LBB103_78
; %bb.46:                               ;   in Loop: Header=BB103_45 Depth=1
	s_or_b32 exec_lo, exec_lo, s33
	s_and_saveexec_b32 s33, s1
	s_cbranch_execnz .LBB103_79
.LBB103_47:                             ;   in Loop: Header=BB103_45 Depth=1
	s_or_b32 exec_lo, exec_lo, s33
	s_and_saveexec_b32 s33, s2
	s_cbranch_execnz .LBB103_80
.LBB103_48:                             ;   in Loop: Header=BB103_45 Depth=1
	s_or_b32 exec_lo, exec_lo, s33
	s_and_saveexec_b32 s33, s3
	s_cbranch_execnz .LBB103_81
.LBB103_49:                             ;   in Loop: Header=BB103_45 Depth=1
	s_or_b32 exec_lo, exec_lo, s33
	s_and_saveexec_b32 s33, s4
	s_cbranch_execnz .LBB103_82
.LBB103_50:                             ;   in Loop: Header=BB103_45 Depth=1
	s_or_b32 exec_lo, exec_lo, s33
	s_and_saveexec_b32 s33, s5
	s_cbranch_execnz .LBB103_83
.LBB103_51:                             ;   in Loop: Header=BB103_45 Depth=1
	s_or_b32 exec_lo, exec_lo, s33
	s_and_saveexec_b32 s33, s6
	s_cbranch_execnz .LBB103_84
.LBB103_52:                             ;   in Loop: Header=BB103_45 Depth=1
	s_or_b32 exec_lo, exec_lo, s33
	s_and_saveexec_b32 s33, s7
	s_cbranch_execnz .LBB103_85
.LBB103_53:                             ;   in Loop: Header=BB103_45 Depth=1
	s_or_b32 exec_lo, exec_lo, s33
	s_and_saveexec_b32 s33, s8
	s_cbranch_execnz .LBB103_86
.LBB103_54:                             ;   in Loop: Header=BB103_45 Depth=1
	s_or_b32 exec_lo, exec_lo, s33
	s_and_saveexec_b32 s33, s9
	s_cbranch_execnz .LBB103_87
.LBB103_55:                             ;   in Loop: Header=BB103_45 Depth=1
	s_or_b32 exec_lo, exec_lo, s33
	s_and_saveexec_b32 s33, s10
	s_cbranch_execnz .LBB103_88
.LBB103_56:                             ;   in Loop: Header=BB103_45 Depth=1
	s_or_b32 exec_lo, exec_lo, s33
	s_and_saveexec_b32 s33, s11
	s_cbranch_execnz .LBB103_89
.LBB103_57:                             ;   in Loop: Header=BB103_45 Depth=1
	s_or_b32 exec_lo, exec_lo, s33
	s_and_saveexec_b32 s33, s12
	s_cbranch_execnz .LBB103_90
.LBB103_58:                             ;   in Loop: Header=BB103_45 Depth=1
	s_or_b32 exec_lo, exec_lo, s33
	s_and_saveexec_b32 s33, s13
	s_cbranch_execnz .LBB103_91
.LBB103_59:                             ;   in Loop: Header=BB103_45 Depth=1
	s_or_b32 exec_lo, exec_lo, s33
	s_and_saveexec_b32 s33, s14
	s_cbranch_execnz .LBB103_92
.LBB103_60:                             ;   in Loop: Header=BB103_45 Depth=1
	s_or_b32 exec_lo, exec_lo, s33
	s_and_saveexec_b32 s33, s15
	s_cbranch_execnz .LBB103_93
.LBB103_61:                             ;   in Loop: Header=BB103_45 Depth=1
	s_or_b32 exec_lo, exec_lo, s33
	s_and_saveexec_b32 s33, s16
	s_cbranch_execnz .LBB103_94
.LBB103_62:                             ;   in Loop: Header=BB103_45 Depth=1
	s_or_b32 exec_lo, exec_lo, s33
	s_and_saveexec_b32 s33, s17
	s_cbranch_execnz .LBB103_95
.LBB103_63:                             ;   in Loop: Header=BB103_45 Depth=1
	s_or_b32 exec_lo, exec_lo, s33
	s_and_saveexec_b32 s33, s18
	s_cbranch_execnz .LBB103_96
.LBB103_64:                             ;   in Loop: Header=BB103_45 Depth=1
	s_or_b32 exec_lo, exec_lo, s33
	s_and_saveexec_b32 s33, s19
	s_cbranch_execnz .LBB103_97
.LBB103_65:                             ;   in Loop: Header=BB103_45 Depth=1
	s_or_b32 exec_lo, exec_lo, s33
	s_and_saveexec_b32 s33, s20
	s_cbranch_execnz .LBB103_98
.LBB103_66:                             ;   in Loop: Header=BB103_45 Depth=1
	s_or_b32 exec_lo, exec_lo, s33
	s_and_saveexec_b32 s33, s21
	s_cbranch_execnz .LBB103_99
.LBB103_67:                             ;   in Loop: Header=BB103_45 Depth=1
	s_or_b32 exec_lo, exec_lo, s33
	s_and_saveexec_b32 s33, s22
	s_cbranch_execnz .LBB103_100
.LBB103_68:                             ;   in Loop: Header=BB103_45 Depth=1
	s_or_b32 exec_lo, exec_lo, s33
	s_and_saveexec_b32 s33, s23
	s_cbranch_execnz .LBB103_101
.LBB103_69:                             ;   in Loop: Header=BB103_45 Depth=1
	s_or_b32 exec_lo, exec_lo, s33
	s_and_saveexec_b32 s33, s24
	s_cbranch_execnz .LBB103_102
.LBB103_70:                             ;   in Loop: Header=BB103_45 Depth=1
	s_or_b32 exec_lo, exec_lo, s33
	s_and_saveexec_b32 s33, s25
	s_cbranch_execnz .LBB103_103
.LBB103_71:                             ;   in Loop: Header=BB103_45 Depth=1
	s_or_b32 exec_lo, exec_lo, s33
	s_and_saveexec_b32 s33, s26
	s_cbranch_execnz .LBB103_104
.LBB103_72:                             ;   in Loop: Header=BB103_45 Depth=1
	s_or_b32 exec_lo, exec_lo, s33
	s_and_saveexec_b32 s33, s27
	s_cbranch_execnz .LBB103_105
.LBB103_73:                             ;   in Loop: Header=BB103_45 Depth=1
	s_or_b32 exec_lo, exec_lo, s33
	s_and_saveexec_b32 s33, s28
	s_cbranch_execnz .LBB103_106
.LBB103_74:                             ;   in Loop: Header=BB103_45 Depth=1
	s_or_b32 exec_lo, exec_lo, s33
	s_and_saveexec_b32 s33, s29
	s_cbranch_execnz .LBB103_107
.LBB103_75:                             ;   in Loop: Header=BB103_45 Depth=1
	s_or_b32 exec_lo, exec_lo, s33
	s_and_saveexec_b32 s33, s30
	s_cbranch_execnz .LBB103_108
.LBB103_76:                             ;   in Loop: Header=BB103_45 Depth=1
	s_or_b32 exec_lo, exec_lo, s33
	v_ashrrev_i32_e32 v9, 31, v8
	s_and_saveexec_b32 s33, s31
	s_cbranch_execnz .LBB103_109
.LBB103_77:                             ;   in Loop: Header=BB103_45 Depth=1
	s_or_b32 exec_lo, exec_lo, s33
	s_and_saveexec_b32 s31, vcc_lo
	s_cbranch_execz .LBB103_44
	s_branch .LBB103_110
.LBB103_78:                             ;   in Loop: Header=BB103_45 Depth=1
	v_mov_b32_e32 v4, s46
	ds_load_b32 v4, v4
	s_waitcnt lgkmcnt(0)
	v_add_nc_u32_e32 v8, v4, v8
	s_or_b32 exec_lo, exec_lo, s33
	s_and_saveexec_b32 s33, s1
	s_cbranch_execz .LBB103_47
.LBB103_79:                             ;   in Loop: Header=BB103_45 Depth=1
	v_mov_b32_e32 v4, s47
	ds_load_b32 v4, v4
	s_waitcnt lgkmcnt(0)
	v_add_nc_u32_e32 v8, v8, v4
	s_or_b32 exec_lo, exec_lo, s33
	s_and_saveexec_b32 s33, s2
	s_cbranch_execz .LBB103_48
.LBB103_80:                             ;   in Loop: Header=BB103_45 Depth=1
	v_mov_b32_e32 v4, s48
	ds_load_b32 v4, v4
	s_waitcnt lgkmcnt(0)
	v_add_nc_u32_e32 v8, v8, v4
	s_or_b32 exec_lo, exec_lo, s33
	s_and_saveexec_b32 s33, s3
	s_cbranch_execz .LBB103_49
.LBB103_81:                             ;   in Loop: Header=BB103_45 Depth=1
	v_mov_b32_e32 v4, s49
	ds_load_b32 v4, v4
	s_waitcnt lgkmcnt(0)
	v_add_nc_u32_e32 v8, v8, v4
	s_or_b32 exec_lo, exec_lo, s33
	s_and_saveexec_b32 s33, s4
	s_cbranch_execz .LBB103_50
.LBB103_82:                             ;   in Loop: Header=BB103_45 Depth=1
	v_mov_b32_e32 v4, s50
	ds_load_b32 v4, v4
	s_waitcnt lgkmcnt(0)
	v_add_nc_u32_e32 v8, v8, v4
	s_or_b32 exec_lo, exec_lo, s33
	s_and_saveexec_b32 s33, s5
	s_cbranch_execz .LBB103_51
.LBB103_83:                             ;   in Loop: Header=BB103_45 Depth=1
	v_mov_b32_e32 v4, s51
	ds_load_b32 v4, v4
	s_waitcnt lgkmcnt(0)
	v_add_nc_u32_e32 v8, v8, v4
	s_or_b32 exec_lo, exec_lo, s33
	s_and_saveexec_b32 s33, s6
	s_cbranch_execz .LBB103_52
.LBB103_84:                             ;   in Loop: Header=BB103_45 Depth=1
	v_mov_b32_e32 v4, s52
	ds_load_b32 v4, v4
	s_waitcnt lgkmcnt(0)
	v_add_nc_u32_e32 v8, v8, v4
	s_or_b32 exec_lo, exec_lo, s33
	s_and_saveexec_b32 s33, s7
	s_cbranch_execz .LBB103_53
.LBB103_85:                             ;   in Loop: Header=BB103_45 Depth=1
	v_mov_b32_e32 v4, s53
	ds_load_b32 v4, v4
	s_waitcnt lgkmcnt(0)
	v_add_nc_u32_e32 v8, v8, v4
	s_or_b32 exec_lo, exec_lo, s33
	s_and_saveexec_b32 s33, s8
	s_cbranch_execz .LBB103_54
.LBB103_86:                             ;   in Loop: Header=BB103_45 Depth=1
	v_mov_b32_e32 v4, s54
	ds_load_b32 v4, v4
	s_waitcnt lgkmcnt(0)
	v_add_nc_u32_e32 v8, v8, v4
	s_or_b32 exec_lo, exec_lo, s33
	s_and_saveexec_b32 s33, s9
	s_cbranch_execz .LBB103_55
.LBB103_87:                             ;   in Loop: Header=BB103_45 Depth=1
	v_mov_b32_e32 v4, s55
	ds_load_b32 v4, v4
	s_waitcnt lgkmcnt(0)
	v_add_nc_u32_e32 v8, v8, v4
	s_or_b32 exec_lo, exec_lo, s33
	s_and_saveexec_b32 s33, s10
	s_cbranch_execz .LBB103_56
.LBB103_88:                             ;   in Loop: Header=BB103_45 Depth=1
	v_mov_b32_e32 v4, s56
	ds_load_b32 v4, v4
	s_waitcnt lgkmcnt(0)
	v_add_nc_u32_e32 v8, v8, v4
	s_or_b32 exec_lo, exec_lo, s33
	s_and_saveexec_b32 s33, s11
	s_cbranch_execz .LBB103_57
.LBB103_89:                             ;   in Loop: Header=BB103_45 Depth=1
	v_mov_b32_e32 v4, s57
	ds_load_b32 v4, v4
	s_waitcnt lgkmcnt(0)
	v_add_nc_u32_e32 v8, v8, v4
	s_or_b32 exec_lo, exec_lo, s33
	s_and_saveexec_b32 s33, s12
	s_cbranch_execz .LBB103_58
.LBB103_90:                             ;   in Loop: Header=BB103_45 Depth=1
	v_mov_b32_e32 v4, s58
	ds_load_b32 v4, v4
	s_waitcnt lgkmcnt(0)
	v_add_nc_u32_e32 v8, v8, v4
	s_or_b32 exec_lo, exec_lo, s33
	s_and_saveexec_b32 s33, s13
	s_cbranch_execz .LBB103_59
.LBB103_91:                             ;   in Loop: Header=BB103_45 Depth=1
	v_mov_b32_e32 v4, s59
	ds_load_b32 v4, v4
	s_waitcnt lgkmcnt(0)
	v_add_nc_u32_e32 v8, v8, v4
	s_or_b32 exec_lo, exec_lo, s33
	s_and_saveexec_b32 s33, s14
	s_cbranch_execz .LBB103_60
.LBB103_92:                             ;   in Loop: Header=BB103_45 Depth=1
	v_mov_b32_e32 v4, s60
	ds_load_b32 v4, v4
	s_waitcnt lgkmcnt(0)
	v_add_nc_u32_e32 v8, v8, v4
	s_or_b32 exec_lo, exec_lo, s33
	s_and_saveexec_b32 s33, s15
	s_cbranch_execz .LBB103_61
.LBB103_93:                             ;   in Loop: Header=BB103_45 Depth=1
	v_mov_b32_e32 v4, s61
	ds_load_b32 v4, v4
	s_waitcnt lgkmcnt(0)
	v_add_nc_u32_e32 v8, v8, v4
	s_or_b32 exec_lo, exec_lo, s33
	s_and_saveexec_b32 s33, s16
	s_cbranch_execz .LBB103_62
.LBB103_94:                             ;   in Loop: Header=BB103_45 Depth=1
	v_mov_b32_e32 v4, s62
	ds_load_b32 v4, v4
	s_waitcnt lgkmcnt(0)
	v_add_nc_u32_e32 v8, v8, v4
	s_or_b32 exec_lo, exec_lo, s33
	s_and_saveexec_b32 s33, s17
	s_cbranch_execz .LBB103_63
.LBB103_95:                             ;   in Loop: Header=BB103_45 Depth=1
	v_mov_b32_e32 v4, s63
	ds_load_b32 v4, v4
	s_waitcnt lgkmcnt(0)
	v_add_nc_u32_e32 v8, v8, v4
	s_or_b32 exec_lo, exec_lo, s33
	s_and_saveexec_b32 s33, s18
	s_cbranch_execz .LBB103_64
.LBB103_96:                             ;   in Loop: Header=BB103_45 Depth=1
	v_mov_b32_e32 v4, s64
	ds_load_b32 v4, v4
	s_waitcnt lgkmcnt(0)
	v_add_nc_u32_e32 v8, v8, v4
	s_or_b32 exec_lo, exec_lo, s33
	s_and_saveexec_b32 s33, s19
	s_cbranch_execz .LBB103_65
.LBB103_97:                             ;   in Loop: Header=BB103_45 Depth=1
	v_mov_b32_e32 v4, s65
	ds_load_b32 v4, v4
	s_waitcnt lgkmcnt(0)
	v_add_nc_u32_e32 v8, v8, v4
	s_or_b32 exec_lo, exec_lo, s33
	s_and_saveexec_b32 s33, s20
	s_cbranch_execz .LBB103_66
.LBB103_98:                             ;   in Loop: Header=BB103_45 Depth=1
	v_mov_b32_e32 v4, s66
	ds_load_b32 v4, v4
	s_waitcnt lgkmcnt(0)
	v_add_nc_u32_e32 v8, v8, v4
	s_or_b32 exec_lo, exec_lo, s33
	s_and_saveexec_b32 s33, s21
	s_cbranch_execz .LBB103_67
.LBB103_99:                             ;   in Loop: Header=BB103_45 Depth=1
	v_mov_b32_e32 v4, s67
	ds_load_b32 v4, v4
	s_waitcnt lgkmcnt(0)
	v_add_nc_u32_e32 v8, v8, v4
	s_or_b32 exec_lo, exec_lo, s33
	s_and_saveexec_b32 s33, s22
	s_cbranch_execz .LBB103_68
.LBB103_100:                            ;   in Loop: Header=BB103_45 Depth=1
	v_mov_b32_e32 v4, s68
	ds_load_b32 v4, v4
	s_waitcnt lgkmcnt(0)
	v_add_nc_u32_e32 v8, v8, v4
	s_or_b32 exec_lo, exec_lo, s33
	s_and_saveexec_b32 s33, s23
	s_cbranch_execz .LBB103_69
.LBB103_101:                            ;   in Loop: Header=BB103_45 Depth=1
	v_mov_b32_e32 v4, s69
	ds_load_b32 v4, v4
	s_waitcnt lgkmcnt(0)
	v_add_nc_u32_e32 v8, v8, v4
	s_or_b32 exec_lo, exec_lo, s33
	s_and_saveexec_b32 s33, s24
	s_cbranch_execz .LBB103_70
.LBB103_102:                            ;   in Loop: Header=BB103_45 Depth=1
	v_mov_b32_e32 v4, s70
	ds_load_b32 v4, v4
	s_waitcnt lgkmcnt(0)
	v_add_nc_u32_e32 v8, v8, v4
	s_or_b32 exec_lo, exec_lo, s33
	s_and_saveexec_b32 s33, s25
	s_cbranch_execz .LBB103_71
.LBB103_103:                            ;   in Loop: Header=BB103_45 Depth=1
	v_mov_b32_e32 v4, s71
	ds_load_b32 v4, v4
	s_waitcnt lgkmcnt(0)
	v_add_nc_u32_e32 v8, v8, v4
	s_or_b32 exec_lo, exec_lo, s33
	s_and_saveexec_b32 s33, s26
	s_cbranch_execz .LBB103_72
.LBB103_104:                            ;   in Loop: Header=BB103_45 Depth=1
	v_mov_b32_e32 v4, s72
	ds_load_b32 v4, v4
	s_waitcnt lgkmcnt(0)
	v_add_nc_u32_e32 v8, v8, v4
	s_or_b32 exec_lo, exec_lo, s33
	s_and_saveexec_b32 s33, s27
	s_cbranch_execz .LBB103_73
.LBB103_105:                            ;   in Loop: Header=BB103_45 Depth=1
	v_mov_b32_e32 v4, s74
	ds_load_b32 v4, v4
	s_waitcnt lgkmcnt(0)
	v_add_nc_u32_e32 v8, v8, v4
	s_or_b32 exec_lo, exec_lo, s33
	s_and_saveexec_b32 s33, s28
	s_cbranch_execz .LBB103_74
.LBB103_106:                            ;   in Loop: Header=BB103_45 Depth=1
	v_mov_b32_e32 v4, s75
	ds_load_b32 v4, v4
	s_waitcnt lgkmcnt(0)
	v_add_nc_u32_e32 v8, v8, v4
	s_or_b32 exec_lo, exec_lo, s33
	s_and_saveexec_b32 s33, s29
	s_cbranch_execz .LBB103_75
.LBB103_107:                            ;   in Loop: Header=BB103_45 Depth=1
	v_mov_b32_e32 v4, s76
	ds_load_b32 v4, v4
	s_waitcnt lgkmcnt(0)
	v_add_nc_u32_e32 v8, v8, v4
	s_or_b32 exec_lo, exec_lo, s33
	s_and_saveexec_b32 s33, s30
	s_cbranch_execz .LBB103_76
.LBB103_108:                            ;   in Loop: Header=BB103_45 Depth=1
	v_mov_b32_e32 v4, s77
	ds_load_b32 v4, v4
	s_waitcnt lgkmcnt(0)
	v_add_nc_u32_e32 v8, v8, v4
	s_or_b32 exec_lo, exec_lo, s33
	s_delay_alu instid0(VALU_DEP_1)
	v_ashrrev_i32_e32 v9, 31, v8
	s_and_saveexec_b32 s33, s31
	s_cbranch_execz .LBB103_77
.LBB103_109:                            ;   in Loop: Header=BB103_45 Depth=1
	v_add3_u32 v4, v2, -1, v8
	s_delay_alu instid0(VALU_DEP_1) | instskip(SKIP_1) | instid1(VALU_DEP_2)
	v_lshlrev_b32_e32 v16, 2, v4
	v_lshl_add_u32 v4, v4, 3, 0
	v_add3_u32 v16, 0, v16, 0x10000
	ds_store_b64 v4, v[6:7]
	ds_store_b32 v16, v15
	s_or_b32 exec_lo, exec_lo, s33
	s_and_saveexec_b32 s31, vcc_lo
	s_cbranch_execz .LBB103_44
.LBB103_110:                            ;   in Loop: Header=BB103_45 Depth=1
	v_mov_b32_e32 v4, s73
	ds_store_b64 v4, v[8:9]
	s_branch .LBB103_44
.LBB103_111:
	s_or_b32 exec_lo, exec_lo, s39
	s_lshl_b64 s[0:1], s[44:45], 3
	v_mov_b32_e32 v1, 0
	s_add_u32 s0, s40, s0
	s_addc_u32 s1, s41, s1
	s_mov_b32 s6, exec_lo
	s_load_b128 s[0:3], s[0:1], 0x0
	s_waitcnt lgkmcnt(0)
	s_sub_u32 s4, s2, s0
	s_subb_u32 s5, s3, s1
	s_delay_alu instid0(SALU_CYCLE_1)
	v_cmpx_gt_i64_e64 s[4:5], v[0:1]
	s_cbranch_execz .LBB103_121
; %bb.112:
	s_sub_u32 s8, s0, s38
	s_subb_u32 s9, s1, 0
	s_and_b32 s6, s4, 7
	s_sub_u32 s0, s0, s2
	s_subb_u32 s1, s1, s3
	s_mov_b32 s7, 0
	v_cmp_lt_u64_e64 s12, s[0:1], -7
	s_and_b32 s2, s4, -8
	s_cmp_lg_u64 s[6:7], 0
	s_mov_b32 s3, s5
	s_cselect_b32 s13, -1, 0
	s_mov_b32 s14, s7
	s_branch .LBB103_114
.LBB103_113:                            ;   in Loop: Header=BB103_114 Depth=1
	s_waitcnt lgkmcnt(1)
	v_add_co_u32 v2, vcc_lo, v2, s38
	v_lshlrev_b64 v[7:8], 3, v[4:5]
	v_add_co_ci_u32_e32 v3, vcc_lo, 0, v3, vcc_lo
	v_add_co_u32 v0, vcc_lo, 0x400, v0
	v_add_co_ci_u32_e32 v1, vcc_lo, 0, v1, vcc_lo
	v_lshlrev_b64 v[4:5], 2, v[4:5]
	v_add_co_u32 v7, vcc_lo, s42, v7
	v_add_co_ci_u32_e32 v8, vcc_lo, s43, v8, vcc_lo
	s_delay_alu instid0(VALU_DEP_4) | instskip(NEXT) | instid1(VALU_DEP_4)
	v_cmp_le_i64_e32 vcc_lo, s[4:5], v[0:1]
	v_add_co_u32 v4, s0, s36, v4
	s_delay_alu instid0(VALU_DEP_1) | instskip(SKIP_4) | instid1(SALU_CYCLE_1)
	v_add_co_ci_u32_e64 v5, s0, s37, v5, s0
	global_store_b64 v[7:8], v[2:3], off
	s_waitcnt lgkmcnt(0)
	global_store_b32 v[4:5], v6, off
	s_or_b32 s14, vcc_lo, s14
	s_and_not1_b32 exec_lo, exec_lo, s14
	s_cbranch_execz .LBB103_121
.LBB103_114:                            ; =>This Loop Header: Depth=1
                                        ;     Child Loop BB103_116 Depth 2
                                        ;     Child Loop BB103_120 Depth 2
	v_lshlrev_b32_e32 v2, 2, v0
	v_lshl_add_u32 v3, v0, 3, 0
	s_and_not1_b32 vcc_lo, exec_lo, s12
	s_mov_b64 s[0:1], 0
	s_delay_alu instid0(VALU_DEP_2)
	v_add3_u32 v4, 0, v2, 0x10000
	ds_load_b64 v[2:3], v3
	ds_load_b32 v6, v4
	v_dual_mov_b32 v4, s8 :: v_dual_mov_b32 v5, s9
	s_cbranch_vccnz .LBB103_118
; %bb.115:                              ;   in Loop: Header=BB103_114 Depth=1
	v_dual_mov_b32 v4, s8 :: v_dual_mov_b32 v5, s9
	s_mov_b64 s[10:11], 0
	s_mov_b32 s1, 0
.LBB103_116:                            ;   Parent Loop BB103_114 Depth=1
                                        ; =>  This Inner Loop Header: Depth=2
	s_delay_alu instid0(SALU_CYCLE_1)
	v_mov_b32_e32 v19, s1
	s_add_u32 s10, s10, 8
	s_addc_u32 s11, s11, 0
	s_add_i32 s1, s1, 64
	s_cmp_eq_u64 s[2:3], s[10:11]
	ds_load_2addr_b64 v[7:10], v19 offset1:1
	ds_load_2addr_b64 v[11:14], v19 offset0:2 offset1:3
	ds_load_2addr_b64 v[15:18], v19 offset0:4 offset1:5
	;; [unrolled: 1-line block ×3, first 2 shown]
	s_waitcnt lgkmcnt(3)
	v_cmp_gt_i64_e32 vcc_lo, v[2:3], v[7:8]
	v_cndmask_b32_e64 v7, 0, 1, vcc_lo
	v_cmp_gt_i64_e32 vcc_lo, v[2:3], v[9:10]
	v_cndmask_b32_e64 v8, 0, 1, vcc_lo
	s_waitcnt lgkmcnt(2)
	v_cmp_gt_i64_e32 vcc_lo, v[2:3], v[11:12]
	v_cndmask_b32_e64 v9, 0, 1, vcc_lo
	v_cmp_gt_i64_e32 vcc_lo, v[2:3], v[13:14]
	v_cndmask_b32_e64 v10, 0, 1, vcc_lo
	s_waitcnt lgkmcnt(1)
	v_cmp_gt_i64_e32 vcc_lo, v[2:3], v[15:16]
	v_cndmask_b32_e64 v11, 0, 1, vcc_lo
	v_add_co_u32 v4, vcc_lo, v4, v7
	v_add_co_ci_u32_e32 v5, vcc_lo, 0, v5, vcc_lo
	v_cmp_gt_i64_e32 vcc_lo, v[2:3], v[17:18]
	s_delay_alu instid0(VALU_DEP_3) | instskip(NEXT) | instid1(VALU_DEP_1)
	v_add_co_u32 v4, s0, v4, v8
	v_add_co_ci_u32_e64 v5, s0, 0, v5, s0
	v_cndmask_b32_e64 v7, 0, 1, vcc_lo
	s_delay_alu instid0(VALU_DEP_3) | instskip(NEXT) | instid1(VALU_DEP_3)
	v_add_co_u32 v4, vcc_lo, v4, v9
	v_add_co_ci_u32_e32 v5, vcc_lo, 0, v5, vcc_lo
	s_waitcnt lgkmcnt(0)
	v_cmp_gt_i64_e32 vcc_lo, v[2:3], v[19:20]
	s_delay_alu instid0(VALU_DEP_3) | instskip(NEXT) | instid1(VALU_DEP_1)
	v_add_co_u32 v4, s0, v4, v10
	v_add_co_ci_u32_e64 v5, s0, 0, v5, s0
	v_cndmask_b32_e64 v8, 0, 1, vcc_lo
	s_delay_alu instid0(VALU_DEP_3) | instskip(NEXT) | instid1(VALU_DEP_3)
	v_add_co_u32 v4, vcc_lo, v4, v11
	v_add_co_ci_u32_e32 v5, vcc_lo, 0, v5, vcc_lo
	v_cmp_gt_i64_e32 vcc_lo, v[2:3], v[21:22]
	s_delay_alu instid0(VALU_DEP_3) | instskip(NEXT) | instid1(VALU_DEP_1)
	v_add_co_u32 v4, s0, v4, v7
	v_add_co_ci_u32_e64 v5, s0, 0, v5, s0
	v_cndmask_b32_e64 v7, 0, 1, vcc_lo
	s_delay_alu instid0(VALU_DEP_3) | instskip(NEXT) | instid1(VALU_DEP_3)
	v_add_co_u32 v4, vcc_lo, v4, v8
	v_add_co_ci_u32_e32 v5, vcc_lo, 0, v5, vcc_lo
	s_delay_alu instid0(VALU_DEP_2) | instskip(NEXT) | instid1(VALU_DEP_2)
	v_add_co_u32 v4, vcc_lo, v4, v7
	v_add_co_ci_u32_e32 v5, vcc_lo, 0, v5, vcc_lo
	s_cbranch_scc0 .LBB103_116
; %bb.117:                              ;   in Loop: Header=BB103_114 Depth=1
	s_mov_b64 s[0:1], s[2:3]
.LBB103_118:                            ;   in Loop: Header=BB103_114 Depth=1
	s_and_not1_b32 vcc_lo, exec_lo, s13
	s_cbranch_vccnz .LBB103_113
; %bb.119:                              ;   in Loop: Header=BB103_114 Depth=1
	s_lshl_b32 s0, s0, 3
	s_delay_alu instid0(SALU_CYCLE_1)
	s_add_i32 s10, s0, 0
	s_mov_b64 s[0:1], s[6:7]
.LBB103_120:                            ;   Parent Loop BB103_114 Depth=1
                                        ; =>  This Inner Loop Header: Depth=2
	v_mov_b32_e32 v7, s10
	s_add_i32 s10, s10, 8
	s_add_u32 s0, s0, -1
	s_addc_u32 s1, s1, -1
	s_delay_alu instid0(SALU_CYCLE_1) | instskip(SKIP_4) | instid1(VALU_DEP_1)
	s_cmp_lg_u64 s[0:1], 0
	ds_load_b64 v[7:8], v7
	s_waitcnt lgkmcnt(0)
	v_cmp_gt_i64_e32 vcc_lo, v[2:3], v[7:8]
	v_cndmask_b32_e64 v7, 0, 1, vcc_lo
	v_add_co_u32 v4, vcc_lo, v4, v7
	v_add_co_ci_u32_e32 v5, vcc_lo, 0, v5, vcc_lo
	s_cbranch_scc1 .LBB103_120
	s_branch .LBB103_113
.LBB103_121:
	s_nop 0
	s_sendmsg sendmsg(MSG_DEALLOC_VGPRS)
	s_endpgm
	.section	.rodata,"a",@progbits
	.p2align	6, 0x0
	.amdhsa_kernel _ZN9rocsparseL26csrgemm_fill_block_per_rowILj1024ELj64ELj8192ELj137ELj32EllfEEvT5_PKS1_S3_NS_24const_host_device_scalarIT6_EEPKT4_S3_PKS5_S9_S3_SB_S6_S9_S3_SB_S9_PS1_PS5_21rocsparse_index_base_SE_SE_SE_bbb
		.amdhsa_group_segment_fixed_size 0
		.amdhsa_private_segment_fixed_size 0
		.amdhsa_kernarg_size 156
		.amdhsa_user_sgpr_count 15
		.amdhsa_user_sgpr_dispatch_ptr 0
		.amdhsa_user_sgpr_queue_ptr 0
		.amdhsa_user_sgpr_kernarg_segment_ptr 1
		.amdhsa_user_sgpr_dispatch_id 0
		.amdhsa_user_sgpr_private_segment_size 0
		.amdhsa_wavefront_size32 1
		.amdhsa_uses_dynamic_stack 0
		.amdhsa_enable_private_segment 0
		.amdhsa_system_sgpr_workgroup_id_x 1
		.amdhsa_system_sgpr_workgroup_id_y 0
		.amdhsa_system_sgpr_workgroup_id_z 0
		.amdhsa_system_sgpr_workgroup_info 0
		.amdhsa_system_vgpr_workitem_id 0
		.amdhsa_next_free_vgpr 23
		.amdhsa_next_free_sgpr 78
		.amdhsa_reserve_vcc 1
		.amdhsa_float_round_mode_32 0
		.amdhsa_float_round_mode_16_64 0
		.amdhsa_float_denorm_mode_32 3
		.amdhsa_float_denorm_mode_16_64 3
		.amdhsa_dx10_clamp 1
		.amdhsa_ieee_mode 1
		.amdhsa_fp16_overflow 0
		.amdhsa_workgroup_processor_mode 1
		.amdhsa_memory_ordered 1
		.amdhsa_forward_progress 0
		.amdhsa_shared_vgpr_count 0
		.amdhsa_exception_fp_ieee_invalid_op 0
		.amdhsa_exception_fp_denorm_src 0
		.amdhsa_exception_fp_ieee_div_zero 0
		.amdhsa_exception_fp_ieee_overflow 0
		.amdhsa_exception_fp_ieee_underflow 0
		.amdhsa_exception_fp_ieee_inexact 0
		.amdhsa_exception_int_div_zero 0
	.end_amdhsa_kernel
	.section	.text._ZN9rocsparseL26csrgemm_fill_block_per_rowILj1024ELj64ELj8192ELj137ELj32EllfEEvT5_PKS1_S3_NS_24const_host_device_scalarIT6_EEPKT4_S3_PKS5_S9_S3_SB_S6_S9_S3_SB_S9_PS1_PS5_21rocsparse_index_base_SE_SE_SE_bbb,"axG",@progbits,_ZN9rocsparseL26csrgemm_fill_block_per_rowILj1024ELj64ELj8192ELj137ELj32EllfEEvT5_PKS1_S3_NS_24const_host_device_scalarIT6_EEPKT4_S3_PKS5_S9_S3_SB_S6_S9_S3_SB_S9_PS1_PS5_21rocsparse_index_base_SE_SE_SE_bbb,comdat
.Lfunc_end103:
	.size	_ZN9rocsparseL26csrgemm_fill_block_per_rowILj1024ELj64ELj8192ELj137ELj32EllfEEvT5_PKS1_S3_NS_24const_host_device_scalarIT6_EEPKT4_S3_PKS5_S9_S3_SB_S6_S9_S3_SB_S9_PS1_PS5_21rocsparse_index_base_SE_SE_SE_bbb, .Lfunc_end103-_ZN9rocsparseL26csrgemm_fill_block_per_rowILj1024ELj64ELj8192ELj137ELj32EllfEEvT5_PKS1_S3_NS_24const_host_device_scalarIT6_EEPKT4_S3_PKS5_S9_S3_SB_S6_S9_S3_SB_S9_PS1_PS5_21rocsparse_index_base_SE_SE_SE_bbb
                                        ; -- End function
	.section	.AMDGPU.csdata,"",@progbits
; Kernel info:
; codeLenInByte = 4944
; NumSgprs: 80
; NumVgprs: 23
; ScratchSize: 0
; MemoryBound: 0
; FloatMode: 240
; IeeeMode: 1
; LDSByteSize: 0 bytes/workgroup (compile time only)
; SGPRBlocks: 9
; VGPRBlocks: 2
; NumSGPRsForWavesPerEU: 80
; NumVGPRsForWavesPerEU: 23
; Occupancy: 16
; WaveLimiterHint : 1
; COMPUTE_PGM_RSRC2:SCRATCH_EN: 0
; COMPUTE_PGM_RSRC2:USER_SGPR: 15
; COMPUTE_PGM_RSRC2:TRAP_HANDLER: 0
; COMPUTE_PGM_RSRC2:TGID_X_EN: 1
; COMPUTE_PGM_RSRC2:TGID_Y_EN: 0
; COMPUTE_PGM_RSRC2:TGID_Z_EN: 0
; COMPUTE_PGM_RSRC2:TIDIG_COMP_CNT: 0
	.section	.text._ZN9rocsparseL26csrgemm_fill_block_per_rowILj1024ELj64ELj8192ELj137ELj64EllfEEvT5_PKS1_S3_NS_24const_host_device_scalarIT6_EEPKT4_S3_PKS5_S9_S3_SB_S6_S9_S3_SB_S9_PS1_PS5_21rocsparse_index_base_SE_SE_SE_bbb,"axG",@progbits,_ZN9rocsparseL26csrgemm_fill_block_per_rowILj1024ELj64ELj8192ELj137ELj64EllfEEvT5_PKS1_S3_NS_24const_host_device_scalarIT6_EEPKT4_S3_PKS5_S9_S3_SB_S6_S9_S3_SB_S9_PS1_PS5_21rocsparse_index_base_SE_SE_SE_bbb,comdat
	.globl	_ZN9rocsparseL26csrgemm_fill_block_per_rowILj1024ELj64ELj8192ELj137ELj64EllfEEvT5_PKS1_S3_NS_24const_host_device_scalarIT6_EEPKT4_S3_PKS5_S9_S3_SB_S6_S9_S3_SB_S9_PS1_PS5_21rocsparse_index_base_SE_SE_SE_bbb ; -- Begin function _ZN9rocsparseL26csrgemm_fill_block_per_rowILj1024ELj64ELj8192ELj137ELj64EllfEEvT5_PKS1_S3_NS_24const_host_device_scalarIT6_EEPKT4_S3_PKS5_S9_S3_SB_S6_S9_S3_SB_S9_PS1_PS5_21rocsparse_index_base_SE_SE_SE_bbb
	.p2align	8
	.type	_ZN9rocsparseL26csrgemm_fill_block_per_rowILj1024ELj64ELj8192ELj137ELj64EllfEEvT5_PKS1_S3_NS_24const_host_device_scalarIT6_EEPKT4_S3_PKS5_S9_S3_SB_S6_S9_S3_SB_S9_PS1_PS5_21rocsparse_index_base_SE_SE_SE_bbb,@function
_ZN9rocsparseL26csrgemm_fill_block_per_rowILj1024ELj64ELj8192ELj137ELj64EllfEEvT5_PKS1_S3_NS_24const_host_device_scalarIT6_EEPKT4_S3_PKS5_S9_S3_SB_S6_S9_S3_SB_S9_PS1_PS5_21rocsparse_index_base_SE_SE_SE_bbb: ; @_ZN9rocsparseL26csrgemm_fill_block_per_rowILj1024ELj64ELj8192ELj137ELj64EllfEEvT5_PKS1_S3_NS_24const_host_device_scalarIT6_EEPKT4_S3_PKS5_S9_S3_SB_S6_S9_S3_SB_S9_PS1_PS5_21rocsparse_index_base_SE_SE_SE_bbb
; %bb.0:
	s_clause 0x4
	s_load_b32 s3, s[0:1], 0x98
	s_load_b128 s[4:7], s[0:1], 0x8
	s_load_b64 s[10:11], s[0:1], 0x18
	s_load_b128 s[16:19], s[0:1], 0x88
	s_load_b64 s[8:9], s[0:1], 0x50
	s_mov_b32 s2, s15
	s_waitcnt lgkmcnt(0)
	s_bitcmp1_b32 s3, 0
	s_cselect_b32 s12, -1, 0
	s_bitcmp1_b32 s3, 16
	s_cselect_b32 s13, -1, 0
	s_xor_b32 s14, s12, -1
	s_delay_alu instid0(SALU_CYCLE_1) | instskip(NEXT) | instid1(SALU_CYCLE_1)
	s_or_b32 s14, s14, s13
	s_and_b32 vcc_lo, exec_lo, s14
	s_cbranch_vccnz .LBB104_2
; %bb.1:
	s_load_b32 s10, s[10:11], 0x0
	s_waitcnt lgkmcnt(0)
	v_mov_b32_e32 v15, s10
	s_branch .LBB104_3
.LBB104_2:
	v_cndmask_b32_e64 v15, 0, s10, s12
.LBB104_3:
	s_bitcmp1_b32 s3, 8
	s_cselect_b32 s14, -1, 0
	s_delay_alu instid0(SALU_CYCLE_1) | instskip(NEXT) | instid1(SALU_CYCLE_1)
	s_xor_b32 s3, s14, -1
	s_or_b32 s3, s3, s13
	s_delay_alu instid0(SALU_CYCLE_1)
	s_and_b32 vcc_lo, exec_lo, s3
	s_cbranch_vccnz .LBB104_5
; %bb.4:
	s_load_b32 s3, s[8:9], 0x0
	s_waitcnt lgkmcnt(0)
	v_mov_b32_e32 v13, s3
	s_branch .LBB104_6
.LBB104_5:
	v_cndmask_b32_e64 v13, 0, s8, s14
.LBB104_6:
	s_load_b64 s[24:25], s[0:1], 0x0
	v_dual_mov_b32 v14, 0 :: v_dual_lshlrev_b32 v1, 2, v0
	v_lshl_add_u32 v12, v0, 3, 0
	s_mov_b32 s3, 0
	s_delay_alu instid0(VALU_DEP_2)
	v_add3_u32 v11, 0, v1, 0x10000
	ds_store_2addr_stride64_b32 v11, v14, v14 offset1:16
	ds_store_2addr_stride64_b32 v11, v14, v14 offset0:32 offset1:48
	ds_store_2addr_stride64_b32 v11, v14, v14 offset0:64 offset1:80
	s_waitcnt lgkmcnt(0)
	v_dual_mov_b32 v1, s24 :: v_dual_mov_b32 v2, s25
	v_dual_mov_b32 v3, s24 :: v_dual_mov_b32 v4, s25
	;; [unrolled: 1-line block ×8, first 2 shown]
	ds_store_2addr_stride64_b32 v11, v14, v14 offset0:96 offset1:112
	ds_store_2addr_stride64_b64 v12, v[1:2], v[3:4] offset1:16
	ds_store_2addr_stride64_b64 v12, v[5:6], v[7:8] offset0:32 offset1:48
	ds_store_2addr_stride64_b64 v12, v[9:10], v[16:17] offset0:64 offset1:80
	;; [unrolled: 1-line block ×3, first 2 shown]
	s_waitcnt lgkmcnt(0)
	s_barrier
	buffer_gl0_inv
	s_load_b64 s[4:5], s[4:5], 0x0
	v_lshrrev_b32_e32 v14, 6, v0
	s_waitcnt lgkmcnt(0)
	s_lshl_b64 s[4:5], s[4:5], 3
	s_delay_alu instid0(SALU_CYCLE_1) | instskip(SKIP_2) | instid1(SALU_CYCLE_1)
	s_add_u32 s4, s6, s4
	s_addc_u32 s5, s7, s5
	s_lshl_b64 s[2:3], s[2:3], 3
	s_add_u32 s2, s4, s2
	s_addc_u32 s3, s5, s3
	s_and_not1_b32 vcc_lo, exec_lo, s12
	s_load_b64 s[28:29], s[2:3], 0x0
	s_cbranch_vccnz .LBB104_26
; %bb.7:
	s_load_b64 s[2:3], s[0:1], 0x20
	s_waitcnt lgkmcnt(0)
	s_lshl_b64 s[4:5], s[28:29], 3
	s_mov_b32 s15, exec_lo
	s_add_u32 s2, s2, s4
	s_addc_u32 s3, s3, s5
	s_load_b128 s[4:7], s[2:3], 0x0
	v_sub_co_u32 v1, s2, v14, s16
	s_delay_alu instid0(VALU_DEP_1) | instskip(SKIP_1) | instid1(VALU_DEP_2)
	v_sub_co_ci_u32_e64 v2, null, 0, 0, s2
	s_waitcnt lgkmcnt(0)
	v_add_co_u32 v1, vcc_lo, s4, v1
	s_delay_alu instid0(VALU_DEP_2)
	v_add_co_ci_u32_e32 v2, vcc_lo, s5, v2, vcc_lo
	s_sub_u32 s2, s6, s16
	s_subb_u32 s3, s7, 0
	s_delay_alu instid0(VALU_DEP_1) | instid1(SALU_CYCLE_1)
	v_cmpx_gt_i64_e64 s[2:3], v[1:2]
	s_cbranch_execz .LBB104_25
; %bb.8:
	s_clause 0x1
	s_load_b64 s[12:13], s[0:1], 0x48
	s_load_b256 s[4:11], s[0:1], 0x28
	v_and_b32_e32 v3, 63, v0
	s_delay_alu instid0(VALU_DEP_1) | instskip(NEXT) | instid1(VALU_DEP_1)
	v_sub_co_u32 v16, s20, v3, s17
	v_sub_co_ci_u32_e64 v17, null, 0, 0, s20
	s_mov_b32 s20, 0
	s_branch .LBB104_10
.LBB104_9:                              ;   in Loop: Header=BB104_10 Depth=1
	s_or_b32 exec_lo, exec_lo, s21
	v_add_co_u32 v1, vcc_lo, v1, 16
	v_add_co_ci_u32_e32 v2, vcc_lo, 0, v2, vcc_lo
	s_delay_alu instid0(VALU_DEP_1) | instskip(SKIP_1) | instid1(SALU_CYCLE_1)
	v_cmp_le_i64_e32 vcc_lo, s[2:3], v[1:2]
	s_or_b32 s20, vcc_lo, s20
	s_and_not1_b32 exec_lo, exec_lo, s20
	s_cbranch_execz .LBB104_25
.LBB104_10:                             ; =>This Loop Header: Depth=1
                                        ;     Child Loop BB104_13 Depth 2
                                        ;       Child Loop BB104_15 Depth 3
	v_lshlrev_b64 v[3:4], 3, v[1:2]
	s_mov_b32 s21, exec_lo
	s_waitcnt lgkmcnt(0)
	s_delay_alu instid0(VALU_DEP_1) | instskip(NEXT) | instid1(VALU_DEP_2)
	v_add_co_u32 v3, vcc_lo, s4, v3
	v_add_co_ci_u32_e32 v4, vcc_lo, s5, v4, vcc_lo
	global_load_b64 v[3:4], v[3:4], off
	s_waitcnt vmcnt(0)
	v_sub_co_u32 v3, vcc_lo, v3, s16
	v_subrev_co_ci_u32_e32 v4, vcc_lo, 0, v4, vcc_lo
	s_delay_alu instid0(VALU_DEP_1) | instskip(NEXT) | instid1(VALU_DEP_1)
	v_lshlrev_b64 v[3:4], 3, v[3:4]
	v_add_co_u32 v3, vcc_lo, s8, v3
	s_delay_alu instid0(VALU_DEP_2)
	v_add_co_ci_u32_e32 v4, vcc_lo, s9, v4, vcc_lo
	global_load_b128 v[5:8], v[3:4], off
	s_waitcnt vmcnt(0)
	v_sub_co_u32 v3, vcc_lo, v7, s17
	v_subrev_co_ci_u32_e32 v4, vcc_lo, 0, v8, vcc_lo
	v_add_co_u32 v5, vcc_lo, v5, v16
	v_add_co_ci_u32_e32 v6, vcc_lo, v6, v17, vcc_lo
	s_delay_alu instid0(VALU_DEP_1)
	v_cmpx_lt_i64_e64 v[5:6], v[3:4]
	s_cbranch_execz .LBB104_9
; %bb.11:                               ;   in Loop: Header=BB104_10 Depth=1
	v_lshlrev_b64 v[7:8], 2, v[1:2]
	s_mov_b32 s22, 0
	s_delay_alu instid0(VALU_DEP_1) | instskip(NEXT) | instid1(VALU_DEP_2)
	v_add_co_u32 v7, vcc_lo, s6, v7
	v_add_co_ci_u32_e32 v8, vcc_lo, s7, v8, vcc_lo
	global_load_b32 v7, v[7:8], off
	s_waitcnt vmcnt(0)
	v_mul_f32_e32 v18, v15, v7
	s_branch .LBB104_13
.LBB104_12:                             ;   in Loop: Header=BB104_13 Depth=2
	s_or_b32 exec_lo, exec_lo, s23
	v_add_co_u32 v5, vcc_lo, v5, 64
	v_add_co_ci_u32_e32 v6, vcc_lo, 0, v6, vcc_lo
	s_delay_alu instid0(VALU_DEP_1) | instskip(SKIP_1) | instid1(SALU_CYCLE_1)
	v_cmp_ge_i64_e32 vcc_lo, v[5:6], v[3:4]
	s_or_b32 s22, vcc_lo, s22
	s_and_not1_b32 exec_lo, exec_lo, s22
	s_cbranch_execz .LBB104_9
.LBB104_13:                             ;   Parent Loop BB104_10 Depth=1
                                        ; =>  This Loop Header: Depth=2
                                        ;       Child Loop BB104_15 Depth 3
	v_lshlrev_b64 v[7:8], 3, v[5:6]
	v_lshlrev_b64 v[9:10], 2, v[5:6]
	s_mov_b32 s23, 0
	s_delay_alu instid0(VALU_DEP_2) | instskip(NEXT) | instid1(VALU_DEP_3)
	v_add_co_u32 v7, vcc_lo, s10, v7
	v_add_co_ci_u32_e32 v8, vcc_lo, s11, v8, vcc_lo
	s_delay_alu instid0(VALU_DEP_3) | instskip(NEXT) | instid1(VALU_DEP_4)
	v_add_co_u32 v9, vcc_lo, s12, v9
	v_add_co_ci_u32_e32 v10, vcc_lo, s13, v10, vcc_lo
	global_load_b64 v[7:8], v[7:8], off
	global_load_b32 v9, v[9:10], off
	s_waitcnt vmcnt(1)
	v_sub_co_u32 v7, vcc_lo, v7, s17
	v_subrev_co_ci_u32_e32 v8, vcc_lo, 0, v8, vcc_lo
	s_delay_alu instid0(VALU_DEP_2) | instskip(SKIP_1) | instid1(VALU_DEP_1)
	v_mul_lo_u32 v10, 0x89, v7
	s_waitcnt vmcnt(0)
	v_dual_mul_f32 v19, v18, v9 :: v_dual_and_b32 v20, 0x1fff, v10
	s_branch .LBB104_15
.LBB104_14:                             ;   in Loop: Header=BB104_15 Depth=3
	s_or_b32 exec_lo, exec_lo, s26
	s_xor_b32 s26, s27, -1
	s_delay_alu instid0(SALU_CYCLE_1) | instskip(NEXT) | instid1(SALU_CYCLE_1)
	s_and_b32 s26, exec_lo, s26
	s_or_b32 s23, s26, s23
	s_delay_alu instid0(SALU_CYCLE_1)
	s_and_not1_b32 exec_lo, exec_lo, s23
	s_cbranch_execz .LBB104_12
.LBB104_15:                             ;   Parent Loop BB104_10 Depth=1
                                        ;     Parent Loop BB104_13 Depth=2
                                        ; =>    This Inner Loop Header: Depth=3
	s_delay_alu instid0(VALU_DEP_1)
	v_lshl_add_u32 v21, v20, 3, 0
	s_mov_b32 s26, exec_lo
                                        ; implicit-def: $sgpr27
	ds_load_b64 v[9:10], v21
	s_waitcnt lgkmcnt(0)
	v_cmpx_ne_u64_e64 v[9:10], v[7:8]
	s_xor_b32 s26, exec_lo, s26
	s_cbranch_execz .LBB104_23
; %bb.16:                               ;   in Loop: Header=BB104_15 Depth=3
	s_mov_b32 s30, exec_lo
                                        ; implicit-def: $sgpr27
	v_cmpx_ne_u64_e64 s[24:25], v[9:10]
	s_xor_b32 s30, exec_lo, s30
; %bb.17:                               ;   in Loop: Header=BB104_15 Depth=3
	v_add_nc_u32_e32 v9, 1, v20
	s_mov_b32 s27, -1
                                        ; implicit-def: $vgpr21
	s_delay_alu instid0(VALU_DEP_1)
	v_and_b32_e32 v20, 0x1fff, v9
; %bb.18:                               ;   in Loop: Header=BB104_15 Depth=3
	s_and_not1_saveexec_b32 s30, s30
	s_cbranch_execz .LBB104_22
; %bb.19:                               ;   in Loop: Header=BB104_15 Depth=3
	v_dual_mov_b32 v9, s24 :: v_dual_mov_b32 v10, s25
	s_mov_b32 s31, -1
	s_mov_b32 s33, exec_lo
	ds_cmpstore_rtn_b64 v[9:10], v21, v[7:8], v[9:10]
	s_waitcnt lgkmcnt(0)
	v_cmpx_eq_u64_e64 s[24:25], v[9:10]
	s_cbranch_execz .LBB104_21
; %bb.20:                               ;   in Loop: Header=BB104_15 Depth=3
	v_lshlrev_b32_e32 v9, 2, v20
	s_xor_b32 s31, exec_lo, -1
	s_delay_alu instid0(VALU_DEP_1)
	v_add3_u32 v9, 0, v9, 0x10000
	ds_add_f32 v9, v19
.LBB104_21:                             ;   in Loop: Header=BB104_15 Depth=3
	s_or_b32 exec_lo, exec_lo, s33
	s_delay_alu instid0(SALU_CYCLE_1) | instskip(SKIP_1) | instid1(SALU_CYCLE_1)
	s_and_not1_b32 s27, s27, exec_lo
	s_and_b32 s31, s31, exec_lo
	s_or_b32 s27, s27, s31
.LBB104_22:                             ;   in Loop: Header=BB104_15 Depth=3
	s_or_b32 exec_lo, exec_lo, s30
	s_delay_alu instid0(SALU_CYCLE_1)
	s_and_b32 s27, s27, exec_lo
.LBB104_23:                             ;   in Loop: Header=BB104_15 Depth=3
	s_and_not1_saveexec_b32 s26, s26
	s_cbranch_execz .LBB104_14
; %bb.24:                               ;   in Loop: Header=BB104_15 Depth=3
	v_lshlrev_b32_e32 v9, 2, v20
	s_and_not1_b32 s27, s27, exec_lo
	s_delay_alu instid0(VALU_DEP_1)
	v_add3_u32 v9, 0, v9, 0x10000
	ds_add_f32 v9, v19
	s_branch .LBB104_14
.LBB104_25:
	s_or_b32 exec_lo, exec_lo, s15
.LBB104_26:
	s_clause 0x1
	s_load_b64 s[26:27], s[0:1], 0x80
	s_load_b128 s[20:23], s[0:1], 0x70
	s_and_not1_b32 vcc_lo, exec_lo, s14
	s_cbranch_vccnz .LBB104_43
; %bb.27:
	s_load_b64 s[2:3], s[0:1], 0x58
	s_waitcnt lgkmcnt(0)
	s_lshl_b64 s[4:5], s[28:29], 3
	s_delay_alu instid0(SALU_CYCLE_1) | instskip(SKIP_3) | instid1(VALU_DEP_1)
	s_add_u32 s2, s2, s4
	s_addc_u32 s3, s3, s5
	s_load_b128 s[4:7], s[2:3], 0x0
	v_sub_co_u32 v1, s2, v0, s19
	v_sub_co_ci_u32_e64 v2, null, 0, 0, s2
	s_waitcnt lgkmcnt(0)
	s_delay_alu instid0(VALU_DEP_2) | instskip(NEXT) | instid1(VALU_DEP_2)
	v_add_co_u32 v1, vcc_lo, s4, v1
	v_add_co_ci_u32_e32 v2, vcc_lo, s5, v2, vcc_lo
	s_sub_u32 s4, s6, s19
	s_subb_u32 s5, s7, 0
	s_mov_b32 s6, 0
	s_mov_b32 s7, exec_lo
	v_cmpx_gt_i64_e64 s[4:5], v[1:2]
	s_cbranch_execz .LBB104_42
; %bb.28:
	s_load_b128 s[0:3], s[0:1], 0x60
	s_mov_b32 s8, s19
	s_branch .LBB104_30
.LBB104_29:                             ;   in Loop: Header=BB104_30 Depth=1
	s_or_b32 exec_lo, exec_lo, s9
	v_add_co_u32 v1, vcc_lo, 0x400, v1
	v_add_co_ci_u32_e32 v2, vcc_lo, 0, v2, vcc_lo
	s_delay_alu instid0(VALU_DEP_1) | instskip(SKIP_1) | instid1(SALU_CYCLE_1)
	v_cmp_le_i64_e32 vcc_lo, s[4:5], v[1:2]
	s_or_b32 s6, vcc_lo, s6
	s_and_not1_b32 exec_lo, exec_lo, s6
	s_cbranch_execz .LBB104_42
.LBB104_30:                             ; =>This Loop Header: Depth=1
                                        ;     Child Loop BB104_32 Depth 2
	v_lshlrev_b64 v[3:4], 3, v[1:2]
	v_lshlrev_b64 v[5:6], 2, v[1:2]
	s_mov_b32 s9, 0
	s_waitcnt lgkmcnt(0)
	s_delay_alu instid0(VALU_DEP_2) | instskip(NEXT) | instid1(VALU_DEP_3)
	v_add_co_u32 v3, vcc_lo, s0, v3
	v_add_co_ci_u32_e32 v4, vcc_lo, s1, v4, vcc_lo
	s_delay_alu instid0(VALU_DEP_3)
	v_add_co_u32 v5, vcc_lo, s2, v5
	v_add_co_ci_u32_e32 v6, vcc_lo, s3, v6, vcc_lo
	global_load_b64 v[3:4], v[3:4], off
	global_load_b32 v5, v[5:6], off
	s_waitcnt vmcnt(1)
	v_sub_co_u32 v3, vcc_lo, v3, s8
	v_subrev_co_ci_u32_e32 v4, vcc_lo, 0, v4, vcc_lo
	s_delay_alu instid0(VALU_DEP_2) | instskip(SKIP_1) | instid1(VALU_DEP_1)
	v_mul_lo_u32 v6, 0x89, v3
	s_waitcnt vmcnt(0)
	v_dual_mul_f32 v7, v13, v5 :: v_dual_and_b32 v8, 0x1fff, v6
	s_branch .LBB104_32
.LBB104_31:                             ;   in Loop: Header=BB104_32 Depth=2
	s_or_b32 exec_lo, exec_lo, s10
	s_xor_b32 s10, s11, -1
	s_delay_alu instid0(SALU_CYCLE_1) | instskip(NEXT) | instid1(SALU_CYCLE_1)
	s_and_b32 s10, exec_lo, s10
	s_or_b32 s9, s10, s9
	s_delay_alu instid0(SALU_CYCLE_1)
	s_and_not1_b32 exec_lo, exec_lo, s9
	s_cbranch_execz .LBB104_29
.LBB104_32:                             ;   Parent Loop BB104_30 Depth=1
                                        ; =>  This Inner Loop Header: Depth=2
	s_delay_alu instid0(VALU_DEP_1)
	v_lshl_add_u32 v9, v8, 3, 0
	s_mov_b32 s10, exec_lo
                                        ; implicit-def: $sgpr11
	ds_load_b64 v[5:6], v9
	s_waitcnt lgkmcnt(0)
	v_cmpx_ne_u64_e64 v[5:6], v[3:4]
	s_xor_b32 s10, exec_lo, s10
	s_cbranch_execz .LBB104_40
; %bb.33:                               ;   in Loop: Header=BB104_32 Depth=2
	s_mov_b32 s12, exec_lo
                                        ; implicit-def: $sgpr11
	v_cmpx_ne_u64_e64 s[24:25], v[5:6]
	s_xor_b32 s12, exec_lo, s12
; %bb.34:                               ;   in Loop: Header=BB104_32 Depth=2
	v_add_nc_u32_e32 v5, 1, v8
	s_mov_b32 s11, -1
                                        ; implicit-def: $vgpr9
	s_delay_alu instid0(VALU_DEP_1)
	v_and_b32_e32 v8, 0x1fff, v5
; %bb.35:                               ;   in Loop: Header=BB104_32 Depth=2
	s_and_not1_saveexec_b32 s12, s12
	s_cbranch_execz .LBB104_39
; %bb.36:                               ;   in Loop: Header=BB104_32 Depth=2
	v_dual_mov_b32 v5, s24 :: v_dual_mov_b32 v6, s25
	s_mov_b32 s13, -1
	s_mov_b32 s14, exec_lo
	ds_cmpstore_rtn_b64 v[5:6], v9, v[3:4], v[5:6]
	s_waitcnt lgkmcnt(0)
	v_cmpx_eq_u64_e64 s[24:25], v[5:6]
	s_cbranch_execz .LBB104_38
; %bb.37:                               ;   in Loop: Header=BB104_32 Depth=2
	v_lshlrev_b32_e32 v5, 2, v8
	s_xor_b32 s13, exec_lo, -1
	s_delay_alu instid0(VALU_DEP_1)
	v_add3_u32 v5, 0, v5, 0x10000
	ds_add_f32 v5, v7
.LBB104_38:                             ;   in Loop: Header=BB104_32 Depth=2
	s_or_b32 exec_lo, exec_lo, s14
	s_delay_alu instid0(SALU_CYCLE_1) | instskip(SKIP_1) | instid1(SALU_CYCLE_1)
	s_and_not1_b32 s11, s11, exec_lo
	s_and_b32 s13, s13, exec_lo
	s_or_b32 s11, s11, s13
.LBB104_39:                             ;   in Loop: Header=BB104_32 Depth=2
	s_or_b32 exec_lo, exec_lo, s12
	s_delay_alu instid0(SALU_CYCLE_1)
	s_and_b32 s11, s11, exec_lo
.LBB104_40:                             ;   in Loop: Header=BB104_32 Depth=2
	s_and_not1_saveexec_b32 s10, s10
	s_cbranch_execz .LBB104_31
; %bb.41:                               ;   in Loop: Header=BB104_32 Depth=2
	v_lshlrev_b32_e32 v5, 2, v8
	s_and_not1_b32 s11, s11, exec_lo
	s_delay_alu instid0(VALU_DEP_1)
	v_add3_u32 v5, 0, v5, 0x10000
	ds_add_f32 v5, v7
	s_branch .LBB104_31
.LBB104_42:
	s_or_b32 exec_lo, exec_lo, s7
.LBB104_43:
	v_mbcnt_lo_u32_b32 v1, -1, 0
	v_dual_mov_b32 v5, 0 :: v_dual_lshlrev_b32 v2, 3, v14
	s_add_i32 s41, 0, 0x18078
	v_cmp_eq_u32_e32 vcc_lo, 0x3ff, v0
	s_delay_alu instid0(VALU_DEP_3) | instskip(NEXT) | instid1(VALU_DEP_3)
	v_xor_b32_e32 v1, 63, v1
	v_add3_u32 v10, 0, 0x18000, v2
	v_cmp_lt_u32_e64 s0, 63, v0
	v_cmp_lt_u32_e64 s1, 0x7f, v0
	v_cmp_lt_u32_e64 s2, 0xbf, v0
	v_lshrrev_b64 v[1:2], v1, -1
	v_mov_b32_e32 v2, 0
	v_cmp_lt_u32_e64 s3, 0xff, v0
	v_cmp_lt_u32_e64 s4, 0x13f, v0
	;; [unrolled: 1-line block ×12, first 2 shown]
	v_or_b32_e32 v13, 0xfffffc00, v0
	v_dual_mov_b32 v3, 0 :: v_dual_mov_b32 v14, s41
	s_mov_b32 s17, 0
	s_add_i32 s19, 0, 0x18000
	s_add_i32 s30, 0, 0x18008
	;; [unrolled: 1-line block ×15, first 2 shown]
	s_waitcnt lgkmcnt(0)
	s_barrier
	buffer_gl0_inv
	s_branch .LBB104_45
.LBB104_44:                             ;   in Loop: Header=BB104_45 Depth=1
	s_or_b32 exec_lo, exec_lo, s15
	s_waitcnt lgkmcnt(0)
	s_barrier
	buffer_gl0_inv
	ds_load_b64 v[6:7], v14
	v_add_nc_u32_e32 v13, 0x400, v13
	v_add_nc_u32_e32 v11, 0x1000, v11
	;; [unrolled: 1-line block ×3, first 2 shown]
	s_delay_alu instid0(VALU_DEP_3) | instskip(NEXT) | instid1(VALU_DEP_1)
	v_cmp_lt_u32_e64 s15, 0x1bff, v13
	s_or_b32 s17, s15, s17
	s_waitcnt lgkmcnt(0)
	v_add_co_u32 v2, s16, v6, v2
	s_delay_alu instid0(VALU_DEP_1)
	v_add_co_ci_u32_e64 v3, s16, v7, v3, s16
	s_and_not1_b32 exec_lo, exec_lo, s17
	s_cbranch_execz .LBB104_79
.LBB104_45:                             ; =>This Inner Loop Header: Depth=1
	ds_load_b64 v[6:7], v12
	ds_load_b32 v15, v11
	s_waitcnt lgkmcnt(0)
	s_barrier
	buffer_gl0_inv
	v_cmp_gt_i64_e64 s15, s[24:25], v[6:7]
	s_delay_alu instid0(VALU_DEP_1) | instskip(SKIP_1) | instid1(SALU_CYCLE_1)
	v_and_b32_e32 v8, s15, v1
	s_bcnt1_i32_b32 s16, s15
	v_mov_b32_e32 v4, s16
	s_delay_alu instid0(VALU_DEP_2)
	v_bcnt_u32_b32 v8, v8, 0
	ds_store_b64 v10, v[4:5]
	s_waitcnt lgkmcnt(0)
	s_barrier
	buffer_gl0_inv
	s_and_saveexec_b32 s16, s0
	s_cbranch_execnz .LBB104_62
; %bb.46:                               ;   in Loop: Header=BB104_45 Depth=1
	s_or_b32 exec_lo, exec_lo, s16
	s_and_saveexec_b32 s16, s1
	s_cbranch_execnz .LBB104_63
.LBB104_47:                             ;   in Loop: Header=BB104_45 Depth=1
	s_or_b32 exec_lo, exec_lo, s16
	s_and_saveexec_b32 s16, s2
	s_cbranch_execnz .LBB104_64
.LBB104_48:                             ;   in Loop: Header=BB104_45 Depth=1
	s_or_b32 exec_lo, exec_lo, s16
	s_and_saveexec_b32 s16, s3
	s_cbranch_execnz .LBB104_65
.LBB104_49:                             ;   in Loop: Header=BB104_45 Depth=1
	s_or_b32 exec_lo, exec_lo, s16
	s_and_saveexec_b32 s16, s4
	s_cbranch_execnz .LBB104_66
.LBB104_50:                             ;   in Loop: Header=BB104_45 Depth=1
	s_or_b32 exec_lo, exec_lo, s16
	s_and_saveexec_b32 s16, s5
	s_cbranch_execnz .LBB104_67
.LBB104_51:                             ;   in Loop: Header=BB104_45 Depth=1
	s_or_b32 exec_lo, exec_lo, s16
	s_and_saveexec_b32 s16, s6
	s_cbranch_execnz .LBB104_68
.LBB104_52:                             ;   in Loop: Header=BB104_45 Depth=1
	s_or_b32 exec_lo, exec_lo, s16
	s_and_saveexec_b32 s16, s7
	s_cbranch_execnz .LBB104_69
.LBB104_53:                             ;   in Loop: Header=BB104_45 Depth=1
	s_or_b32 exec_lo, exec_lo, s16
	s_and_saveexec_b32 s16, s8
	s_cbranch_execnz .LBB104_70
.LBB104_54:                             ;   in Loop: Header=BB104_45 Depth=1
	s_or_b32 exec_lo, exec_lo, s16
	s_and_saveexec_b32 s16, s9
	s_cbranch_execnz .LBB104_71
.LBB104_55:                             ;   in Loop: Header=BB104_45 Depth=1
	s_or_b32 exec_lo, exec_lo, s16
	s_and_saveexec_b32 s16, s10
	s_cbranch_execnz .LBB104_72
.LBB104_56:                             ;   in Loop: Header=BB104_45 Depth=1
	s_or_b32 exec_lo, exec_lo, s16
	s_and_saveexec_b32 s16, s11
	s_cbranch_execnz .LBB104_73
.LBB104_57:                             ;   in Loop: Header=BB104_45 Depth=1
	s_or_b32 exec_lo, exec_lo, s16
	s_and_saveexec_b32 s16, s12
	s_cbranch_execnz .LBB104_74
.LBB104_58:                             ;   in Loop: Header=BB104_45 Depth=1
	s_or_b32 exec_lo, exec_lo, s16
	s_and_saveexec_b32 s16, s13
	s_cbranch_execnz .LBB104_75
.LBB104_59:                             ;   in Loop: Header=BB104_45 Depth=1
	s_or_b32 exec_lo, exec_lo, s16
	s_and_saveexec_b32 s16, s14
	s_cbranch_execnz .LBB104_76
.LBB104_60:                             ;   in Loop: Header=BB104_45 Depth=1
	s_or_b32 exec_lo, exec_lo, s16
	v_ashrrev_i32_e32 v9, 31, v8
	s_and_saveexec_b32 s16, s15
	s_cbranch_execnz .LBB104_77
.LBB104_61:                             ;   in Loop: Header=BB104_45 Depth=1
	s_or_b32 exec_lo, exec_lo, s16
	s_and_saveexec_b32 s15, vcc_lo
	s_cbranch_execz .LBB104_44
	s_branch .LBB104_78
.LBB104_62:                             ;   in Loop: Header=BB104_45 Depth=1
	v_mov_b32_e32 v4, s19
	ds_load_b32 v4, v4
	s_waitcnt lgkmcnt(0)
	v_add_nc_u32_e32 v8, v4, v8
	s_or_b32 exec_lo, exec_lo, s16
	s_and_saveexec_b32 s16, s1
	s_cbranch_execz .LBB104_47
.LBB104_63:                             ;   in Loop: Header=BB104_45 Depth=1
	v_mov_b32_e32 v4, s30
	ds_load_b32 v4, v4
	s_waitcnt lgkmcnt(0)
	v_add_nc_u32_e32 v8, v8, v4
	s_or_b32 exec_lo, exec_lo, s16
	s_and_saveexec_b32 s16, s2
	s_cbranch_execz .LBB104_48
.LBB104_64:                             ;   in Loop: Header=BB104_45 Depth=1
	v_mov_b32_e32 v4, s31
	ds_load_b32 v4, v4
	s_waitcnt lgkmcnt(0)
	v_add_nc_u32_e32 v8, v8, v4
	s_or_b32 exec_lo, exec_lo, s16
	s_and_saveexec_b32 s16, s3
	s_cbranch_execz .LBB104_49
.LBB104_65:                             ;   in Loop: Header=BB104_45 Depth=1
	v_mov_b32_e32 v4, s33
	ds_load_b32 v4, v4
	s_waitcnt lgkmcnt(0)
	v_add_nc_u32_e32 v8, v8, v4
	s_or_b32 exec_lo, exec_lo, s16
	s_and_saveexec_b32 s16, s4
	s_cbranch_execz .LBB104_50
.LBB104_66:                             ;   in Loop: Header=BB104_45 Depth=1
	v_mov_b32_e32 v4, s34
	ds_load_b32 v4, v4
	s_waitcnt lgkmcnt(0)
	v_add_nc_u32_e32 v8, v8, v4
	s_or_b32 exec_lo, exec_lo, s16
	s_and_saveexec_b32 s16, s5
	s_cbranch_execz .LBB104_51
.LBB104_67:                             ;   in Loop: Header=BB104_45 Depth=1
	v_mov_b32_e32 v4, s35
	ds_load_b32 v4, v4
	s_waitcnt lgkmcnt(0)
	v_add_nc_u32_e32 v8, v8, v4
	s_or_b32 exec_lo, exec_lo, s16
	s_and_saveexec_b32 s16, s6
	s_cbranch_execz .LBB104_52
.LBB104_68:                             ;   in Loop: Header=BB104_45 Depth=1
	v_mov_b32_e32 v4, s36
	ds_load_b32 v4, v4
	s_waitcnt lgkmcnt(0)
	v_add_nc_u32_e32 v8, v8, v4
	s_or_b32 exec_lo, exec_lo, s16
	s_and_saveexec_b32 s16, s7
	s_cbranch_execz .LBB104_53
.LBB104_69:                             ;   in Loop: Header=BB104_45 Depth=1
	v_mov_b32_e32 v4, s37
	ds_load_b32 v4, v4
	s_waitcnt lgkmcnt(0)
	v_add_nc_u32_e32 v8, v8, v4
	s_or_b32 exec_lo, exec_lo, s16
	s_and_saveexec_b32 s16, s8
	s_cbranch_execz .LBB104_54
.LBB104_70:                             ;   in Loop: Header=BB104_45 Depth=1
	v_mov_b32_e32 v4, s38
	ds_load_b32 v4, v4
	s_waitcnt lgkmcnt(0)
	v_add_nc_u32_e32 v8, v8, v4
	s_or_b32 exec_lo, exec_lo, s16
	s_and_saveexec_b32 s16, s9
	s_cbranch_execz .LBB104_55
.LBB104_71:                             ;   in Loop: Header=BB104_45 Depth=1
	v_mov_b32_e32 v4, s39
	ds_load_b32 v4, v4
	s_waitcnt lgkmcnt(0)
	v_add_nc_u32_e32 v8, v8, v4
	s_or_b32 exec_lo, exec_lo, s16
	s_and_saveexec_b32 s16, s10
	s_cbranch_execz .LBB104_56
.LBB104_72:                             ;   in Loop: Header=BB104_45 Depth=1
	v_mov_b32_e32 v4, s40
	ds_load_b32 v4, v4
	s_waitcnt lgkmcnt(0)
	v_add_nc_u32_e32 v8, v8, v4
	s_or_b32 exec_lo, exec_lo, s16
	s_and_saveexec_b32 s16, s11
	s_cbranch_execz .LBB104_57
.LBB104_73:                             ;   in Loop: Header=BB104_45 Depth=1
	v_mov_b32_e32 v4, s42
	ds_load_b32 v4, v4
	s_waitcnt lgkmcnt(0)
	v_add_nc_u32_e32 v8, v8, v4
	s_or_b32 exec_lo, exec_lo, s16
	s_and_saveexec_b32 s16, s12
	s_cbranch_execz .LBB104_58
.LBB104_74:                             ;   in Loop: Header=BB104_45 Depth=1
	v_mov_b32_e32 v4, s43
	ds_load_b32 v4, v4
	s_waitcnt lgkmcnt(0)
	v_add_nc_u32_e32 v8, v8, v4
	s_or_b32 exec_lo, exec_lo, s16
	s_and_saveexec_b32 s16, s13
	s_cbranch_execz .LBB104_59
.LBB104_75:                             ;   in Loop: Header=BB104_45 Depth=1
	v_mov_b32_e32 v4, s44
	ds_load_b32 v4, v4
	s_waitcnt lgkmcnt(0)
	v_add_nc_u32_e32 v8, v8, v4
	s_or_b32 exec_lo, exec_lo, s16
	s_and_saveexec_b32 s16, s14
	s_cbranch_execz .LBB104_60
.LBB104_76:                             ;   in Loop: Header=BB104_45 Depth=1
	v_mov_b32_e32 v4, s45
	ds_load_b32 v4, v4
	s_waitcnt lgkmcnt(0)
	v_add_nc_u32_e32 v8, v8, v4
	s_or_b32 exec_lo, exec_lo, s16
	s_delay_alu instid0(VALU_DEP_1)
	v_ashrrev_i32_e32 v9, 31, v8
	s_and_saveexec_b32 s16, s15
	s_cbranch_execz .LBB104_61
.LBB104_77:                             ;   in Loop: Header=BB104_45 Depth=1
	v_add3_u32 v4, v2, -1, v8
	s_delay_alu instid0(VALU_DEP_1) | instskip(SKIP_1) | instid1(VALU_DEP_2)
	v_lshlrev_b32_e32 v16, 2, v4
	v_lshl_add_u32 v4, v4, 3, 0
	v_add3_u32 v16, 0, v16, 0x10000
	ds_store_b64 v4, v[6:7]
	ds_store_b32 v16, v15
	s_or_b32 exec_lo, exec_lo, s16
	s_and_saveexec_b32 s15, vcc_lo
	s_cbranch_execz .LBB104_44
.LBB104_78:                             ;   in Loop: Header=BB104_45 Depth=1
	v_mov_b32_e32 v4, s41
	ds_store_b64 v4, v[8:9]
	s_branch .LBB104_44
.LBB104_79:
	s_or_b32 exec_lo, exec_lo, s17
	s_lshl_b64 s[0:1], s[28:29], 3
	v_mov_b32_e32 v1, 0
	s_add_u32 s0, s20, s0
	s_addc_u32 s1, s21, s1
	s_mov_b32 s6, exec_lo
	s_load_b128 s[0:3], s[0:1], 0x0
	s_waitcnt lgkmcnt(0)
	s_sub_u32 s4, s2, s0
	s_subb_u32 s5, s3, s1
	s_delay_alu instid0(SALU_CYCLE_1)
	v_cmpx_gt_i64_e64 s[4:5], v[0:1]
	s_cbranch_execz .LBB104_89
; %bb.80:
	s_sub_u32 s8, s0, s18
	s_subb_u32 s9, s1, 0
	s_and_b32 s6, s4, 7
	s_sub_u32 s0, s0, s2
	s_subb_u32 s1, s1, s3
	s_mov_b32 s7, 0
	v_cmp_lt_u64_e64 s12, s[0:1], -7
	s_and_b32 s2, s4, -8
	s_cmp_lg_u64 s[6:7], 0
	s_mov_b32 s3, s5
	s_cselect_b32 s13, -1, 0
	s_mov_b32 s14, s7
	s_branch .LBB104_82
.LBB104_81:                             ;   in Loop: Header=BB104_82 Depth=1
	s_waitcnt lgkmcnt(1)
	v_add_co_u32 v2, vcc_lo, v2, s18
	v_lshlrev_b64 v[7:8], 3, v[4:5]
	v_add_co_ci_u32_e32 v3, vcc_lo, 0, v3, vcc_lo
	v_add_co_u32 v0, vcc_lo, 0x400, v0
	v_add_co_ci_u32_e32 v1, vcc_lo, 0, v1, vcc_lo
	v_lshlrev_b64 v[4:5], 2, v[4:5]
	v_add_co_u32 v7, vcc_lo, s22, v7
	v_add_co_ci_u32_e32 v8, vcc_lo, s23, v8, vcc_lo
	s_delay_alu instid0(VALU_DEP_4) | instskip(NEXT) | instid1(VALU_DEP_4)
	v_cmp_le_i64_e32 vcc_lo, s[4:5], v[0:1]
	v_add_co_u32 v4, s0, s26, v4
	s_delay_alu instid0(VALU_DEP_1) | instskip(SKIP_4) | instid1(SALU_CYCLE_1)
	v_add_co_ci_u32_e64 v5, s0, s27, v5, s0
	global_store_b64 v[7:8], v[2:3], off
	s_waitcnt lgkmcnt(0)
	global_store_b32 v[4:5], v6, off
	s_or_b32 s14, vcc_lo, s14
	s_and_not1_b32 exec_lo, exec_lo, s14
	s_cbranch_execz .LBB104_89
.LBB104_82:                             ; =>This Loop Header: Depth=1
                                        ;     Child Loop BB104_84 Depth 2
                                        ;     Child Loop BB104_88 Depth 2
	v_lshlrev_b32_e32 v2, 2, v0
	v_lshl_add_u32 v3, v0, 3, 0
	s_and_not1_b32 vcc_lo, exec_lo, s12
	s_mov_b64 s[0:1], 0
	s_delay_alu instid0(VALU_DEP_2)
	v_add3_u32 v4, 0, v2, 0x10000
	ds_load_b64 v[2:3], v3
	ds_load_b32 v6, v4
	v_dual_mov_b32 v4, s8 :: v_dual_mov_b32 v5, s9
	s_cbranch_vccnz .LBB104_86
; %bb.83:                               ;   in Loop: Header=BB104_82 Depth=1
	v_dual_mov_b32 v4, s8 :: v_dual_mov_b32 v5, s9
	s_mov_b64 s[10:11], 0
	s_mov_b32 s1, 0
.LBB104_84:                             ;   Parent Loop BB104_82 Depth=1
                                        ; =>  This Inner Loop Header: Depth=2
	s_delay_alu instid0(SALU_CYCLE_1)
	v_mov_b32_e32 v19, s1
	s_add_u32 s10, s10, 8
	s_addc_u32 s11, s11, 0
	s_add_i32 s1, s1, 64
	s_cmp_eq_u64 s[2:3], s[10:11]
	ds_load_2addr_b64 v[7:10], v19 offset1:1
	ds_load_2addr_b64 v[11:14], v19 offset0:2 offset1:3
	ds_load_2addr_b64 v[15:18], v19 offset0:4 offset1:5
	;; [unrolled: 1-line block ×3, first 2 shown]
	s_waitcnt lgkmcnt(3)
	v_cmp_gt_i64_e32 vcc_lo, v[2:3], v[7:8]
	v_cndmask_b32_e64 v7, 0, 1, vcc_lo
	v_cmp_gt_i64_e32 vcc_lo, v[2:3], v[9:10]
	v_cndmask_b32_e64 v8, 0, 1, vcc_lo
	s_waitcnt lgkmcnt(2)
	v_cmp_gt_i64_e32 vcc_lo, v[2:3], v[11:12]
	v_cndmask_b32_e64 v9, 0, 1, vcc_lo
	v_cmp_gt_i64_e32 vcc_lo, v[2:3], v[13:14]
	v_cndmask_b32_e64 v10, 0, 1, vcc_lo
	s_waitcnt lgkmcnt(1)
	v_cmp_gt_i64_e32 vcc_lo, v[2:3], v[15:16]
	v_cndmask_b32_e64 v11, 0, 1, vcc_lo
	v_add_co_u32 v4, vcc_lo, v4, v7
	v_add_co_ci_u32_e32 v5, vcc_lo, 0, v5, vcc_lo
	v_cmp_gt_i64_e32 vcc_lo, v[2:3], v[17:18]
	s_delay_alu instid0(VALU_DEP_3) | instskip(NEXT) | instid1(VALU_DEP_1)
	v_add_co_u32 v4, s0, v4, v8
	v_add_co_ci_u32_e64 v5, s0, 0, v5, s0
	v_cndmask_b32_e64 v7, 0, 1, vcc_lo
	s_delay_alu instid0(VALU_DEP_3) | instskip(NEXT) | instid1(VALU_DEP_3)
	v_add_co_u32 v4, vcc_lo, v4, v9
	v_add_co_ci_u32_e32 v5, vcc_lo, 0, v5, vcc_lo
	s_waitcnt lgkmcnt(0)
	v_cmp_gt_i64_e32 vcc_lo, v[2:3], v[19:20]
	s_delay_alu instid0(VALU_DEP_3) | instskip(NEXT) | instid1(VALU_DEP_1)
	v_add_co_u32 v4, s0, v4, v10
	v_add_co_ci_u32_e64 v5, s0, 0, v5, s0
	v_cndmask_b32_e64 v8, 0, 1, vcc_lo
	s_delay_alu instid0(VALU_DEP_3) | instskip(NEXT) | instid1(VALU_DEP_3)
	v_add_co_u32 v4, vcc_lo, v4, v11
	v_add_co_ci_u32_e32 v5, vcc_lo, 0, v5, vcc_lo
	v_cmp_gt_i64_e32 vcc_lo, v[2:3], v[21:22]
	s_delay_alu instid0(VALU_DEP_3) | instskip(NEXT) | instid1(VALU_DEP_1)
	v_add_co_u32 v4, s0, v4, v7
	v_add_co_ci_u32_e64 v5, s0, 0, v5, s0
	v_cndmask_b32_e64 v7, 0, 1, vcc_lo
	s_delay_alu instid0(VALU_DEP_3) | instskip(NEXT) | instid1(VALU_DEP_3)
	v_add_co_u32 v4, vcc_lo, v4, v8
	v_add_co_ci_u32_e32 v5, vcc_lo, 0, v5, vcc_lo
	s_delay_alu instid0(VALU_DEP_2) | instskip(NEXT) | instid1(VALU_DEP_2)
	v_add_co_u32 v4, vcc_lo, v4, v7
	v_add_co_ci_u32_e32 v5, vcc_lo, 0, v5, vcc_lo
	s_cbranch_scc0 .LBB104_84
; %bb.85:                               ;   in Loop: Header=BB104_82 Depth=1
	s_mov_b64 s[0:1], s[2:3]
.LBB104_86:                             ;   in Loop: Header=BB104_82 Depth=1
	s_and_not1_b32 vcc_lo, exec_lo, s13
	s_cbranch_vccnz .LBB104_81
; %bb.87:                               ;   in Loop: Header=BB104_82 Depth=1
	s_lshl_b32 s0, s0, 3
	s_delay_alu instid0(SALU_CYCLE_1)
	s_add_i32 s10, s0, 0
	s_mov_b64 s[0:1], s[6:7]
.LBB104_88:                             ;   Parent Loop BB104_82 Depth=1
                                        ; =>  This Inner Loop Header: Depth=2
	v_mov_b32_e32 v7, s10
	s_add_i32 s10, s10, 8
	s_add_u32 s0, s0, -1
	s_addc_u32 s1, s1, -1
	s_delay_alu instid0(SALU_CYCLE_1) | instskip(SKIP_4) | instid1(VALU_DEP_1)
	s_cmp_lg_u64 s[0:1], 0
	ds_load_b64 v[7:8], v7
	s_waitcnt lgkmcnt(0)
	v_cmp_gt_i64_e32 vcc_lo, v[2:3], v[7:8]
	v_cndmask_b32_e64 v7, 0, 1, vcc_lo
	v_add_co_u32 v4, vcc_lo, v4, v7
	v_add_co_ci_u32_e32 v5, vcc_lo, 0, v5, vcc_lo
	s_cbranch_scc1 .LBB104_88
	s_branch .LBB104_81
.LBB104_89:
	s_nop 0
	s_sendmsg sendmsg(MSG_DEALLOC_VGPRS)
	s_endpgm
	.section	.rodata,"a",@progbits
	.p2align	6, 0x0
	.amdhsa_kernel _ZN9rocsparseL26csrgemm_fill_block_per_rowILj1024ELj64ELj8192ELj137ELj64EllfEEvT5_PKS1_S3_NS_24const_host_device_scalarIT6_EEPKT4_S3_PKS5_S9_S3_SB_S6_S9_S3_SB_S9_PS1_PS5_21rocsparse_index_base_SE_SE_SE_bbb
		.amdhsa_group_segment_fixed_size 0
		.amdhsa_private_segment_fixed_size 0
		.amdhsa_kernarg_size 156
		.amdhsa_user_sgpr_count 15
		.amdhsa_user_sgpr_dispatch_ptr 0
		.amdhsa_user_sgpr_queue_ptr 0
		.amdhsa_user_sgpr_kernarg_segment_ptr 1
		.amdhsa_user_sgpr_dispatch_id 0
		.amdhsa_user_sgpr_private_segment_size 0
		.amdhsa_wavefront_size32 1
		.amdhsa_uses_dynamic_stack 0
		.amdhsa_enable_private_segment 0
		.amdhsa_system_sgpr_workgroup_id_x 1
		.amdhsa_system_sgpr_workgroup_id_y 0
		.amdhsa_system_sgpr_workgroup_id_z 0
		.amdhsa_system_sgpr_workgroup_info 0
		.amdhsa_system_vgpr_workitem_id 0
		.amdhsa_next_free_vgpr 23
		.amdhsa_next_free_sgpr 46
		.amdhsa_reserve_vcc 1
		.amdhsa_float_round_mode_32 0
		.amdhsa_float_round_mode_16_64 0
		.amdhsa_float_denorm_mode_32 3
		.amdhsa_float_denorm_mode_16_64 3
		.amdhsa_dx10_clamp 1
		.amdhsa_ieee_mode 1
		.amdhsa_fp16_overflow 0
		.amdhsa_workgroup_processor_mode 1
		.amdhsa_memory_ordered 1
		.amdhsa_forward_progress 0
		.amdhsa_shared_vgpr_count 0
		.amdhsa_exception_fp_ieee_invalid_op 0
		.amdhsa_exception_fp_denorm_src 0
		.amdhsa_exception_fp_ieee_div_zero 0
		.amdhsa_exception_fp_ieee_overflow 0
		.amdhsa_exception_fp_ieee_underflow 0
		.amdhsa_exception_fp_ieee_inexact 0
		.amdhsa_exception_int_div_zero 0
	.end_amdhsa_kernel
	.section	.text._ZN9rocsparseL26csrgemm_fill_block_per_rowILj1024ELj64ELj8192ELj137ELj64EllfEEvT5_PKS1_S3_NS_24const_host_device_scalarIT6_EEPKT4_S3_PKS5_S9_S3_SB_S6_S9_S3_SB_S9_PS1_PS5_21rocsparse_index_base_SE_SE_SE_bbb,"axG",@progbits,_ZN9rocsparseL26csrgemm_fill_block_per_rowILj1024ELj64ELj8192ELj137ELj64EllfEEvT5_PKS1_S3_NS_24const_host_device_scalarIT6_EEPKT4_S3_PKS5_S9_S3_SB_S6_S9_S3_SB_S9_PS1_PS5_21rocsparse_index_base_SE_SE_SE_bbb,comdat
.Lfunc_end104:
	.size	_ZN9rocsparseL26csrgemm_fill_block_per_rowILj1024ELj64ELj8192ELj137ELj64EllfEEvT5_PKS1_S3_NS_24const_host_device_scalarIT6_EEPKT4_S3_PKS5_S9_S3_SB_S6_S9_S3_SB_S9_PS1_PS5_21rocsparse_index_base_SE_SE_SE_bbb, .Lfunc_end104-_ZN9rocsparseL26csrgemm_fill_block_per_rowILj1024ELj64ELj8192ELj137ELj64EllfEEvT5_PKS1_S3_NS_24const_host_device_scalarIT6_EEPKT4_S3_PKS5_S9_S3_SB_S6_S9_S3_SB_S9_PS1_PS5_21rocsparse_index_base_SE_SE_SE_bbb
                                        ; -- End function
	.section	.AMDGPU.csdata,"",@progbits
; Kernel info:
; codeLenInByte = 3912
; NumSgprs: 48
; NumVgprs: 23
; ScratchSize: 0
; MemoryBound: 0
; FloatMode: 240
; IeeeMode: 1
; LDSByteSize: 0 bytes/workgroup (compile time only)
; SGPRBlocks: 5
; VGPRBlocks: 2
; NumSGPRsForWavesPerEU: 48
; NumVGPRsForWavesPerEU: 23
; Occupancy: 16
; WaveLimiterHint : 1
; COMPUTE_PGM_RSRC2:SCRATCH_EN: 0
; COMPUTE_PGM_RSRC2:USER_SGPR: 15
; COMPUTE_PGM_RSRC2:TRAP_HANDLER: 0
; COMPUTE_PGM_RSRC2:TGID_X_EN: 1
; COMPUTE_PGM_RSRC2:TGID_Y_EN: 0
; COMPUTE_PGM_RSRC2:TGID_Z_EN: 0
; COMPUTE_PGM_RSRC2:TIDIG_COMP_CNT: 0
	.section	.text._ZN9rocsparseL26csrgemm_fill_block_per_rowILj1024ELj64ELj16384ELj137ELj32EllfEEvT5_PKS1_S3_NS_24const_host_device_scalarIT6_EEPKT4_S3_PKS5_S9_S3_SB_S6_S9_S3_SB_S9_PS1_PS5_21rocsparse_index_base_SE_SE_SE_bbb,"axG",@progbits,_ZN9rocsparseL26csrgemm_fill_block_per_rowILj1024ELj64ELj16384ELj137ELj32EllfEEvT5_PKS1_S3_NS_24const_host_device_scalarIT6_EEPKT4_S3_PKS5_S9_S3_SB_S6_S9_S3_SB_S9_PS1_PS5_21rocsparse_index_base_SE_SE_SE_bbb,comdat
	.globl	_ZN9rocsparseL26csrgemm_fill_block_per_rowILj1024ELj64ELj16384ELj137ELj32EllfEEvT5_PKS1_S3_NS_24const_host_device_scalarIT6_EEPKT4_S3_PKS5_S9_S3_SB_S6_S9_S3_SB_S9_PS1_PS5_21rocsparse_index_base_SE_SE_SE_bbb ; -- Begin function _ZN9rocsparseL26csrgemm_fill_block_per_rowILj1024ELj64ELj16384ELj137ELj32EllfEEvT5_PKS1_S3_NS_24const_host_device_scalarIT6_EEPKT4_S3_PKS5_S9_S3_SB_S6_S9_S3_SB_S9_PS1_PS5_21rocsparse_index_base_SE_SE_SE_bbb
	.p2align	8
	.type	_ZN9rocsparseL26csrgemm_fill_block_per_rowILj1024ELj64ELj16384ELj137ELj32EllfEEvT5_PKS1_S3_NS_24const_host_device_scalarIT6_EEPKT4_S3_PKS5_S9_S3_SB_S6_S9_S3_SB_S9_PS1_PS5_21rocsparse_index_base_SE_SE_SE_bbb,@function
_ZN9rocsparseL26csrgemm_fill_block_per_rowILj1024ELj64ELj16384ELj137ELj32EllfEEvT5_PKS1_S3_NS_24const_host_device_scalarIT6_EEPKT4_S3_PKS5_S9_S3_SB_S6_S9_S3_SB_S9_PS1_PS5_21rocsparse_index_base_SE_SE_SE_bbb: ; @_ZN9rocsparseL26csrgemm_fill_block_per_rowILj1024ELj64ELj16384ELj137ELj32EllfEEvT5_PKS1_S3_NS_24const_host_device_scalarIT6_EEPKT4_S3_PKS5_S9_S3_SB_S6_S9_S3_SB_S9_PS1_PS5_21rocsparse_index_base_SE_SE_SE_bbb
; %bb.0:
	s_clause 0x3
	s_load_b32 s3, s[0:1], 0x98
	s_load_b128 s[44:47], s[0:1], 0x88
	s_load_b64 s[4:5], s[0:1], 0x18
	s_load_b64 s[20:21], s[0:1], 0x50
	s_mov_b32 s2, s15
	s_waitcnt lgkmcnt(0)
	s_bitcmp1_b32 s3, 0
	s_cselect_b32 s23, -1, 0
	s_bitcmp1_b32 s3, 16
	s_cselect_b32 s24, -1, 0
	s_xor_b32 s6, s23, -1
	s_delay_alu instid0(SALU_CYCLE_1) | instskip(NEXT) | instid1(SALU_CYCLE_1)
	s_or_b32 s6, s6, s24
	s_and_b32 vcc_lo, exec_lo, s6
	s_cbranch_vccnz .LBB105_2
; %bb.1:
	s_load_b32 s4, s[4:5], 0x0
	s_waitcnt lgkmcnt(0)
	v_mov_b32_e32 v15, s4
	s_branch .LBB105_3
.LBB105_2:
	v_cndmask_b32_e64 v15, 0, s4, s23
.LBB105_3:
	s_clause 0x4
	s_load_b128 s[48:51], s[0:1], 0x78
	s_load_b256 s[36:43], s[0:1], 0x58
	s_load_b128 s[12:15], s[0:1], 0x40
	s_load_b128 s[16:19], s[0:1], 0x8
	s_load_b256 s[4:11], s[0:1], 0x20
	s_bitcmp1_b32 s3, 8
	s_cselect_b32 s22, -1, 0
	s_delay_alu instid0(SALU_CYCLE_1) | instskip(NEXT) | instid1(SALU_CYCLE_1)
	s_xor_b32 s3, s22, -1
	s_or_b32 s3, s3, s24
	s_delay_alu instid0(SALU_CYCLE_1)
	s_and_b32 vcc_lo, exec_lo, s3
	s_cbranch_vccnz .LBB105_5
; %bb.4:
	s_load_b32 s3, s[20:21], 0x0
	s_waitcnt lgkmcnt(0)
	v_mov_b32_e32 v14, s3
	s_branch .LBB105_6
.LBB105_5:
	v_cndmask_b32_e64 v14, 0, s20, s22
.LBB105_6:
	s_load_b64 s[34:35], s[0:1], 0x0
	v_lshl_add_u32 v11, v0, 3, 0
	v_lshlrev_b32_e32 v1, 2, v0
	v_or_b32_e32 v13, 0xfffffc00, v0
	v_mov_b32_e32 v3, 0
	s_mov_b32 s0, 0
	v_mov_b32_e32 v4, v11
	v_add3_u32 v12, v1, 0, 0x20000
	s_delay_alu instid0(VALU_DEP_1)
	v_dual_mov_b32 v6, v13 :: v_dual_mov_b32 v5, v12
	s_waitcnt lgkmcnt(0)
	v_dual_mov_b32 v1, s34 :: v_dual_mov_b32 v2, s35
.LBB105_7:                              ; =>This Inner Loop Header: Depth=1
	s_delay_alu instid0(VALU_DEP_2)
	v_add_nc_u32_e32 v6, 0x400, v6
	ds_store_b64 v4, v[1:2]
	ds_store_b32 v5, v3
	v_add_nc_u32_e32 v5, 0x1000, v5
	v_add_nc_u32_e32 v4, 0x2000, v4
	v_cmp_lt_u32_e32 vcc_lo, 0x3bff, v6
	s_or_b32 s0, vcc_lo, s0
	s_delay_alu instid0(SALU_CYCLE_1)
	s_and_not1_b32 exec_lo, exec_lo, s0
	s_cbranch_execnz .LBB105_7
; %bb.8:
	s_or_b32 exec_lo, exec_lo, s0
	s_waitcnt lgkmcnt(0)
	s_barrier
	buffer_gl0_inv
	s_load_b64 s[0:1], s[16:17], 0x0
	s_mov_b32 s3, 0
	s_waitcnt lgkmcnt(0)
	s_lshl_b64 s[0:1], s[0:1], 3
	s_delay_alu instid0(SALU_CYCLE_1) | instskip(SKIP_2) | instid1(SALU_CYCLE_1)
	s_add_u32 s16, s18, s0
	s_addc_u32 s17, s19, s1
	s_lshl_b64 s[0:1], s[2:3], 3
	s_add_u32 s0, s16, s0
	s_addc_u32 s1, s17, s1
	s_and_b32 vcc_lo, exec_lo, s23
	s_load_b64 s[52:53], s[0:1], 0x0
	s_cbranch_vccz .LBB105_28
; %bb.9:
	s_waitcnt lgkmcnt(0)
	s_lshl_b64 s[0:1], s[52:53], 3
	v_lshrrev_b32_e32 v1, 6, v0
	s_add_u32 s0, s4, s0
	s_addc_u32 s1, s5, s1
	s_load_b128 s[0:3], s[0:1], 0x0
	s_delay_alu instid0(VALU_DEP_1) | instskip(NEXT) | instid1(VALU_DEP_1)
	v_sub_co_u32 v1, s4, v1, s44
	v_sub_co_ci_u32_e64 v2, null, 0, 0, s4
	s_waitcnt lgkmcnt(0)
	s_delay_alu instid0(VALU_DEP_2) | instskip(NEXT) | instid1(VALU_DEP_2)
	v_add_co_u32 v1, vcc_lo, s0, v1
	v_add_co_ci_u32_e32 v2, vcc_lo, s1, v2, vcc_lo
	s_sub_u32 s0, s2, s44
	s_subb_u32 s1, s3, 0
	s_mov_b32 s2, exec_lo
	s_delay_alu instid0(VALU_DEP_1)
	v_cmpx_gt_i64_e64 s[0:1], v[1:2]
	s_cbranch_execz .LBB105_27
; %bb.10:
	v_and_b32_e32 v3, 63, v0
	s_mov_b32 s4, s45
	s_delay_alu instid0(VALU_DEP_1) | instskip(NEXT) | instid1(VALU_DEP_1)
	v_sub_co_u32 v16, s3, v3, s45
	v_sub_co_ci_u32_e64 v17, null, 0, 0, s3
	s_mov_b32 s3, 0
	s_branch .LBB105_12
.LBB105_11:                             ;   in Loop: Header=BB105_12 Depth=1
	s_or_b32 exec_lo, exec_lo, s5
	v_add_co_u32 v1, vcc_lo, v1, 16
	v_add_co_ci_u32_e32 v2, vcc_lo, 0, v2, vcc_lo
	s_delay_alu instid0(VALU_DEP_1) | instskip(SKIP_1) | instid1(SALU_CYCLE_1)
	v_cmp_le_i64_e32 vcc_lo, s[0:1], v[1:2]
	s_or_b32 s3, vcc_lo, s3
	s_and_not1_b32 exec_lo, exec_lo, s3
	s_cbranch_execz .LBB105_27
.LBB105_12:                             ; =>This Loop Header: Depth=1
                                        ;     Child Loop BB105_15 Depth 2
                                        ;       Child Loop BB105_17 Depth 3
	v_lshlrev_b64 v[3:4], 3, v[1:2]
	s_mov_b32 s5, exec_lo
	s_delay_alu instid0(VALU_DEP_1) | instskip(NEXT) | instid1(VALU_DEP_2)
	v_add_co_u32 v3, vcc_lo, s6, v3
	v_add_co_ci_u32_e32 v4, vcc_lo, s7, v4, vcc_lo
	global_load_b64 v[3:4], v[3:4], off
	s_waitcnt vmcnt(0)
	v_sub_co_u32 v3, vcc_lo, v3, s44
	v_subrev_co_ci_u32_e32 v4, vcc_lo, 0, v4, vcc_lo
	s_delay_alu instid0(VALU_DEP_1) | instskip(NEXT) | instid1(VALU_DEP_1)
	v_lshlrev_b64 v[3:4], 3, v[3:4]
	v_add_co_u32 v3, vcc_lo, s10, v3
	s_delay_alu instid0(VALU_DEP_2)
	v_add_co_ci_u32_e32 v4, vcc_lo, s11, v4, vcc_lo
	global_load_b128 v[5:8], v[3:4], off
	s_waitcnt vmcnt(0)
	v_sub_co_u32 v3, vcc_lo, v7, s4
	v_subrev_co_ci_u32_e32 v4, vcc_lo, 0, v8, vcc_lo
	v_add_co_u32 v5, vcc_lo, v5, v16
	v_add_co_ci_u32_e32 v6, vcc_lo, v6, v17, vcc_lo
	s_delay_alu instid0(VALU_DEP_1)
	v_cmpx_lt_i64_e64 v[5:6], v[3:4]
	s_cbranch_execz .LBB105_11
; %bb.13:                               ;   in Loop: Header=BB105_12 Depth=1
	v_lshlrev_b64 v[7:8], 2, v[1:2]
	s_mov_b32 s16, 0
	s_delay_alu instid0(VALU_DEP_1) | instskip(NEXT) | instid1(VALU_DEP_2)
	v_add_co_u32 v7, vcc_lo, s8, v7
	v_add_co_ci_u32_e32 v8, vcc_lo, s9, v8, vcc_lo
	global_load_b32 v7, v[7:8], off
	s_waitcnt vmcnt(0)
	v_mul_f32_e32 v18, v15, v7
	s_branch .LBB105_15
.LBB105_14:                             ;   in Loop: Header=BB105_15 Depth=2
	s_or_b32 exec_lo, exec_lo, s17
	v_add_co_u32 v5, vcc_lo, v5, 64
	v_add_co_ci_u32_e32 v6, vcc_lo, 0, v6, vcc_lo
	s_delay_alu instid0(VALU_DEP_1) | instskip(SKIP_1) | instid1(SALU_CYCLE_1)
	v_cmp_ge_i64_e32 vcc_lo, v[5:6], v[3:4]
	s_or_b32 s16, vcc_lo, s16
	s_and_not1_b32 exec_lo, exec_lo, s16
	s_cbranch_execz .LBB105_11
.LBB105_15:                             ;   Parent Loop BB105_12 Depth=1
                                        ; =>  This Loop Header: Depth=2
                                        ;       Child Loop BB105_17 Depth 3
	v_lshlrev_b64 v[7:8], 3, v[5:6]
	v_lshlrev_b64 v[9:10], 2, v[5:6]
	s_mov_b32 s17, 0
	s_delay_alu instid0(VALU_DEP_2) | instskip(NEXT) | instid1(VALU_DEP_3)
	v_add_co_u32 v7, vcc_lo, s12, v7
	v_add_co_ci_u32_e32 v8, vcc_lo, s13, v8, vcc_lo
	s_delay_alu instid0(VALU_DEP_3) | instskip(NEXT) | instid1(VALU_DEP_4)
	v_add_co_u32 v9, vcc_lo, s14, v9
	v_add_co_ci_u32_e32 v10, vcc_lo, s15, v10, vcc_lo
	global_load_b64 v[7:8], v[7:8], off
	global_load_b32 v9, v[9:10], off
	s_waitcnt vmcnt(1)
	v_sub_co_u32 v7, vcc_lo, v7, s4
	v_subrev_co_ci_u32_e32 v8, vcc_lo, 0, v8, vcc_lo
	s_delay_alu instid0(VALU_DEP_2) | instskip(SKIP_1) | instid1(VALU_DEP_1)
	v_mul_lo_u32 v10, 0x89, v7
	s_waitcnt vmcnt(0)
	v_dual_mul_f32 v19, v18, v9 :: v_dual_and_b32 v20, 0x3fff, v10
	s_branch .LBB105_17
.LBB105_16:                             ;   in Loop: Header=BB105_17 Depth=3
	s_or_b32 exec_lo, exec_lo, s18
	s_xor_b32 s18, s19, -1
	s_delay_alu instid0(SALU_CYCLE_1) | instskip(NEXT) | instid1(SALU_CYCLE_1)
	s_and_b32 s18, exec_lo, s18
	s_or_b32 s17, s18, s17
	s_delay_alu instid0(SALU_CYCLE_1)
	s_and_not1_b32 exec_lo, exec_lo, s17
	s_cbranch_execz .LBB105_14
.LBB105_17:                             ;   Parent Loop BB105_12 Depth=1
                                        ;     Parent Loop BB105_15 Depth=2
                                        ; =>    This Inner Loop Header: Depth=3
	s_delay_alu instid0(VALU_DEP_1)
	v_lshl_add_u32 v21, v20, 3, 0
	s_mov_b32 s18, exec_lo
                                        ; implicit-def: $sgpr19
	ds_load_b64 v[9:10], v21
	s_waitcnt lgkmcnt(0)
	v_cmpx_ne_u64_e64 v[9:10], v[7:8]
	s_xor_b32 s18, exec_lo, s18
	s_cbranch_execz .LBB105_25
; %bb.18:                               ;   in Loop: Header=BB105_17 Depth=3
	s_mov_b32 s20, exec_lo
                                        ; implicit-def: $sgpr19
	v_cmpx_ne_u64_e64 s[34:35], v[9:10]
	s_xor_b32 s20, exec_lo, s20
; %bb.19:                               ;   in Loop: Header=BB105_17 Depth=3
	v_add_nc_u32_e32 v9, 1, v20
	s_mov_b32 s19, -1
                                        ; implicit-def: $vgpr21
	s_delay_alu instid0(VALU_DEP_1)
	v_and_b32_e32 v20, 0x3fff, v9
; %bb.20:                               ;   in Loop: Header=BB105_17 Depth=3
	s_and_not1_saveexec_b32 s20, s20
	s_cbranch_execz .LBB105_24
; %bb.21:                               ;   in Loop: Header=BB105_17 Depth=3
	v_dual_mov_b32 v9, s34 :: v_dual_mov_b32 v10, s35
	s_mov_b32 s21, -1
	s_mov_b32 s23, exec_lo
	ds_cmpstore_rtn_b64 v[9:10], v21, v[7:8], v[9:10]
	s_waitcnt lgkmcnt(0)
	v_cmpx_eq_u64_e64 s[34:35], v[9:10]
	s_cbranch_execz .LBB105_23
; %bb.22:                               ;   in Loop: Header=BB105_17 Depth=3
	v_lshlrev_b32_e32 v9, 2, v20
	s_xor_b32 s21, exec_lo, -1
	s_delay_alu instid0(VALU_DEP_1)
	v_add3_u32 v9, 0, v9, 0x20000
	ds_add_f32 v9, v19
.LBB105_23:                             ;   in Loop: Header=BB105_17 Depth=3
	s_or_b32 exec_lo, exec_lo, s23
	s_delay_alu instid0(SALU_CYCLE_1) | instskip(SKIP_1) | instid1(SALU_CYCLE_1)
	s_and_not1_b32 s19, s19, exec_lo
	s_and_b32 s21, s21, exec_lo
	s_or_b32 s19, s19, s21
.LBB105_24:                             ;   in Loop: Header=BB105_17 Depth=3
	s_or_b32 exec_lo, exec_lo, s20
	s_delay_alu instid0(SALU_CYCLE_1)
	s_and_b32 s19, s19, exec_lo
.LBB105_25:                             ;   in Loop: Header=BB105_17 Depth=3
	s_and_not1_saveexec_b32 s18, s18
	s_cbranch_execz .LBB105_16
; %bb.26:                               ;   in Loop: Header=BB105_17 Depth=3
	v_lshlrev_b32_e32 v9, 2, v20
	s_and_not1_b32 s19, s19, exec_lo
	s_delay_alu instid0(VALU_DEP_1)
	v_add3_u32 v9, 0, v9, 0x20000
	ds_add_f32 v9, v19
	s_branch .LBB105_16
.LBB105_27:
	s_or_b32 exec_lo, exec_lo, s2
.LBB105_28:
	s_delay_alu instid0(SALU_CYCLE_1)
	s_and_not1_b32 vcc_lo, exec_lo, s22
	s_cbranch_vccnz .LBB105_45
; %bb.29:
	s_waitcnt lgkmcnt(0)
	s_lshl_b64 s[0:1], s[52:53], 3
	v_sub_co_u32 v1, s4, v0, s47
	s_add_u32 s0, s36, s0
	s_addc_u32 s1, s37, s1
	v_sub_co_ci_u32_e64 v2, null, 0, 0, s4
	s_load_b128 s[0:3], s[0:1], 0x0
	s_waitcnt lgkmcnt(0)
	v_add_co_u32 v1, vcc_lo, s0, v1
	s_delay_alu instid0(VALU_DEP_2)
	v_add_co_ci_u32_e32 v2, vcc_lo, s1, v2, vcc_lo
	s_sub_u32 s0, s2, s47
	s_subb_u32 s1, s3, 0
	s_mov_b32 s2, 0
	s_mov_b32 s3, exec_lo
	v_cmpx_gt_i64_e64 s[0:1], v[1:2]
	s_cbranch_execz .LBB105_44
; %bb.30:
	s_mov_b32 s4, s47
	s_branch .LBB105_32
.LBB105_31:                             ;   in Loop: Header=BB105_32 Depth=1
	s_or_b32 exec_lo, exec_lo, s5
	v_add_co_u32 v1, vcc_lo, 0x400, v1
	v_add_co_ci_u32_e32 v2, vcc_lo, 0, v2, vcc_lo
	s_delay_alu instid0(VALU_DEP_1) | instskip(SKIP_1) | instid1(SALU_CYCLE_1)
	v_cmp_le_i64_e32 vcc_lo, s[0:1], v[1:2]
	s_or_b32 s2, vcc_lo, s2
	s_and_not1_b32 exec_lo, exec_lo, s2
	s_cbranch_execz .LBB105_44
.LBB105_32:                             ; =>This Loop Header: Depth=1
                                        ;     Child Loop BB105_34 Depth 2
	v_lshlrev_b64 v[3:4], 3, v[1:2]
	v_lshlrev_b64 v[5:6], 2, v[1:2]
	s_mov_b32 s5, 0
	s_delay_alu instid0(VALU_DEP_2) | instskip(NEXT) | instid1(VALU_DEP_3)
	v_add_co_u32 v3, vcc_lo, s38, v3
	v_add_co_ci_u32_e32 v4, vcc_lo, s39, v4, vcc_lo
	s_delay_alu instid0(VALU_DEP_3) | instskip(NEXT) | instid1(VALU_DEP_4)
	v_add_co_u32 v5, vcc_lo, s40, v5
	v_add_co_ci_u32_e32 v6, vcc_lo, s41, v6, vcc_lo
	global_load_b64 v[3:4], v[3:4], off
	global_load_b32 v5, v[5:6], off
	s_waitcnt vmcnt(1)
	v_sub_co_u32 v3, vcc_lo, v3, s4
	v_subrev_co_ci_u32_e32 v4, vcc_lo, 0, v4, vcc_lo
	s_delay_alu instid0(VALU_DEP_2) | instskip(SKIP_1) | instid1(VALU_DEP_1)
	v_mul_lo_u32 v6, 0x89, v3
	s_waitcnt vmcnt(0)
	v_dual_mul_f32 v7, v14, v5 :: v_dual_and_b32 v8, 0x3fff, v6
	s_branch .LBB105_34
.LBB105_33:                             ;   in Loop: Header=BB105_34 Depth=2
	s_or_b32 exec_lo, exec_lo, s6
	s_xor_b32 s6, s7, -1
	s_delay_alu instid0(SALU_CYCLE_1) | instskip(NEXT) | instid1(SALU_CYCLE_1)
	s_and_b32 s6, exec_lo, s6
	s_or_b32 s5, s6, s5
	s_delay_alu instid0(SALU_CYCLE_1)
	s_and_not1_b32 exec_lo, exec_lo, s5
	s_cbranch_execz .LBB105_31
.LBB105_34:                             ;   Parent Loop BB105_32 Depth=1
                                        ; =>  This Inner Loop Header: Depth=2
	s_delay_alu instid0(VALU_DEP_1)
	v_lshl_add_u32 v9, v8, 3, 0
	s_mov_b32 s6, exec_lo
                                        ; implicit-def: $sgpr7
	ds_load_b64 v[5:6], v9
	s_waitcnt lgkmcnt(0)
	v_cmpx_ne_u64_e64 v[5:6], v[3:4]
	s_xor_b32 s6, exec_lo, s6
	s_cbranch_execz .LBB105_42
; %bb.35:                               ;   in Loop: Header=BB105_34 Depth=2
	s_mov_b32 s8, exec_lo
                                        ; implicit-def: $sgpr7
	v_cmpx_ne_u64_e64 s[34:35], v[5:6]
	s_xor_b32 s8, exec_lo, s8
; %bb.36:                               ;   in Loop: Header=BB105_34 Depth=2
	v_add_nc_u32_e32 v5, 1, v8
	s_mov_b32 s7, -1
                                        ; implicit-def: $vgpr9
	s_delay_alu instid0(VALU_DEP_1)
	v_and_b32_e32 v8, 0x3fff, v5
; %bb.37:                               ;   in Loop: Header=BB105_34 Depth=2
	s_and_not1_saveexec_b32 s8, s8
	s_cbranch_execz .LBB105_41
; %bb.38:                               ;   in Loop: Header=BB105_34 Depth=2
	v_dual_mov_b32 v5, s34 :: v_dual_mov_b32 v6, s35
	s_mov_b32 s9, -1
	s_mov_b32 s10, exec_lo
	ds_cmpstore_rtn_b64 v[5:6], v9, v[3:4], v[5:6]
	s_waitcnt lgkmcnt(0)
	v_cmpx_eq_u64_e64 s[34:35], v[5:6]
	s_cbranch_execz .LBB105_40
; %bb.39:                               ;   in Loop: Header=BB105_34 Depth=2
	v_lshlrev_b32_e32 v5, 2, v8
	s_xor_b32 s9, exec_lo, -1
	s_delay_alu instid0(VALU_DEP_1)
	v_add3_u32 v5, 0, v5, 0x20000
	ds_add_f32 v5, v7
.LBB105_40:                             ;   in Loop: Header=BB105_34 Depth=2
	s_or_b32 exec_lo, exec_lo, s10
	s_delay_alu instid0(SALU_CYCLE_1) | instskip(SKIP_1) | instid1(SALU_CYCLE_1)
	s_and_not1_b32 s7, s7, exec_lo
	s_and_b32 s9, s9, exec_lo
	s_or_b32 s7, s7, s9
.LBB105_41:                             ;   in Loop: Header=BB105_34 Depth=2
	s_or_b32 exec_lo, exec_lo, s8
	s_delay_alu instid0(SALU_CYCLE_1)
	s_and_b32 s7, s7, exec_lo
.LBB105_42:                             ;   in Loop: Header=BB105_34 Depth=2
	s_and_not1_saveexec_b32 s6, s6
	s_cbranch_execz .LBB105_33
; %bb.43:                               ;   in Loop: Header=BB105_34 Depth=2
	v_lshlrev_b32_e32 v5, 2, v8
	s_and_not1_b32 s7, s7, exec_lo
	s_delay_alu instid0(VALU_DEP_1)
	v_add3_u32 v5, 0, v5, 0x20000
	ds_add_f32 v5, v7
	s_branch .LBB105_33
.LBB105_44:
	s_or_b32 exec_lo, exec_lo, s3
.LBB105_45:
	v_mbcnt_lo_u32_b32 v1, -1, 0
	v_lshrrev_b32_e32 v2, 2, v0
	s_add_i32 s73, 0, 0x300f8
	v_cmp_eq_u32_e32 vcc_lo, 0x3ff, v0
	v_cmp_lt_u32_e64 s0, 31, v0
	v_xor_b32_e32 v1, 63, v1
	v_dual_mov_b32 v14, s73 :: v_dual_and_b32 v3, 0xf8, v2
	v_cmp_lt_u32_e64 s1, 63, v0
	v_cmp_lt_u32_e64 s2, 0x5f, v0
	s_delay_alu instid0(VALU_DEP_4) | instskip(NEXT) | instid1(VALU_DEP_4)
	v_lshrrev_b64 v[1:2], v1, -1
	v_add3_u32 v10, 0, 0x30000, v3
	v_dual_mov_b32 v2, 0 :: v_dual_mov_b32 v5, 0
	v_cmp_lt_u32_e64 s3, 0x7f, v0
	v_cmp_lt_u32_e64 s4, 0x9f, v0
	;; [unrolled: 1-line block ×28, first 2 shown]
	v_mov_b32_e32 v3, 0
	s_mov_b32 s36, 0
	s_add_i32 s37, 0, 0x30000
	s_add_i32 s38, 0, 0x30008
	s_add_i32 s39, 0, 0x30010
	s_add_i32 s40, 0, 0x30018
	s_add_i32 s41, 0, 0x30020
	s_add_i32 s44, 0, 0x30028
	s_add_i32 s45, 0, 0x30030
	s_add_i32 s47, 0, 0x30038
	s_add_i32 s54, 0, 0x30040
	s_add_i32 s55, 0, 0x30048
	s_add_i32 s56, 0, 0x30050
	s_add_i32 s57, 0, 0x30058
	s_add_i32 s58, 0, 0x30060
	s_add_i32 s59, 0, 0x30068
	s_add_i32 s60, 0, 0x30070
	s_add_i32 s61, 0, 0x30078
	s_add_i32 s62, 0, 0x30080
	s_add_i32 s63, 0, 0x30088
	s_add_i32 s64, 0, 0x30090
	s_add_i32 s65, 0, 0x30098
	s_add_i32 s66, 0, 0x300a0
	s_add_i32 s67, 0, 0x300a8
	s_add_i32 s68, 0, 0x300b0
	s_add_i32 s69, 0, 0x300b8
	s_add_i32 s70, 0, 0x300c0
	s_add_i32 s71, 0, 0x300c8
	s_add_i32 s72, 0, 0x300d0
	s_add_i32 s74, 0, 0x300d8
	s_add_i32 s75, 0, 0x300e0
	s_add_i32 s76, 0, 0x300e8
	s_add_i32 s77, 0, 0x300f0
	s_waitcnt lgkmcnt(0)
	s_barrier
	buffer_gl0_inv
	s_branch .LBB105_47
.LBB105_46:                             ;   in Loop: Header=BB105_47 Depth=1
	s_or_b32 exec_lo, exec_lo, s31
	s_waitcnt lgkmcnt(0)
	s_barrier
	buffer_gl0_inv
	ds_load_b64 v[6:7], v14
	v_add_nc_u32_e32 v13, 0x400, v13
	v_add_nc_u32_e32 v12, 0x1000, v12
	;; [unrolled: 1-line block ×3, first 2 shown]
	s_delay_alu instid0(VALU_DEP_3) | instskip(NEXT) | instid1(VALU_DEP_1)
	v_cmp_lt_u32_e64 s31, 0x3bff, v13
	s_or_b32 s36, s31, s36
	s_waitcnt lgkmcnt(0)
	v_add_co_u32 v2, s33, v6, v2
	s_delay_alu instid0(VALU_DEP_1)
	v_add_co_ci_u32_e64 v3, s33, v7, v3, s33
	s_and_not1_b32 exec_lo, exec_lo, s36
	s_cbranch_execz .LBB105_113
.LBB105_47:                             ; =>This Inner Loop Header: Depth=1
	ds_load_b64 v[6:7], v11
	ds_load_b32 v15, v12
	s_waitcnt lgkmcnt(0)
	s_barrier
	buffer_gl0_inv
	v_cmp_gt_i64_e64 s31, s[34:35], v[6:7]
	s_delay_alu instid0(VALU_DEP_1) | instskip(SKIP_1) | instid1(SALU_CYCLE_1)
	v_and_b32_e32 v8, s31, v1
	s_bcnt1_i32_b32 s33, s31
	v_mov_b32_e32 v4, s33
	s_delay_alu instid0(VALU_DEP_2)
	v_bcnt_u32_b32 v8, v8, 0
	ds_store_b64 v10, v[4:5]
	s_waitcnt lgkmcnt(0)
	s_barrier
	buffer_gl0_inv
	s_and_saveexec_b32 s33, s0
	s_cbranch_execnz .LBB105_80
; %bb.48:                               ;   in Loop: Header=BB105_47 Depth=1
	s_or_b32 exec_lo, exec_lo, s33
	s_and_saveexec_b32 s33, s1
	s_cbranch_execnz .LBB105_81
.LBB105_49:                             ;   in Loop: Header=BB105_47 Depth=1
	s_or_b32 exec_lo, exec_lo, s33
	s_and_saveexec_b32 s33, s2
	s_cbranch_execnz .LBB105_82
.LBB105_50:                             ;   in Loop: Header=BB105_47 Depth=1
	s_or_b32 exec_lo, exec_lo, s33
	s_and_saveexec_b32 s33, s3
	s_cbranch_execnz .LBB105_83
.LBB105_51:                             ;   in Loop: Header=BB105_47 Depth=1
	s_or_b32 exec_lo, exec_lo, s33
	s_and_saveexec_b32 s33, s4
	s_cbranch_execnz .LBB105_84
.LBB105_52:                             ;   in Loop: Header=BB105_47 Depth=1
	s_or_b32 exec_lo, exec_lo, s33
	s_and_saveexec_b32 s33, s5
	s_cbranch_execnz .LBB105_85
.LBB105_53:                             ;   in Loop: Header=BB105_47 Depth=1
	s_or_b32 exec_lo, exec_lo, s33
	s_and_saveexec_b32 s33, s6
	s_cbranch_execnz .LBB105_86
.LBB105_54:                             ;   in Loop: Header=BB105_47 Depth=1
	s_or_b32 exec_lo, exec_lo, s33
	s_and_saveexec_b32 s33, s7
	s_cbranch_execnz .LBB105_87
.LBB105_55:                             ;   in Loop: Header=BB105_47 Depth=1
	s_or_b32 exec_lo, exec_lo, s33
	s_and_saveexec_b32 s33, s8
	s_cbranch_execnz .LBB105_88
.LBB105_56:                             ;   in Loop: Header=BB105_47 Depth=1
	s_or_b32 exec_lo, exec_lo, s33
	s_and_saveexec_b32 s33, s9
	s_cbranch_execnz .LBB105_89
.LBB105_57:                             ;   in Loop: Header=BB105_47 Depth=1
	s_or_b32 exec_lo, exec_lo, s33
	s_and_saveexec_b32 s33, s10
	s_cbranch_execnz .LBB105_90
.LBB105_58:                             ;   in Loop: Header=BB105_47 Depth=1
	s_or_b32 exec_lo, exec_lo, s33
	s_and_saveexec_b32 s33, s11
	s_cbranch_execnz .LBB105_91
.LBB105_59:                             ;   in Loop: Header=BB105_47 Depth=1
	s_or_b32 exec_lo, exec_lo, s33
	s_and_saveexec_b32 s33, s12
	s_cbranch_execnz .LBB105_92
.LBB105_60:                             ;   in Loop: Header=BB105_47 Depth=1
	s_or_b32 exec_lo, exec_lo, s33
	s_and_saveexec_b32 s33, s13
	s_cbranch_execnz .LBB105_93
.LBB105_61:                             ;   in Loop: Header=BB105_47 Depth=1
	s_or_b32 exec_lo, exec_lo, s33
	s_and_saveexec_b32 s33, s14
	s_cbranch_execnz .LBB105_94
.LBB105_62:                             ;   in Loop: Header=BB105_47 Depth=1
	s_or_b32 exec_lo, exec_lo, s33
	s_and_saveexec_b32 s33, s15
	s_cbranch_execnz .LBB105_95
.LBB105_63:                             ;   in Loop: Header=BB105_47 Depth=1
	s_or_b32 exec_lo, exec_lo, s33
	s_and_saveexec_b32 s33, s16
	s_cbranch_execnz .LBB105_96
.LBB105_64:                             ;   in Loop: Header=BB105_47 Depth=1
	s_or_b32 exec_lo, exec_lo, s33
	s_and_saveexec_b32 s33, s17
	s_cbranch_execnz .LBB105_97
.LBB105_65:                             ;   in Loop: Header=BB105_47 Depth=1
	s_or_b32 exec_lo, exec_lo, s33
	s_and_saveexec_b32 s33, s18
	s_cbranch_execnz .LBB105_98
.LBB105_66:                             ;   in Loop: Header=BB105_47 Depth=1
	s_or_b32 exec_lo, exec_lo, s33
	s_and_saveexec_b32 s33, s19
	s_cbranch_execnz .LBB105_99
.LBB105_67:                             ;   in Loop: Header=BB105_47 Depth=1
	s_or_b32 exec_lo, exec_lo, s33
	s_and_saveexec_b32 s33, s20
	s_cbranch_execnz .LBB105_100
.LBB105_68:                             ;   in Loop: Header=BB105_47 Depth=1
	s_or_b32 exec_lo, exec_lo, s33
	s_and_saveexec_b32 s33, s21
	s_cbranch_execnz .LBB105_101
.LBB105_69:                             ;   in Loop: Header=BB105_47 Depth=1
	s_or_b32 exec_lo, exec_lo, s33
	s_and_saveexec_b32 s33, s22
	s_cbranch_execnz .LBB105_102
.LBB105_70:                             ;   in Loop: Header=BB105_47 Depth=1
	s_or_b32 exec_lo, exec_lo, s33
	s_and_saveexec_b32 s33, s23
	s_cbranch_execnz .LBB105_103
.LBB105_71:                             ;   in Loop: Header=BB105_47 Depth=1
	s_or_b32 exec_lo, exec_lo, s33
	s_and_saveexec_b32 s33, s24
	s_cbranch_execnz .LBB105_104
.LBB105_72:                             ;   in Loop: Header=BB105_47 Depth=1
	s_or_b32 exec_lo, exec_lo, s33
	s_and_saveexec_b32 s33, s25
	s_cbranch_execnz .LBB105_105
.LBB105_73:                             ;   in Loop: Header=BB105_47 Depth=1
	s_or_b32 exec_lo, exec_lo, s33
	s_and_saveexec_b32 s33, s26
	s_cbranch_execnz .LBB105_106
.LBB105_74:                             ;   in Loop: Header=BB105_47 Depth=1
	s_or_b32 exec_lo, exec_lo, s33
	s_and_saveexec_b32 s33, s27
	s_cbranch_execnz .LBB105_107
.LBB105_75:                             ;   in Loop: Header=BB105_47 Depth=1
	s_or_b32 exec_lo, exec_lo, s33
	s_and_saveexec_b32 s33, s28
	s_cbranch_execnz .LBB105_108
.LBB105_76:                             ;   in Loop: Header=BB105_47 Depth=1
	s_or_b32 exec_lo, exec_lo, s33
	s_and_saveexec_b32 s33, s29
	s_cbranch_execnz .LBB105_109
.LBB105_77:                             ;   in Loop: Header=BB105_47 Depth=1
	s_or_b32 exec_lo, exec_lo, s33
	s_and_saveexec_b32 s33, s30
	s_cbranch_execnz .LBB105_110
.LBB105_78:                             ;   in Loop: Header=BB105_47 Depth=1
	s_or_b32 exec_lo, exec_lo, s33
	v_ashrrev_i32_e32 v9, 31, v8
	s_and_saveexec_b32 s33, s31
	s_cbranch_execnz .LBB105_111
.LBB105_79:                             ;   in Loop: Header=BB105_47 Depth=1
	s_or_b32 exec_lo, exec_lo, s33
	s_and_saveexec_b32 s31, vcc_lo
	s_cbranch_execz .LBB105_46
	s_branch .LBB105_112
.LBB105_80:                             ;   in Loop: Header=BB105_47 Depth=1
	v_mov_b32_e32 v4, s37
	ds_load_b32 v4, v4
	s_waitcnt lgkmcnt(0)
	v_add_nc_u32_e32 v8, v4, v8
	s_or_b32 exec_lo, exec_lo, s33
	s_and_saveexec_b32 s33, s1
	s_cbranch_execz .LBB105_49
.LBB105_81:                             ;   in Loop: Header=BB105_47 Depth=1
	v_mov_b32_e32 v4, s38
	ds_load_b32 v4, v4
	s_waitcnt lgkmcnt(0)
	v_add_nc_u32_e32 v8, v8, v4
	s_or_b32 exec_lo, exec_lo, s33
	s_and_saveexec_b32 s33, s2
	s_cbranch_execz .LBB105_50
.LBB105_82:                             ;   in Loop: Header=BB105_47 Depth=1
	v_mov_b32_e32 v4, s39
	ds_load_b32 v4, v4
	s_waitcnt lgkmcnt(0)
	v_add_nc_u32_e32 v8, v8, v4
	s_or_b32 exec_lo, exec_lo, s33
	s_and_saveexec_b32 s33, s3
	s_cbranch_execz .LBB105_51
.LBB105_83:                             ;   in Loop: Header=BB105_47 Depth=1
	v_mov_b32_e32 v4, s40
	ds_load_b32 v4, v4
	s_waitcnt lgkmcnt(0)
	v_add_nc_u32_e32 v8, v8, v4
	s_or_b32 exec_lo, exec_lo, s33
	s_and_saveexec_b32 s33, s4
	s_cbranch_execz .LBB105_52
.LBB105_84:                             ;   in Loop: Header=BB105_47 Depth=1
	v_mov_b32_e32 v4, s41
	ds_load_b32 v4, v4
	s_waitcnt lgkmcnt(0)
	v_add_nc_u32_e32 v8, v8, v4
	s_or_b32 exec_lo, exec_lo, s33
	s_and_saveexec_b32 s33, s5
	s_cbranch_execz .LBB105_53
.LBB105_85:                             ;   in Loop: Header=BB105_47 Depth=1
	v_mov_b32_e32 v4, s44
	ds_load_b32 v4, v4
	s_waitcnt lgkmcnt(0)
	v_add_nc_u32_e32 v8, v8, v4
	s_or_b32 exec_lo, exec_lo, s33
	s_and_saveexec_b32 s33, s6
	s_cbranch_execz .LBB105_54
.LBB105_86:                             ;   in Loop: Header=BB105_47 Depth=1
	v_mov_b32_e32 v4, s45
	ds_load_b32 v4, v4
	s_waitcnt lgkmcnt(0)
	v_add_nc_u32_e32 v8, v8, v4
	s_or_b32 exec_lo, exec_lo, s33
	s_and_saveexec_b32 s33, s7
	s_cbranch_execz .LBB105_55
.LBB105_87:                             ;   in Loop: Header=BB105_47 Depth=1
	v_mov_b32_e32 v4, s47
	ds_load_b32 v4, v4
	s_waitcnt lgkmcnt(0)
	v_add_nc_u32_e32 v8, v8, v4
	s_or_b32 exec_lo, exec_lo, s33
	s_and_saveexec_b32 s33, s8
	s_cbranch_execz .LBB105_56
.LBB105_88:                             ;   in Loop: Header=BB105_47 Depth=1
	v_mov_b32_e32 v4, s54
	ds_load_b32 v4, v4
	s_waitcnt lgkmcnt(0)
	v_add_nc_u32_e32 v8, v8, v4
	s_or_b32 exec_lo, exec_lo, s33
	s_and_saveexec_b32 s33, s9
	s_cbranch_execz .LBB105_57
.LBB105_89:                             ;   in Loop: Header=BB105_47 Depth=1
	v_mov_b32_e32 v4, s55
	ds_load_b32 v4, v4
	s_waitcnt lgkmcnt(0)
	v_add_nc_u32_e32 v8, v8, v4
	s_or_b32 exec_lo, exec_lo, s33
	s_and_saveexec_b32 s33, s10
	s_cbranch_execz .LBB105_58
.LBB105_90:                             ;   in Loop: Header=BB105_47 Depth=1
	v_mov_b32_e32 v4, s56
	ds_load_b32 v4, v4
	s_waitcnt lgkmcnt(0)
	v_add_nc_u32_e32 v8, v8, v4
	s_or_b32 exec_lo, exec_lo, s33
	s_and_saveexec_b32 s33, s11
	s_cbranch_execz .LBB105_59
.LBB105_91:                             ;   in Loop: Header=BB105_47 Depth=1
	v_mov_b32_e32 v4, s57
	ds_load_b32 v4, v4
	s_waitcnt lgkmcnt(0)
	v_add_nc_u32_e32 v8, v8, v4
	s_or_b32 exec_lo, exec_lo, s33
	s_and_saveexec_b32 s33, s12
	s_cbranch_execz .LBB105_60
.LBB105_92:                             ;   in Loop: Header=BB105_47 Depth=1
	v_mov_b32_e32 v4, s58
	ds_load_b32 v4, v4
	s_waitcnt lgkmcnt(0)
	v_add_nc_u32_e32 v8, v8, v4
	s_or_b32 exec_lo, exec_lo, s33
	s_and_saveexec_b32 s33, s13
	s_cbranch_execz .LBB105_61
.LBB105_93:                             ;   in Loop: Header=BB105_47 Depth=1
	v_mov_b32_e32 v4, s59
	ds_load_b32 v4, v4
	s_waitcnt lgkmcnt(0)
	v_add_nc_u32_e32 v8, v8, v4
	s_or_b32 exec_lo, exec_lo, s33
	s_and_saveexec_b32 s33, s14
	s_cbranch_execz .LBB105_62
.LBB105_94:                             ;   in Loop: Header=BB105_47 Depth=1
	v_mov_b32_e32 v4, s60
	ds_load_b32 v4, v4
	s_waitcnt lgkmcnt(0)
	v_add_nc_u32_e32 v8, v8, v4
	s_or_b32 exec_lo, exec_lo, s33
	s_and_saveexec_b32 s33, s15
	s_cbranch_execz .LBB105_63
.LBB105_95:                             ;   in Loop: Header=BB105_47 Depth=1
	v_mov_b32_e32 v4, s61
	ds_load_b32 v4, v4
	s_waitcnt lgkmcnt(0)
	v_add_nc_u32_e32 v8, v8, v4
	s_or_b32 exec_lo, exec_lo, s33
	s_and_saveexec_b32 s33, s16
	s_cbranch_execz .LBB105_64
.LBB105_96:                             ;   in Loop: Header=BB105_47 Depth=1
	v_mov_b32_e32 v4, s62
	ds_load_b32 v4, v4
	s_waitcnt lgkmcnt(0)
	v_add_nc_u32_e32 v8, v8, v4
	s_or_b32 exec_lo, exec_lo, s33
	s_and_saveexec_b32 s33, s17
	s_cbranch_execz .LBB105_65
.LBB105_97:                             ;   in Loop: Header=BB105_47 Depth=1
	v_mov_b32_e32 v4, s63
	ds_load_b32 v4, v4
	s_waitcnt lgkmcnt(0)
	v_add_nc_u32_e32 v8, v8, v4
	s_or_b32 exec_lo, exec_lo, s33
	s_and_saveexec_b32 s33, s18
	s_cbranch_execz .LBB105_66
.LBB105_98:                             ;   in Loop: Header=BB105_47 Depth=1
	v_mov_b32_e32 v4, s64
	ds_load_b32 v4, v4
	s_waitcnt lgkmcnt(0)
	v_add_nc_u32_e32 v8, v8, v4
	s_or_b32 exec_lo, exec_lo, s33
	s_and_saveexec_b32 s33, s19
	s_cbranch_execz .LBB105_67
.LBB105_99:                             ;   in Loop: Header=BB105_47 Depth=1
	v_mov_b32_e32 v4, s65
	ds_load_b32 v4, v4
	s_waitcnt lgkmcnt(0)
	v_add_nc_u32_e32 v8, v8, v4
	s_or_b32 exec_lo, exec_lo, s33
	s_and_saveexec_b32 s33, s20
	s_cbranch_execz .LBB105_68
.LBB105_100:                            ;   in Loop: Header=BB105_47 Depth=1
	v_mov_b32_e32 v4, s66
	ds_load_b32 v4, v4
	s_waitcnt lgkmcnt(0)
	v_add_nc_u32_e32 v8, v8, v4
	s_or_b32 exec_lo, exec_lo, s33
	s_and_saveexec_b32 s33, s21
	s_cbranch_execz .LBB105_69
.LBB105_101:                            ;   in Loop: Header=BB105_47 Depth=1
	v_mov_b32_e32 v4, s67
	ds_load_b32 v4, v4
	s_waitcnt lgkmcnt(0)
	v_add_nc_u32_e32 v8, v8, v4
	s_or_b32 exec_lo, exec_lo, s33
	s_and_saveexec_b32 s33, s22
	s_cbranch_execz .LBB105_70
.LBB105_102:                            ;   in Loop: Header=BB105_47 Depth=1
	v_mov_b32_e32 v4, s68
	ds_load_b32 v4, v4
	s_waitcnt lgkmcnt(0)
	v_add_nc_u32_e32 v8, v8, v4
	s_or_b32 exec_lo, exec_lo, s33
	s_and_saveexec_b32 s33, s23
	s_cbranch_execz .LBB105_71
.LBB105_103:                            ;   in Loop: Header=BB105_47 Depth=1
	v_mov_b32_e32 v4, s69
	ds_load_b32 v4, v4
	s_waitcnt lgkmcnt(0)
	v_add_nc_u32_e32 v8, v8, v4
	s_or_b32 exec_lo, exec_lo, s33
	s_and_saveexec_b32 s33, s24
	s_cbranch_execz .LBB105_72
.LBB105_104:                            ;   in Loop: Header=BB105_47 Depth=1
	v_mov_b32_e32 v4, s70
	ds_load_b32 v4, v4
	s_waitcnt lgkmcnt(0)
	v_add_nc_u32_e32 v8, v8, v4
	s_or_b32 exec_lo, exec_lo, s33
	s_and_saveexec_b32 s33, s25
	s_cbranch_execz .LBB105_73
.LBB105_105:                            ;   in Loop: Header=BB105_47 Depth=1
	v_mov_b32_e32 v4, s71
	ds_load_b32 v4, v4
	s_waitcnt lgkmcnt(0)
	v_add_nc_u32_e32 v8, v8, v4
	s_or_b32 exec_lo, exec_lo, s33
	s_and_saveexec_b32 s33, s26
	s_cbranch_execz .LBB105_74
.LBB105_106:                            ;   in Loop: Header=BB105_47 Depth=1
	v_mov_b32_e32 v4, s72
	ds_load_b32 v4, v4
	s_waitcnt lgkmcnt(0)
	v_add_nc_u32_e32 v8, v8, v4
	s_or_b32 exec_lo, exec_lo, s33
	s_and_saveexec_b32 s33, s27
	s_cbranch_execz .LBB105_75
.LBB105_107:                            ;   in Loop: Header=BB105_47 Depth=1
	v_mov_b32_e32 v4, s74
	ds_load_b32 v4, v4
	s_waitcnt lgkmcnt(0)
	v_add_nc_u32_e32 v8, v8, v4
	s_or_b32 exec_lo, exec_lo, s33
	s_and_saveexec_b32 s33, s28
	s_cbranch_execz .LBB105_76
.LBB105_108:                            ;   in Loop: Header=BB105_47 Depth=1
	v_mov_b32_e32 v4, s75
	ds_load_b32 v4, v4
	s_waitcnt lgkmcnt(0)
	v_add_nc_u32_e32 v8, v8, v4
	s_or_b32 exec_lo, exec_lo, s33
	s_and_saveexec_b32 s33, s29
	s_cbranch_execz .LBB105_77
.LBB105_109:                            ;   in Loop: Header=BB105_47 Depth=1
	v_mov_b32_e32 v4, s76
	ds_load_b32 v4, v4
	s_waitcnt lgkmcnt(0)
	v_add_nc_u32_e32 v8, v8, v4
	s_or_b32 exec_lo, exec_lo, s33
	s_and_saveexec_b32 s33, s30
	s_cbranch_execz .LBB105_78
.LBB105_110:                            ;   in Loop: Header=BB105_47 Depth=1
	v_mov_b32_e32 v4, s77
	ds_load_b32 v4, v4
	s_waitcnt lgkmcnt(0)
	v_add_nc_u32_e32 v8, v8, v4
	s_or_b32 exec_lo, exec_lo, s33
	s_delay_alu instid0(VALU_DEP_1)
	v_ashrrev_i32_e32 v9, 31, v8
	s_and_saveexec_b32 s33, s31
	s_cbranch_execz .LBB105_79
.LBB105_111:                            ;   in Loop: Header=BB105_47 Depth=1
	v_add3_u32 v4, v2, -1, v8
	s_delay_alu instid0(VALU_DEP_1) | instskip(SKIP_1) | instid1(VALU_DEP_2)
	v_lshlrev_b32_e32 v16, 2, v4
	v_lshl_add_u32 v4, v4, 3, 0
	v_add3_u32 v16, 0, v16, 0x20000
	ds_store_b64 v4, v[6:7]
	ds_store_b32 v16, v15
	s_or_b32 exec_lo, exec_lo, s33
	s_and_saveexec_b32 s31, vcc_lo
	s_cbranch_execz .LBB105_46
.LBB105_112:                            ;   in Loop: Header=BB105_47 Depth=1
	v_mov_b32_e32 v4, s73
	ds_store_b64 v4, v[8:9]
	s_branch .LBB105_46
.LBB105_113:
	s_or_b32 exec_lo, exec_lo, s36
	s_lshl_b64 s[0:1], s[52:53], 3
	v_mov_b32_e32 v1, 0
	s_add_u32 s0, s42, s0
	s_addc_u32 s1, s43, s1
	s_mov_b32 s6, exec_lo
	s_load_b128 s[0:3], s[0:1], 0x0
	s_waitcnt lgkmcnt(0)
	s_sub_u32 s4, s2, s0
	s_subb_u32 s5, s3, s1
	s_delay_alu instid0(SALU_CYCLE_1)
	v_cmpx_gt_i64_e64 s[4:5], v[0:1]
	s_cbranch_execz .LBB105_123
; %bb.114:
	s_sub_u32 s8, s0, s46
	s_subb_u32 s9, s1, 0
	s_and_b32 s6, s4, 7
	s_sub_u32 s0, s0, s2
	s_subb_u32 s1, s1, s3
	s_mov_b32 s7, 0
	v_cmp_lt_u64_e64 s12, s[0:1], -7
	s_and_b32 s2, s4, -8
	s_cmp_lg_u64 s[6:7], 0
	s_mov_b32 s3, s5
	s_cselect_b32 s13, -1, 0
	s_mov_b32 s14, s7
	s_branch .LBB105_116
.LBB105_115:                            ;   in Loop: Header=BB105_116 Depth=1
	s_waitcnt lgkmcnt(1)
	v_add_co_u32 v2, vcc_lo, v2, s46
	v_lshlrev_b64 v[7:8], 3, v[4:5]
	v_add_co_ci_u32_e32 v3, vcc_lo, 0, v3, vcc_lo
	v_add_co_u32 v0, vcc_lo, 0x400, v0
	v_add_co_ci_u32_e32 v1, vcc_lo, 0, v1, vcc_lo
	v_lshlrev_b64 v[4:5], 2, v[4:5]
	v_add_co_u32 v7, vcc_lo, s48, v7
	v_add_co_ci_u32_e32 v8, vcc_lo, s49, v8, vcc_lo
	s_delay_alu instid0(VALU_DEP_4) | instskip(NEXT) | instid1(VALU_DEP_4)
	v_cmp_le_i64_e32 vcc_lo, s[4:5], v[0:1]
	v_add_co_u32 v4, s0, s50, v4
	s_delay_alu instid0(VALU_DEP_1) | instskip(SKIP_4) | instid1(SALU_CYCLE_1)
	v_add_co_ci_u32_e64 v5, s0, s51, v5, s0
	global_store_b64 v[7:8], v[2:3], off
	s_waitcnt lgkmcnt(0)
	global_store_b32 v[4:5], v6, off
	s_or_b32 s14, vcc_lo, s14
	s_and_not1_b32 exec_lo, exec_lo, s14
	s_cbranch_execz .LBB105_123
.LBB105_116:                            ; =>This Loop Header: Depth=1
                                        ;     Child Loop BB105_118 Depth 2
                                        ;     Child Loop BB105_122 Depth 2
	v_lshlrev_b32_e32 v2, 2, v0
	v_lshl_add_u32 v3, v0, 3, 0
	s_and_not1_b32 vcc_lo, exec_lo, s12
	s_mov_b64 s[0:1], 0
	s_delay_alu instid0(VALU_DEP_2)
	v_add3_u32 v4, 0, v2, 0x20000
	ds_load_b64 v[2:3], v3
	ds_load_b32 v6, v4
	v_dual_mov_b32 v4, s8 :: v_dual_mov_b32 v5, s9
	s_cbranch_vccnz .LBB105_120
; %bb.117:                              ;   in Loop: Header=BB105_116 Depth=1
	v_dual_mov_b32 v4, s8 :: v_dual_mov_b32 v5, s9
	s_mov_b64 s[10:11], 0
	s_mov_b32 s1, 0
.LBB105_118:                            ;   Parent Loop BB105_116 Depth=1
                                        ; =>  This Inner Loop Header: Depth=2
	s_delay_alu instid0(SALU_CYCLE_1)
	v_mov_b32_e32 v19, s1
	s_add_u32 s10, s10, 8
	s_addc_u32 s11, s11, 0
	s_add_i32 s1, s1, 64
	s_cmp_eq_u64 s[2:3], s[10:11]
	ds_load_2addr_b64 v[7:10], v19 offset1:1
	ds_load_2addr_b64 v[11:14], v19 offset0:2 offset1:3
	ds_load_2addr_b64 v[15:18], v19 offset0:4 offset1:5
	;; [unrolled: 1-line block ×3, first 2 shown]
	s_waitcnt lgkmcnt(3)
	v_cmp_gt_i64_e32 vcc_lo, v[2:3], v[7:8]
	v_cndmask_b32_e64 v7, 0, 1, vcc_lo
	v_cmp_gt_i64_e32 vcc_lo, v[2:3], v[9:10]
	v_cndmask_b32_e64 v8, 0, 1, vcc_lo
	s_waitcnt lgkmcnt(2)
	v_cmp_gt_i64_e32 vcc_lo, v[2:3], v[11:12]
	v_cndmask_b32_e64 v9, 0, 1, vcc_lo
	v_cmp_gt_i64_e32 vcc_lo, v[2:3], v[13:14]
	v_cndmask_b32_e64 v10, 0, 1, vcc_lo
	s_waitcnt lgkmcnt(1)
	v_cmp_gt_i64_e32 vcc_lo, v[2:3], v[15:16]
	v_cndmask_b32_e64 v11, 0, 1, vcc_lo
	v_add_co_u32 v4, vcc_lo, v4, v7
	v_add_co_ci_u32_e32 v5, vcc_lo, 0, v5, vcc_lo
	v_cmp_gt_i64_e32 vcc_lo, v[2:3], v[17:18]
	s_delay_alu instid0(VALU_DEP_3) | instskip(NEXT) | instid1(VALU_DEP_1)
	v_add_co_u32 v4, s0, v4, v8
	v_add_co_ci_u32_e64 v5, s0, 0, v5, s0
	v_cndmask_b32_e64 v7, 0, 1, vcc_lo
	s_delay_alu instid0(VALU_DEP_3) | instskip(NEXT) | instid1(VALU_DEP_3)
	v_add_co_u32 v4, vcc_lo, v4, v9
	v_add_co_ci_u32_e32 v5, vcc_lo, 0, v5, vcc_lo
	s_waitcnt lgkmcnt(0)
	v_cmp_gt_i64_e32 vcc_lo, v[2:3], v[19:20]
	s_delay_alu instid0(VALU_DEP_3) | instskip(NEXT) | instid1(VALU_DEP_1)
	v_add_co_u32 v4, s0, v4, v10
	v_add_co_ci_u32_e64 v5, s0, 0, v5, s0
	v_cndmask_b32_e64 v8, 0, 1, vcc_lo
	s_delay_alu instid0(VALU_DEP_3) | instskip(NEXT) | instid1(VALU_DEP_3)
	v_add_co_u32 v4, vcc_lo, v4, v11
	v_add_co_ci_u32_e32 v5, vcc_lo, 0, v5, vcc_lo
	v_cmp_gt_i64_e32 vcc_lo, v[2:3], v[21:22]
	s_delay_alu instid0(VALU_DEP_3) | instskip(NEXT) | instid1(VALU_DEP_1)
	v_add_co_u32 v4, s0, v4, v7
	v_add_co_ci_u32_e64 v5, s0, 0, v5, s0
	v_cndmask_b32_e64 v7, 0, 1, vcc_lo
	s_delay_alu instid0(VALU_DEP_3) | instskip(NEXT) | instid1(VALU_DEP_3)
	v_add_co_u32 v4, vcc_lo, v4, v8
	v_add_co_ci_u32_e32 v5, vcc_lo, 0, v5, vcc_lo
	s_delay_alu instid0(VALU_DEP_2) | instskip(NEXT) | instid1(VALU_DEP_2)
	v_add_co_u32 v4, vcc_lo, v4, v7
	v_add_co_ci_u32_e32 v5, vcc_lo, 0, v5, vcc_lo
	s_cbranch_scc0 .LBB105_118
; %bb.119:                              ;   in Loop: Header=BB105_116 Depth=1
	s_mov_b64 s[0:1], s[2:3]
.LBB105_120:                            ;   in Loop: Header=BB105_116 Depth=1
	s_and_not1_b32 vcc_lo, exec_lo, s13
	s_cbranch_vccnz .LBB105_115
; %bb.121:                              ;   in Loop: Header=BB105_116 Depth=1
	s_lshl_b32 s0, s0, 3
	s_delay_alu instid0(SALU_CYCLE_1)
	s_add_i32 s10, s0, 0
	s_mov_b64 s[0:1], s[6:7]
.LBB105_122:                            ;   Parent Loop BB105_116 Depth=1
                                        ; =>  This Inner Loop Header: Depth=2
	v_mov_b32_e32 v7, s10
	s_add_i32 s10, s10, 8
	s_add_u32 s0, s0, -1
	s_addc_u32 s1, s1, -1
	s_delay_alu instid0(SALU_CYCLE_1) | instskip(SKIP_4) | instid1(VALU_DEP_1)
	s_cmp_lg_u64 s[0:1], 0
	ds_load_b64 v[7:8], v7
	s_waitcnt lgkmcnt(0)
	v_cmp_gt_i64_e32 vcc_lo, v[2:3], v[7:8]
	v_cndmask_b32_e64 v7, 0, 1, vcc_lo
	v_add_co_u32 v4, vcc_lo, v4, v7
	v_add_co_ci_u32_e32 v5, vcc_lo, 0, v5, vcc_lo
	s_cbranch_scc1 .LBB105_122
	s_branch .LBB105_115
.LBB105_123:
	s_nop 0
	s_sendmsg sendmsg(MSG_DEALLOC_VGPRS)
	s_endpgm
	.section	.rodata,"a",@progbits
	.p2align	6, 0x0
	.amdhsa_kernel _ZN9rocsparseL26csrgemm_fill_block_per_rowILj1024ELj64ELj16384ELj137ELj32EllfEEvT5_PKS1_S3_NS_24const_host_device_scalarIT6_EEPKT4_S3_PKS5_S9_S3_SB_S6_S9_S3_SB_S9_PS1_PS5_21rocsparse_index_base_SE_SE_SE_bbb
		.amdhsa_group_segment_fixed_size 0
		.amdhsa_private_segment_fixed_size 0
		.amdhsa_kernarg_size 156
		.amdhsa_user_sgpr_count 15
		.amdhsa_user_sgpr_dispatch_ptr 0
		.amdhsa_user_sgpr_queue_ptr 0
		.amdhsa_user_sgpr_kernarg_segment_ptr 1
		.amdhsa_user_sgpr_dispatch_id 0
		.amdhsa_user_sgpr_private_segment_size 0
		.amdhsa_wavefront_size32 1
		.amdhsa_uses_dynamic_stack 0
		.amdhsa_enable_private_segment 0
		.amdhsa_system_sgpr_workgroup_id_x 1
		.amdhsa_system_sgpr_workgroup_id_y 0
		.amdhsa_system_sgpr_workgroup_id_z 0
		.amdhsa_system_sgpr_workgroup_info 0
		.amdhsa_system_vgpr_workitem_id 0
		.amdhsa_next_free_vgpr 23
		.amdhsa_next_free_sgpr 78
		.amdhsa_reserve_vcc 1
		.amdhsa_float_round_mode_32 0
		.amdhsa_float_round_mode_16_64 0
		.amdhsa_float_denorm_mode_32 3
		.amdhsa_float_denorm_mode_16_64 3
		.amdhsa_dx10_clamp 1
		.amdhsa_ieee_mode 1
		.amdhsa_fp16_overflow 0
		.amdhsa_workgroup_processor_mode 1
		.amdhsa_memory_ordered 1
		.amdhsa_forward_progress 0
		.amdhsa_shared_vgpr_count 0
		.amdhsa_exception_fp_ieee_invalid_op 0
		.amdhsa_exception_fp_denorm_src 0
		.amdhsa_exception_fp_ieee_div_zero 0
		.amdhsa_exception_fp_ieee_overflow 0
		.amdhsa_exception_fp_ieee_underflow 0
		.amdhsa_exception_fp_ieee_inexact 0
		.amdhsa_exception_int_div_zero 0
	.end_amdhsa_kernel
	.section	.text._ZN9rocsparseL26csrgemm_fill_block_per_rowILj1024ELj64ELj16384ELj137ELj32EllfEEvT5_PKS1_S3_NS_24const_host_device_scalarIT6_EEPKT4_S3_PKS5_S9_S3_SB_S6_S9_S3_SB_S9_PS1_PS5_21rocsparse_index_base_SE_SE_SE_bbb,"axG",@progbits,_ZN9rocsparseL26csrgemm_fill_block_per_rowILj1024ELj64ELj16384ELj137ELj32EllfEEvT5_PKS1_S3_NS_24const_host_device_scalarIT6_EEPKT4_S3_PKS5_S9_S3_SB_S6_S9_S3_SB_S9_PS1_PS5_21rocsparse_index_base_SE_SE_SE_bbb,comdat
.Lfunc_end105:
	.size	_ZN9rocsparseL26csrgemm_fill_block_per_rowILj1024ELj64ELj16384ELj137ELj32EllfEEvT5_PKS1_S3_NS_24const_host_device_scalarIT6_EEPKT4_S3_PKS5_S9_S3_SB_S6_S9_S3_SB_S9_PS1_PS5_21rocsparse_index_base_SE_SE_SE_bbb, .Lfunc_end105-_ZN9rocsparseL26csrgemm_fill_block_per_rowILj1024ELj64ELj16384ELj137ELj32EllfEEvT5_PKS1_S3_NS_24const_host_device_scalarIT6_EEPKT4_S3_PKS5_S9_S3_SB_S6_S9_S3_SB_S9_PS1_PS5_21rocsparse_index_base_SE_SE_SE_bbb
                                        ; -- End function
	.section	.AMDGPU.csdata,"",@progbits
; Kernel info:
; codeLenInByte = 4876
; NumSgprs: 80
; NumVgprs: 23
; ScratchSize: 0
; MemoryBound: 0
; FloatMode: 240
; IeeeMode: 1
; LDSByteSize: 0 bytes/workgroup (compile time only)
; SGPRBlocks: 9
; VGPRBlocks: 2
; NumSGPRsForWavesPerEU: 80
; NumVGPRsForWavesPerEU: 23
; Occupancy: 16
; WaveLimiterHint : 1
; COMPUTE_PGM_RSRC2:SCRATCH_EN: 0
; COMPUTE_PGM_RSRC2:USER_SGPR: 15
; COMPUTE_PGM_RSRC2:TRAP_HANDLER: 0
; COMPUTE_PGM_RSRC2:TGID_X_EN: 1
; COMPUTE_PGM_RSRC2:TGID_Y_EN: 0
; COMPUTE_PGM_RSRC2:TGID_Z_EN: 0
; COMPUTE_PGM_RSRC2:TIDIG_COMP_CNT: 0
	.section	.text._ZN9rocsparseL26csrgemm_fill_block_per_rowILj1024ELj64ELj16384ELj137ELj64EllfEEvT5_PKS1_S3_NS_24const_host_device_scalarIT6_EEPKT4_S3_PKS5_S9_S3_SB_S6_S9_S3_SB_S9_PS1_PS5_21rocsparse_index_base_SE_SE_SE_bbb,"axG",@progbits,_ZN9rocsparseL26csrgemm_fill_block_per_rowILj1024ELj64ELj16384ELj137ELj64EllfEEvT5_PKS1_S3_NS_24const_host_device_scalarIT6_EEPKT4_S3_PKS5_S9_S3_SB_S6_S9_S3_SB_S9_PS1_PS5_21rocsparse_index_base_SE_SE_SE_bbb,comdat
	.globl	_ZN9rocsparseL26csrgemm_fill_block_per_rowILj1024ELj64ELj16384ELj137ELj64EllfEEvT5_PKS1_S3_NS_24const_host_device_scalarIT6_EEPKT4_S3_PKS5_S9_S3_SB_S6_S9_S3_SB_S9_PS1_PS5_21rocsparse_index_base_SE_SE_SE_bbb ; -- Begin function _ZN9rocsparseL26csrgemm_fill_block_per_rowILj1024ELj64ELj16384ELj137ELj64EllfEEvT5_PKS1_S3_NS_24const_host_device_scalarIT6_EEPKT4_S3_PKS5_S9_S3_SB_S6_S9_S3_SB_S9_PS1_PS5_21rocsparse_index_base_SE_SE_SE_bbb
	.p2align	8
	.type	_ZN9rocsparseL26csrgemm_fill_block_per_rowILj1024ELj64ELj16384ELj137ELj64EllfEEvT5_PKS1_S3_NS_24const_host_device_scalarIT6_EEPKT4_S3_PKS5_S9_S3_SB_S6_S9_S3_SB_S9_PS1_PS5_21rocsparse_index_base_SE_SE_SE_bbb,@function
_ZN9rocsparseL26csrgemm_fill_block_per_rowILj1024ELj64ELj16384ELj137ELj64EllfEEvT5_PKS1_S3_NS_24const_host_device_scalarIT6_EEPKT4_S3_PKS5_S9_S3_SB_S6_S9_S3_SB_S9_PS1_PS5_21rocsparse_index_base_SE_SE_SE_bbb: ; @_ZN9rocsparseL26csrgemm_fill_block_per_rowILj1024ELj64ELj16384ELj137ELj64EllfEEvT5_PKS1_S3_NS_24const_host_device_scalarIT6_EEPKT4_S3_PKS5_S9_S3_SB_S6_S9_S3_SB_S9_PS1_PS5_21rocsparse_index_base_SE_SE_SE_bbb
; %bb.0:
	s_clause 0x3
	s_load_b32 s3, s[0:1], 0x98
	s_load_b128 s[20:23], s[0:1], 0x88
	s_load_b64 s[4:5], s[0:1], 0x18
	s_load_b64 s[34:35], s[0:1], 0x50
	s_mov_b32 s2, s15
	s_waitcnt lgkmcnt(0)
	s_bitcmp1_b32 s3, 0
	s_cselect_b32 s40, -1, 0
	s_bitcmp1_b32 s3, 16
	s_cselect_b32 s41, -1, 0
	s_xor_b32 s6, s40, -1
	s_delay_alu instid0(SALU_CYCLE_1) | instskip(NEXT) | instid1(SALU_CYCLE_1)
	s_or_b32 s6, s6, s41
	s_and_b32 vcc_lo, exec_lo, s6
	s_cbranch_vccnz .LBB106_2
; %bb.1:
	s_load_b32 s4, s[4:5], 0x0
	s_waitcnt lgkmcnt(0)
	v_mov_b32_e32 v16, s4
	s_branch .LBB106_3
.LBB106_2:
	v_cndmask_b32_e64 v16, 0, s4, s40
.LBB106_3:
	s_clause 0x4
	s_load_b128 s[24:27], s[0:1], 0x78
	s_load_b256 s[12:19], s[0:1], 0x58
	s_load_b128 s[28:31], s[0:1], 0x40
	s_load_b128 s[36:39], s[0:1], 0x8
	s_load_b256 s[4:11], s[0:1], 0x20
	s_bitcmp1_b32 s3, 8
	s_cselect_b32 s33, -1, 0
	s_delay_alu instid0(SALU_CYCLE_1) | instskip(NEXT) | instid1(SALU_CYCLE_1)
	s_xor_b32 s3, s33, -1
	s_or_b32 s3, s3, s41
	s_delay_alu instid0(SALU_CYCLE_1)
	s_and_b32 vcc_lo, exec_lo, s3
	s_cbranch_vccnz .LBB106_5
; %bb.4:
	s_load_b32 s3, s[34:35], 0x0
	s_waitcnt lgkmcnt(0)
	v_mov_b32_e32 v14, s3
	s_branch .LBB106_6
.LBB106_5:
	v_cndmask_b32_e64 v14, 0, s34, s33
.LBB106_6:
	s_load_b64 s[34:35], s[0:1], 0x0
	v_lshl_add_u32 v11, v0, 3, 0
	v_lshlrev_b32_e32 v1, 2, v0
	v_or_b32_e32 v13, 0xfffffc00, v0
	v_mov_b32_e32 v3, 0
	s_mov_b32 s0, 0
	v_mov_b32_e32 v4, v11
	v_add3_u32 v12, v1, 0, 0x20000
	s_delay_alu instid0(VALU_DEP_1)
	v_dual_mov_b32 v6, v13 :: v_dual_mov_b32 v5, v12
	s_waitcnt lgkmcnt(0)
	v_dual_mov_b32 v1, s34 :: v_dual_mov_b32 v2, s35
.LBB106_7:                              ; =>This Inner Loop Header: Depth=1
	s_delay_alu instid0(VALU_DEP_2)
	v_add_nc_u32_e32 v6, 0x400, v6
	ds_store_b64 v4, v[1:2]
	ds_store_b32 v5, v3
	v_add_nc_u32_e32 v5, 0x1000, v5
	v_add_nc_u32_e32 v4, 0x2000, v4
	v_cmp_lt_u32_e32 vcc_lo, 0x3bff, v6
	s_or_b32 s0, vcc_lo, s0
	s_delay_alu instid0(SALU_CYCLE_1)
	s_and_not1_b32 exec_lo, exec_lo, s0
	s_cbranch_execnz .LBB106_7
; %bb.8:
	s_or_b32 exec_lo, exec_lo, s0
	s_waitcnt lgkmcnt(0)
	s_barrier
	buffer_gl0_inv
	s_load_b64 s[0:1], s[36:37], 0x0
	s_mov_b32 s3, 0
	v_lshrrev_b32_e32 v15, 6, v0
	s_waitcnt lgkmcnt(0)
	s_lshl_b64 s[0:1], s[0:1], 3
	s_delay_alu instid0(SALU_CYCLE_1) | instskip(SKIP_2) | instid1(SALU_CYCLE_1)
	s_add_u32 s36, s38, s0
	s_addc_u32 s37, s39, s1
	s_lshl_b64 s[0:1], s[2:3], 3
	s_add_u32 s0, s36, s0
	s_addc_u32 s1, s37, s1
	s_and_b32 vcc_lo, exec_lo, s40
	s_load_b64 s[36:37], s[0:1], 0x0
	s_cbranch_vccz .LBB106_28
; %bb.9:
	s_waitcnt lgkmcnt(0)
	s_lshl_b64 s[0:1], s[36:37], 3
	s_delay_alu instid0(SALU_CYCLE_1)
	s_add_u32 s0, s4, s0
	s_addc_u32 s1, s5, s1
	v_sub_co_u32 v1, s4, v15, s20
	s_load_b128 s[0:3], s[0:1], 0x0
	v_sub_co_ci_u32_e64 v2, null, 0, 0, s4
	s_waitcnt lgkmcnt(0)
	s_delay_alu instid0(VALU_DEP_2) | instskip(NEXT) | instid1(VALU_DEP_2)
	v_add_co_u32 v1, vcc_lo, s0, v1
	v_add_co_ci_u32_e32 v2, vcc_lo, s1, v2, vcc_lo
	s_sub_u32 s0, s2, s20
	s_subb_u32 s1, s3, 0
	s_mov_b32 s2, exec_lo
	s_delay_alu instid0(VALU_DEP_1)
	v_cmpx_gt_i64_e64 s[0:1], v[1:2]
	s_cbranch_execz .LBB106_27
; %bb.10:
	v_and_b32_e32 v3, 63, v0
	s_mov_b32 s4, s21
	s_delay_alu instid0(VALU_DEP_1) | instskip(NEXT) | instid1(VALU_DEP_1)
	v_sub_co_u32 v17, s3, v3, s21
	v_sub_co_ci_u32_e64 v18, null, 0, 0, s3
	s_mov_b32 s3, 0
	s_branch .LBB106_12
.LBB106_11:                             ;   in Loop: Header=BB106_12 Depth=1
	s_or_b32 exec_lo, exec_lo, s5
	v_add_co_u32 v1, vcc_lo, v1, 16
	v_add_co_ci_u32_e32 v2, vcc_lo, 0, v2, vcc_lo
	s_delay_alu instid0(VALU_DEP_1) | instskip(SKIP_1) | instid1(SALU_CYCLE_1)
	v_cmp_le_i64_e32 vcc_lo, s[0:1], v[1:2]
	s_or_b32 s3, vcc_lo, s3
	s_and_not1_b32 exec_lo, exec_lo, s3
	s_cbranch_execz .LBB106_27
.LBB106_12:                             ; =>This Loop Header: Depth=1
                                        ;     Child Loop BB106_15 Depth 2
                                        ;       Child Loop BB106_17 Depth 3
	v_lshlrev_b64 v[3:4], 3, v[1:2]
	s_mov_b32 s5, exec_lo
	s_delay_alu instid0(VALU_DEP_1) | instskip(NEXT) | instid1(VALU_DEP_2)
	v_add_co_u32 v3, vcc_lo, s6, v3
	v_add_co_ci_u32_e32 v4, vcc_lo, s7, v4, vcc_lo
	global_load_b64 v[3:4], v[3:4], off
	s_waitcnt vmcnt(0)
	v_sub_co_u32 v3, vcc_lo, v3, s20
	v_subrev_co_ci_u32_e32 v4, vcc_lo, 0, v4, vcc_lo
	s_delay_alu instid0(VALU_DEP_1) | instskip(NEXT) | instid1(VALU_DEP_1)
	v_lshlrev_b64 v[3:4], 3, v[3:4]
	v_add_co_u32 v3, vcc_lo, s10, v3
	s_delay_alu instid0(VALU_DEP_2)
	v_add_co_ci_u32_e32 v4, vcc_lo, s11, v4, vcc_lo
	global_load_b128 v[5:8], v[3:4], off
	s_waitcnt vmcnt(0)
	v_sub_co_u32 v3, vcc_lo, v7, s4
	v_subrev_co_ci_u32_e32 v4, vcc_lo, 0, v8, vcc_lo
	v_add_co_u32 v5, vcc_lo, v5, v17
	v_add_co_ci_u32_e32 v6, vcc_lo, v6, v18, vcc_lo
	s_delay_alu instid0(VALU_DEP_1)
	v_cmpx_lt_i64_e64 v[5:6], v[3:4]
	s_cbranch_execz .LBB106_11
; %bb.13:                               ;   in Loop: Header=BB106_12 Depth=1
	v_lshlrev_b64 v[7:8], 2, v[1:2]
	s_mov_b32 s21, 0
	s_delay_alu instid0(VALU_DEP_1) | instskip(NEXT) | instid1(VALU_DEP_2)
	v_add_co_u32 v7, vcc_lo, s8, v7
	v_add_co_ci_u32_e32 v8, vcc_lo, s9, v8, vcc_lo
	global_load_b32 v7, v[7:8], off
	s_waitcnt vmcnt(0)
	v_mul_f32_e32 v19, v16, v7
	s_branch .LBB106_15
.LBB106_14:                             ;   in Loop: Header=BB106_15 Depth=2
	s_or_b32 exec_lo, exec_lo, s38
	v_add_co_u32 v5, vcc_lo, v5, 64
	v_add_co_ci_u32_e32 v6, vcc_lo, 0, v6, vcc_lo
	s_delay_alu instid0(VALU_DEP_1) | instskip(SKIP_1) | instid1(SALU_CYCLE_1)
	v_cmp_ge_i64_e32 vcc_lo, v[5:6], v[3:4]
	s_or_b32 s21, vcc_lo, s21
	s_and_not1_b32 exec_lo, exec_lo, s21
	s_cbranch_execz .LBB106_11
.LBB106_15:                             ;   Parent Loop BB106_12 Depth=1
                                        ; =>  This Loop Header: Depth=2
                                        ;       Child Loop BB106_17 Depth 3
	v_lshlrev_b64 v[7:8], 3, v[5:6]
	v_lshlrev_b64 v[9:10], 2, v[5:6]
	s_mov_b32 s38, 0
	s_delay_alu instid0(VALU_DEP_2) | instskip(NEXT) | instid1(VALU_DEP_3)
	v_add_co_u32 v7, vcc_lo, s28, v7
	v_add_co_ci_u32_e32 v8, vcc_lo, s29, v8, vcc_lo
	s_delay_alu instid0(VALU_DEP_3) | instskip(NEXT) | instid1(VALU_DEP_4)
	v_add_co_u32 v9, vcc_lo, s30, v9
	v_add_co_ci_u32_e32 v10, vcc_lo, s31, v10, vcc_lo
	global_load_b64 v[7:8], v[7:8], off
	global_load_b32 v9, v[9:10], off
	s_waitcnt vmcnt(1)
	v_sub_co_u32 v7, vcc_lo, v7, s4
	v_subrev_co_ci_u32_e32 v8, vcc_lo, 0, v8, vcc_lo
	s_delay_alu instid0(VALU_DEP_2) | instskip(SKIP_1) | instid1(VALU_DEP_1)
	v_mul_lo_u32 v10, 0x89, v7
	s_waitcnt vmcnt(0)
	v_dual_mul_f32 v20, v19, v9 :: v_dual_and_b32 v21, 0x3fff, v10
	s_branch .LBB106_17
.LBB106_16:                             ;   in Loop: Header=BB106_17 Depth=3
	s_or_b32 exec_lo, exec_lo, s39
	s_xor_b32 s39, s40, -1
	s_delay_alu instid0(SALU_CYCLE_1) | instskip(NEXT) | instid1(SALU_CYCLE_1)
	s_and_b32 s39, exec_lo, s39
	s_or_b32 s38, s39, s38
	s_delay_alu instid0(SALU_CYCLE_1)
	s_and_not1_b32 exec_lo, exec_lo, s38
	s_cbranch_execz .LBB106_14
.LBB106_17:                             ;   Parent Loop BB106_12 Depth=1
                                        ;     Parent Loop BB106_15 Depth=2
                                        ; =>    This Inner Loop Header: Depth=3
	s_delay_alu instid0(VALU_DEP_1)
	v_lshl_add_u32 v22, v21, 3, 0
	s_mov_b32 s39, exec_lo
                                        ; implicit-def: $sgpr40
	ds_load_b64 v[9:10], v22
	s_waitcnt lgkmcnt(0)
	v_cmpx_ne_u64_e64 v[9:10], v[7:8]
	s_xor_b32 s39, exec_lo, s39
	s_cbranch_execz .LBB106_25
; %bb.18:                               ;   in Loop: Header=BB106_17 Depth=3
	s_mov_b32 s41, exec_lo
                                        ; implicit-def: $sgpr40
	v_cmpx_ne_u64_e64 s[34:35], v[9:10]
	s_xor_b32 s41, exec_lo, s41
; %bb.19:                               ;   in Loop: Header=BB106_17 Depth=3
	v_add_nc_u32_e32 v9, 1, v21
	s_mov_b32 s40, -1
                                        ; implicit-def: $vgpr22
	s_delay_alu instid0(VALU_DEP_1)
	v_and_b32_e32 v21, 0x3fff, v9
; %bb.20:                               ;   in Loop: Header=BB106_17 Depth=3
	s_and_not1_saveexec_b32 s41, s41
	s_cbranch_execz .LBB106_24
; %bb.21:                               ;   in Loop: Header=BB106_17 Depth=3
	v_dual_mov_b32 v9, s34 :: v_dual_mov_b32 v10, s35
	s_mov_b32 s42, -1
	s_mov_b32 s43, exec_lo
	ds_cmpstore_rtn_b64 v[9:10], v22, v[7:8], v[9:10]
	s_waitcnt lgkmcnt(0)
	v_cmpx_eq_u64_e64 s[34:35], v[9:10]
	s_cbranch_execz .LBB106_23
; %bb.22:                               ;   in Loop: Header=BB106_17 Depth=3
	v_lshlrev_b32_e32 v9, 2, v21
	s_xor_b32 s42, exec_lo, -1
	s_delay_alu instid0(VALU_DEP_1)
	v_add3_u32 v9, 0, v9, 0x20000
	ds_add_f32 v9, v20
.LBB106_23:                             ;   in Loop: Header=BB106_17 Depth=3
	s_or_b32 exec_lo, exec_lo, s43
	s_delay_alu instid0(SALU_CYCLE_1) | instskip(SKIP_1) | instid1(SALU_CYCLE_1)
	s_and_not1_b32 s40, s40, exec_lo
	s_and_b32 s42, s42, exec_lo
	s_or_b32 s40, s40, s42
.LBB106_24:                             ;   in Loop: Header=BB106_17 Depth=3
	s_or_b32 exec_lo, exec_lo, s41
	s_delay_alu instid0(SALU_CYCLE_1)
	s_and_b32 s40, s40, exec_lo
.LBB106_25:                             ;   in Loop: Header=BB106_17 Depth=3
	s_and_not1_saveexec_b32 s39, s39
	s_cbranch_execz .LBB106_16
; %bb.26:                               ;   in Loop: Header=BB106_17 Depth=3
	v_lshlrev_b32_e32 v9, 2, v21
	s_and_not1_b32 s40, s40, exec_lo
	s_delay_alu instid0(VALU_DEP_1)
	v_add3_u32 v9, 0, v9, 0x20000
	ds_add_f32 v9, v20
	s_branch .LBB106_16
.LBB106_27:
	s_or_b32 exec_lo, exec_lo, s2
.LBB106_28:
	s_delay_alu instid0(SALU_CYCLE_1)
	s_and_not1_b32 vcc_lo, exec_lo, s33
	s_cbranch_vccnz .LBB106_45
; %bb.29:
	s_waitcnt lgkmcnt(0)
	s_lshl_b64 s[0:1], s[36:37], 3
	v_sub_co_u32 v1, s4, v0, s23
	s_add_u32 s0, s12, s0
	s_addc_u32 s1, s13, s1
	v_sub_co_ci_u32_e64 v2, null, 0, 0, s4
	s_load_b128 s[0:3], s[0:1], 0x0
	s_waitcnt lgkmcnt(0)
	v_add_co_u32 v1, vcc_lo, s0, v1
	s_delay_alu instid0(VALU_DEP_2)
	v_add_co_ci_u32_e32 v2, vcc_lo, s1, v2, vcc_lo
	s_sub_u32 s0, s2, s23
	s_subb_u32 s1, s3, 0
	s_mov_b32 s2, 0
	s_mov_b32 s3, exec_lo
	v_cmpx_gt_i64_e64 s[0:1], v[1:2]
	s_cbranch_execz .LBB106_44
; %bb.30:
	s_mov_b32 s4, s23
	s_branch .LBB106_32
.LBB106_31:                             ;   in Loop: Header=BB106_32 Depth=1
	s_or_b32 exec_lo, exec_lo, s5
	v_add_co_u32 v1, vcc_lo, 0x400, v1
	v_add_co_ci_u32_e32 v2, vcc_lo, 0, v2, vcc_lo
	s_delay_alu instid0(VALU_DEP_1) | instskip(SKIP_1) | instid1(SALU_CYCLE_1)
	v_cmp_le_i64_e32 vcc_lo, s[0:1], v[1:2]
	s_or_b32 s2, vcc_lo, s2
	s_and_not1_b32 exec_lo, exec_lo, s2
	s_cbranch_execz .LBB106_44
.LBB106_32:                             ; =>This Loop Header: Depth=1
                                        ;     Child Loop BB106_34 Depth 2
	v_lshlrev_b64 v[3:4], 3, v[1:2]
	v_lshlrev_b64 v[5:6], 2, v[1:2]
	s_mov_b32 s5, 0
	s_delay_alu instid0(VALU_DEP_2) | instskip(NEXT) | instid1(VALU_DEP_3)
	v_add_co_u32 v3, vcc_lo, s14, v3
	v_add_co_ci_u32_e32 v4, vcc_lo, s15, v4, vcc_lo
	s_delay_alu instid0(VALU_DEP_3) | instskip(NEXT) | instid1(VALU_DEP_4)
	v_add_co_u32 v5, vcc_lo, s16, v5
	v_add_co_ci_u32_e32 v6, vcc_lo, s17, v6, vcc_lo
	global_load_b64 v[3:4], v[3:4], off
	global_load_b32 v5, v[5:6], off
	s_waitcnt vmcnt(1)
	v_sub_co_u32 v3, vcc_lo, v3, s4
	v_subrev_co_ci_u32_e32 v4, vcc_lo, 0, v4, vcc_lo
	s_delay_alu instid0(VALU_DEP_2) | instskip(SKIP_1) | instid1(VALU_DEP_1)
	v_mul_lo_u32 v6, 0x89, v3
	s_waitcnt vmcnt(0)
	v_dual_mul_f32 v7, v14, v5 :: v_dual_and_b32 v8, 0x3fff, v6
	s_branch .LBB106_34
.LBB106_33:                             ;   in Loop: Header=BB106_34 Depth=2
	s_or_b32 exec_lo, exec_lo, s6
	s_xor_b32 s6, s7, -1
	s_delay_alu instid0(SALU_CYCLE_1) | instskip(NEXT) | instid1(SALU_CYCLE_1)
	s_and_b32 s6, exec_lo, s6
	s_or_b32 s5, s6, s5
	s_delay_alu instid0(SALU_CYCLE_1)
	s_and_not1_b32 exec_lo, exec_lo, s5
	s_cbranch_execz .LBB106_31
.LBB106_34:                             ;   Parent Loop BB106_32 Depth=1
                                        ; =>  This Inner Loop Header: Depth=2
	s_delay_alu instid0(VALU_DEP_1)
	v_lshl_add_u32 v9, v8, 3, 0
	s_mov_b32 s6, exec_lo
                                        ; implicit-def: $sgpr7
	ds_load_b64 v[5:6], v9
	s_waitcnt lgkmcnt(0)
	v_cmpx_ne_u64_e64 v[5:6], v[3:4]
	s_xor_b32 s6, exec_lo, s6
	s_cbranch_execz .LBB106_42
; %bb.35:                               ;   in Loop: Header=BB106_34 Depth=2
	s_mov_b32 s8, exec_lo
                                        ; implicit-def: $sgpr7
	v_cmpx_ne_u64_e64 s[34:35], v[5:6]
	s_xor_b32 s8, exec_lo, s8
; %bb.36:                               ;   in Loop: Header=BB106_34 Depth=2
	v_add_nc_u32_e32 v5, 1, v8
	s_mov_b32 s7, -1
                                        ; implicit-def: $vgpr9
	s_delay_alu instid0(VALU_DEP_1)
	v_and_b32_e32 v8, 0x3fff, v5
; %bb.37:                               ;   in Loop: Header=BB106_34 Depth=2
	s_and_not1_saveexec_b32 s8, s8
	s_cbranch_execz .LBB106_41
; %bb.38:                               ;   in Loop: Header=BB106_34 Depth=2
	v_dual_mov_b32 v5, s34 :: v_dual_mov_b32 v6, s35
	s_mov_b32 s9, -1
	s_mov_b32 s10, exec_lo
	ds_cmpstore_rtn_b64 v[5:6], v9, v[3:4], v[5:6]
	s_waitcnt lgkmcnt(0)
	v_cmpx_eq_u64_e64 s[34:35], v[5:6]
	s_cbranch_execz .LBB106_40
; %bb.39:                               ;   in Loop: Header=BB106_34 Depth=2
	v_lshlrev_b32_e32 v5, 2, v8
	s_xor_b32 s9, exec_lo, -1
	s_delay_alu instid0(VALU_DEP_1)
	v_add3_u32 v5, 0, v5, 0x20000
	ds_add_f32 v5, v7
.LBB106_40:                             ;   in Loop: Header=BB106_34 Depth=2
	s_or_b32 exec_lo, exec_lo, s10
	s_delay_alu instid0(SALU_CYCLE_1) | instskip(SKIP_1) | instid1(SALU_CYCLE_1)
	s_and_not1_b32 s7, s7, exec_lo
	s_and_b32 s9, s9, exec_lo
	s_or_b32 s7, s7, s9
.LBB106_41:                             ;   in Loop: Header=BB106_34 Depth=2
	s_or_b32 exec_lo, exec_lo, s8
	s_delay_alu instid0(SALU_CYCLE_1)
	s_and_b32 s7, s7, exec_lo
.LBB106_42:                             ;   in Loop: Header=BB106_34 Depth=2
	s_and_not1_saveexec_b32 s6, s6
	s_cbranch_execz .LBB106_33
; %bb.43:                               ;   in Loop: Header=BB106_34 Depth=2
	v_lshlrev_b32_e32 v5, 2, v8
	s_and_not1_b32 s7, s7, exec_lo
	s_delay_alu instid0(VALU_DEP_1)
	v_add3_u32 v5, 0, v5, 0x20000
	ds_add_f32 v5, v7
	s_branch .LBB106_33
.LBB106_44:
	s_or_b32 exec_lo, exec_lo, s3
.LBB106_45:
	v_mbcnt_lo_u32_b32 v1, -1, 0
	v_dual_mov_b32 v5, 0 :: v_dual_lshlrev_b32 v2, 3, v15
	s_add_i32 s41, 0, 0x30078
	v_cmp_eq_u32_e32 vcc_lo, 0x3ff, v0
	s_delay_alu instid0(VALU_DEP_3) | instskip(NEXT) | instid1(VALU_DEP_3)
	v_xor_b32_e32 v1, 63, v1
	v_add3_u32 v10, 0, 0x30000, v2
	v_cmp_lt_u32_e64 s0, 63, v0
	v_cmp_lt_u32_e64 s1, 0x7f, v0
	;; [unrolled: 1-line block ×3, first 2 shown]
	v_lshrrev_b64 v[1:2], v1, -1
	v_mov_b32_e32 v2, 0
	v_cmp_lt_u32_e64 s3, 0xff, v0
	v_cmp_lt_u32_e64 s4, 0x13f, v0
	v_cmp_lt_u32_e64 s5, 0x17f, v0
	v_cmp_lt_u32_e64 s6, 0x1bf, v0
	v_cmp_lt_u32_e64 s7, 0x1ff, v0
	v_cmp_lt_u32_e64 s8, 0x23f, v0
	v_cmp_lt_u32_e64 s9, 0x27f, v0
	v_cmp_lt_u32_e64 s10, 0x2bf, v0
	v_cmp_lt_u32_e64 s11, 0x2ff, v0
	v_cmp_lt_u32_e64 s12, 0x33f, v0
	v_cmp_lt_u32_e64 s13, 0x37f, v0
	v_cmp_lt_u32_e64 s14, 0x3bf, v0
	v_dual_mov_b32 v3, 0 :: v_dual_mov_b32 v14, s41
	s_mov_b32 s17, 0
	s_add_i32 s20, 0, 0x30000
	s_add_i32 s21, 0, 0x30008
	;; [unrolled: 1-line block ×15, first 2 shown]
	s_waitcnt lgkmcnt(0)
	s_barrier
	buffer_gl0_inv
	s_branch .LBB106_47
.LBB106_46:                             ;   in Loop: Header=BB106_47 Depth=1
	s_or_b32 exec_lo, exec_lo, s15
	s_waitcnt lgkmcnt(0)
	s_barrier
	buffer_gl0_inv
	ds_load_b64 v[6:7], v14
	v_add_nc_u32_e32 v13, 0x400, v13
	v_add_nc_u32_e32 v12, 0x1000, v12
	;; [unrolled: 1-line block ×3, first 2 shown]
	s_delay_alu instid0(VALU_DEP_3) | instskip(NEXT) | instid1(VALU_DEP_1)
	v_cmp_lt_u32_e64 s15, 0x3bff, v13
	s_or_b32 s17, s15, s17
	s_waitcnt lgkmcnt(0)
	v_add_co_u32 v2, s16, v6, v2
	s_delay_alu instid0(VALU_DEP_1)
	v_add_co_ci_u32_e64 v3, s16, v7, v3, s16
	s_and_not1_b32 exec_lo, exec_lo, s17
	s_cbranch_execz .LBB106_81
.LBB106_47:                             ; =>This Inner Loop Header: Depth=1
	ds_load_b64 v[6:7], v11
	ds_load_b32 v15, v12
	s_waitcnt lgkmcnt(0)
	s_barrier
	buffer_gl0_inv
	v_cmp_gt_i64_e64 s15, s[34:35], v[6:7]
	s_delay_alu instid0(VALU_DEP_1) | instskip(SKIP_1) | instid1(SALU_CYCLE_1)
	v_and_b32_e32 v8, s15, v1
	s_bcnt1_i32_b32 s16, s15
	v_mov_b32_e32 v4, s16
	s_delay_alu instid0(VALU_DEP_2)
	v_bcnt_u32_b32 v8, v8, 0
	ds_store_b64 v10, v[4:5]
	s_waitcnt lgkmcnt(0)
	s_barrier
	buffer_gl0_inv
	s_and_saveexec_b32 s16, s0
	s_cbranch_execnz .LBB106_64
; %bb.48:                               ;   in Loop: Header=BB106_47 Depth=1
	s_or_b32 exec_lo, exec_lo, s16
	s_and_saveexec_b32 s16, s1
	s_cbranch_execnz .LBB106_65
.LBB106_49:                             ;   in Loop: Header=BB106_47 Depth=1
	s_or_b32 exec_lo, exec_lo, s16
	s_and_saveexec_b32 s16, s2
	s_cbranch_execnz .LBB106_66
.LBB106_50:                             ;   in Loop: Header=BB106_47 Depth=1
	s_or_b32 exec_lo, exec_lo, s16
	s_and_saveexec_b32 s16, s3
	s_cbranch_execnz .LBB106_67
.LBB106_51:                             ;   in Loop: Header=BB106_47 Depth=1
	s_or_b32 exec_lo, exec_lo, s16
	s_and_saveexec_b32 s16, s4
	s_cbranch_execnz .LBB106_68
.LBB106_52:                             ;   in Loop: Header=BB106_47 Depth=1
	s_or_b32 exec_lo, exec_lo, s16
	s_and_saveexec_b32 s16, s5
	s_cbranch_execnz .LBB106_69
.LBB106_53:                             ;   in Loop: Header=BB106_47 Depth=1
	s_or_b32 exec_lo, exec_lo, s16
	s_and_saveexec_b32 s16, s6
	s_cbranch_execnz .LBB106_70
.LBB106_54:                             ;   in Loop: Header=BB106_47 Depth=1
	s_or_b32 exec_lo, exec_lo, s16
	s_and_saveexec_b32 s16, s7
	s_cbranch_execnz .LBB106_71
.LBB106_55:                             ;   in Loop: Header=BB106_47 Depth=1
	s_or_b32 exec_lo, exec_lo, s16
	s_and_saveexec_b32 s16, s8
	s_cbranch_execnz .LBB106_72
.LBB106_56:                             ;   in Loop: Header=BB106_47 Depth=1
	s_or_b32 exec_lo, exec_lo, s16
	s_and_saveexec_b32 s16, s9
	s_cbranch_execnz .LBB106_73
.LBB106_57:                             ;   in Loop: Header=BB106_47 Depth=1
	s_or_b32 exec_lo, exec_lo, s16
	s_and_saveexec_b32 s16, s10
	s_cbranch_execnz .LBB106_74
.LBB106_58:                             ;   in Loop: Header=BB106_47 Depth=1
	s_or_b32 exec_lo, exec_lo, s16
	s_and_saveexec_b32 s16, s11
	s_cbranch_execnz .LBB106_75
.LBB106_59:                             ;   in Loop: Header=BB106_47 Depth=1
	s_or_b32 exec_lo, exec_lo, s16
	s_and_saveexec_b32 s16, s12
	s_cbranch_execnz .LBB106_76
.LBB106_60:                             ;   in Loop: Header=BB106_47 Depth=1
	s_or_b32 exec_lo, exec_lo, s16
	s_and_saveexec_b32 s16, s13
	s_cbranch_execnz .LBB106_77
.LBB106_61:                             ;   in Loop: Header=BB106_47 Depth=1
	s_or_b32 exec_lo, exec_lo, s16
	s_and_saveexec_b32 s16, s14
	s_cbranch_execnz .LBB106_78
.LBB106_62:                             ;   in Loop: Header=BB106_47 Depth=1
	s_or_b32 exec_lo, exec_lo, s16
	v_ashrrev_i32_e32 v9, 31, v8
	s_and_saveexec_b32 s16, s15
	s_cbranch_execnz .LBB106_79
.LBB106_63:                             ;   in Loop: Header=BB106_47 Depth=1
	s_or_b32 exec_lo, exec_lo, s16
	s_and_saveexec_b32 s15, vcc_lo
	s_cbranch_execz .LBB106_46
	s_branch .LBB106_80
.LBB106_64:                             ;   in Loop: Header=BB106_47 Depth=1
	v_mov_b32_e32 v4, s20
	ds_load_b32 v4, v4
	s_waitcnt lgkmcnt(0)
	v_add_nc_u32_e32 v8, v4, v8
	s_or_b32 exec_lo, exec_lo, s16
	s_and_saveexec_b32 s16, s1
	s_cbranch_execz .LBB106_49
.LBB106_65:                             ;   in Loop: Header=BB106_47 Depth=1
	v_mov_b32_e32 v4, s21
	ds_load_b32 v4, v4
	s_waitcnt lgkmcnt(0)
	v_add_nc_u32_e32 v8, v8, v4
	s_or_b32 exec_lo, exec_lo, s16
	s_and_saveexec_b32 s16, s2
	s_cbranch_execz .LBB106_50
.LBB106_66:                             ;   in Loop: Header=BB106_47 Depth=1
	v_mov_b32_e32 v4, s23
	ds_load_b32 v4, v4
	s_waitcnt lgkmcnt(0)
	v_add_nc_u32_e32 v8, v8, v4
	s_or_b32 exec_lo, exec_lo, s16
	s_and_saveexec_b32 s16, s3
	s_cbranch_execz .LBB106_51
.LBB106_67:                             ;   in Loop: Header=BB106_47 Depth=1
	v_mov_b32_e32 v4, s28
	ds_load_b32 v4, v4
	s_waitcnt lgkmcnt(0)
	v_add_nc_u32_e32 v8, v8, v4
	s_or_b32 exec_lo, exec_lo, s16
	s_and_saveexec_b32 s16, s4
	s_cbranch_execz .LBB106_52
.LBB106_68:                             ;   in Loop: Header=BB106_47 Depth=1
	v_mov_b32_e32 v4, s29
	ds_load_b32 v4, v4
	s_waitcnt lgkmcnt(0)
	v_add_nc_u32_e32 v8, v8, v4
	s_or_b32 exec_lo, exec_lo, s16
	s_and_saveexec_b32 s16, s5
	s_cbranch_execz .LBB106_53
.LBB106_69:                             ;   in Loop: Header=BB106_47 Depth=1
	v_mov_b32_e32 v4, s30
	ds_load_b32 v4, v4
	s_waitcnt lgkmcnt(0)
	v_add_nc_u32_e32 v8, v8, v4
	s_or_b32 exec_lo, exec_lo, s16
	s_and_saveexec_b32 s16, s6
	s_cbranch_execz .LBB106_54
.LBB106_70:                             ;   in Loop: Header=BB106_47 Depth=1
	v_mov_b32_e32 v4, s31
	ds_load_b32 v4, v4
	s_waitcnt lgkmcnt(0)
	v_add_nc_u32_e32 v8, v8, v4
	s_or_b32 exec_lo, exec_lo, s16
	s_and_saveexec_b32 s16, s7
	s_cbranch_execz .LBB106_55
.LBB106_71:                             ;   in Loop: Header=BB106_47 Depth=1
	v_mov_b32_e32 v4, s33
	ds_load_b32 v4, v4
	s_waitcnt lgkmcnt(0)
	v_add_nc_u32_e32 v8, v8, v4
	s_or_b32 exec_lo, exec_lo, s16
	s_and_saveexec_b32 s16, s8
	s_cbranch_execz .LBB106_56
.LBB106_72:                             ;   in Loop: Header=BB106_47 Depth=1
	v_mov_b32_e32 v4, s38
	ds_load_b32 v4, v4
	s_waitcnt lgkmcnt(0)
	v_add_nc_u32_e32 v8, v8, v4
	s_or_b32 exec_lo, exec_lo, s16
	s_and_saveexec_b32 s16, s9
	s_cbranch_execz .LBB106_57
.LBB106_73:                             ;   in Loop: Header=BB106_47 Depth=1
	v_mov_b32_e32 v4, s39
	ds_load_b32 v4, v4
	s_waitcnt lgkmcnt(0)
	v_add_nc_u32_e32 v8, v8, v4
	s_or_b32 exec_lo, exec_lo, s16
	s_and_saveexec_b32 s16, s10
	s_cbranch_execz .LBB106_58
.LBB106_74:                             ;   in Loop: Header=BB106_47 Depth=1
	v_mov_b32_e32 v4, s40
	ds_load_b32 v4, v4
	s_waitcnt lgkmcnt(0)
	v_add_nc_u32_e32 v8, v8, v4
	s_or_b32 exec_lo, exec_lo, s16
	s_and_saveexec_b32 s16, s11
	s_cbranch_execz .LBB106_59
.LBB106_75:                             ;   in Loop: Header=BB106_47 Depth=1
	v_mov_b32_e32 v4, s42
	ds_load_b32 v4, v4
	s_waitcnt lgkmcnt(0)
	v_add_nc_u32_e32 v8, v8, v4
	s_or_b32 exec_lo, exec_lo, s16
	s_and_saveexec_b32 s16, s12
	s_cbranch_execz .LBB106_60
.LBB106_76:                             ;   in Loop: Header=BB106_47 Depth=1
	v_mov_b32_e32 v4, s43
	ds_load_b32 v4, v4
	s_waitcnt lgkmcnt(0)
	v_add_nc_u32_e32 v8, v8, v4
	s_or_b32 exec_lo, exec_lo, s16
	s_and_saveexec_b32 s16, s13
	s_cbranch_execz .LBB106_61
.LBB106_77:                             ;   in Loop: Header=BB106_47 Depth=1
	v_mov_b32_e32 v4, s44
	ds_load_b32 v4, v4
	s_waitcnt lgkmcnt(0)
	v_add_nc_u32_e32 v8, v8, v4
	s_or_b32 exec_lo, exec_lo, s16
	s_and_saveexec_b32 s16, s14
	s_cbranch_execz .LBB106_62
.LBB106_78:                             ;   in Loop: Header=BB106_47 Depth=1
	v_mov_b32_e32 v4, s45
	ds_load_b32 v4, v4
	s_waitcnt lgkmcnt(0)
	v_add_nc_u32_e32 v8, v8, v4
	s_or_b32 exec_lo, exec_lo, s16
	s_delay_alu instid0(VALU_DEP_1)
	v_ashrrev_i32_e32 v9, 31, v8
	s_and_saveexec_b32 s16, s15
	s_cbranch_execz .LBB106_63
.LBB106_79:                             ;   in Loop: Header=BB106_47 Depth=1
	v_add3_u32 v4, v2, -1, v8
	s_delay_alu instid0(VALU_DEP_1) | instskip(SKIP_1) | instid1(VALU_DEP_2)
	v_lshlrev_b32_e32 v16, 2, v4
	v_lshl_add_u32 v4, v4, 3, 0
	v_add3_u32 v16, 0, v16, 0x20000
	ds_store_b64 v4, v[6:7]
	ds_store_b32 v16, v15
	s_or_b32 exec_lo, exec_lo, s16
	s_and_saveexec_b32 s15, vcc_lo
	s_cbranch_execz .LBB106_46
.LBB106_80:                             ;   in Loop: Header=BB106_47 Depth=1
	v_mov_b32_e32 v4, s41
	ds_store_b64 v4, v[8:9]
	s_branch .LBB106_46
.LBB106_81:
	s_or_b32 exec_lo, exec_lo, s17
	s_lshl_b64 s[0:1], s[36:37], 3
	v_mov_b32_e32 v1, 0
	s_add_u32 s0, s18, s0
	s_addc_u32 s1, s19, s1
	s_mov_b32 s6, exec_lo
	s_load_b128 s[0:3], s[0:1], 0x0
	s_waitcnt lgkmcnt(0)
	s_sub_u32 s4, s2, s0
	s_subb_u32 s5, s3, s1
	s_delay_alu instid0(SALU_CYCLE_1)
	v_cmpx_gt_i64_e64 s[4:5], v[0:1]
	s_cbranch_execz .LBB106_91
; %bb.82:
	s_sub_u32 s8, s0, s22
	s_subb_u32 s9, s1, 0
	s_and_b32 s6, s4, 7
	s_sub_u32 s0, s0, s2
	s_subb_u32 s1, s1, s3
	s_mov_b32 s7, 0
	v_cmp_lt_u64_e64 s12, s[0:1], -7
	s_and_b32 s2, s4, -8
	s_cmp_lg_u64 s[6:7], 0
	s_mov_b32 s3, s5
	s_cselect_b32 s13, -1, 0
	s_mov_b32 s14, s7
	s_branch .LBB106_84
.LBB106_83:                             ;   in Loop: Header=BB106_84 Depth=1
	s_waitcnt lgkmcnt(1)
	v_add_co_u32 v2, vcc_lo, v2, s22
	v_lshlrev_b64 v[7:8], 3, v[4:5]
	v_add_co_ci_u32_e32 v3, vcc_lo, 0, v3, vcc_lo
	v_add_co_u32 v0, vcc_lo, 0x400, v0
	v_add_co_ci_u32_e32 v1, vcc_lo, 0, v1, vcc_lo
	v_lshlrev_b64 v[4:5], 2, v[4:5]
	v_add_co_u32 v7, vcc_lo, s24, v7
	v_add_co_ci_u32_e32 v8, vcc_lo, s25, v8, vcc_lo
	s_delay_alu instid0(VALU_DEP_4) | instskip(NEXT) | instid1(VALU_DEP_4)
	v_cmp_le_i64_e32 vcc_lo, s[4:5], v[0:1]
	v_add_co_u32 v4, s0, s26, v4
	s_delay_alu instid0(VALU_DEP_1) | instskip(SKIP_4) | instid1(SALU_CYCLE_1)
	v_add_co_ci_u32_e64 v5, s0, s27, v5, s0
	global_store_b64 v[7:8], v[2:3], off
	s_waitcnt lgkmcnt(0)
	global_store_b32 v[4:5], v6, off
	s_or_b32 s14, vcc_lo, s14
	s_and_not1_b32 exec_lo, exec_lo, s14
	s_cbranch_execz .LBB106_91
.LBB106_84:                             ; =>This Loop Header: Depth=1
                                        ;     Child Loop BB106_86 Depth 2
                                        ;     Child Loop BB106_90 Depth 2
	v_lshlrev_b32_e32 v2, 2, v0
	v_lshl_add_u32 v3, v0, 3, 0
	s_and_not1_b32 vcc_lo, exec_lo, s12
	s_mov_b64 s[0:1], 0
	s_delay_alu instid0(VALU_DEP_2)
	v_add3_u32 v4, 0, v2, 0x20000
	ds_load_b64 v[2:3], v3
	ds_load_b32 v6, v4
	v_dual_mov_b32 v4, s8 :: v_dual_mov_b32 v5, s9
	s_cbranch_vccnz .LBB106_88
; %bb.85:                               ;   in Loop: Header=BB106_84 Depth=1
	v_dual_mov_b32 v4, s8 :: v_dual_mov_b32 v5, s9
	s_mov_b64 s[10:11], 0
	s_mov_b32 s1, 0
.LBB106_86:                             ;   Parent Loop BB106_84 Depth=1
                                        ; =>  This Inner Loop Header: Depth=2
	s_delay_alu instid0(SALU_CYCLE_1)
	v_mov_b32_e32 v19, s1
	s_add_u32 s10, s10, 8
	s_addc_u32 s11, s11, 0
	s_add_i32 s1, s1, 64
	s_cmp_eq_u64 s[2:3], s[10:11]
	ds_load_2addr_b64 v[7:10], v19 offset1:1
	ds_load_2addr_b64 v[11:14], v19 offset0:2 offset1:3
	ds_load_2addr_b64 v[15:18], v19 offset0:4 offset1:5
	;; [unrolled: 1-line block ×3, first 2 shown]
	s_waitcnt lgkmcnt(3)
	v_cmp_gt_i64_e32 vcc_lo, v[2:3], v[7:8]
	v_cndmask_b32_e64 v7, 0, 1, vcc_lo
	v_cmp_gt_i64_e32 vcc_lo, v[2:3], v[9:10]
	v_cndmask_b32_e64 v8, 0, 1, vcc_lo
	s_waitcnt lgkmcnt(2)
	v_cmp_gt_i64_e32 vcc_lo, v[2:3], v[11:12]
	v_cndmask_b32_e64 v9, 0, 1, vcc_lo
	v_cmp_gt_i64_e32 vcc_lo, v[2:3], v[13:14]
	v_cndmask_b32_e64 v10, 0, 1, vcc_lo
	s_waitcnt lgkmcnt(1)
	v_cmp_gt_i64_e32 vcc_lo, v[2:3], v[15:16]
	v_cndmask_b32_e64 v11, 0, 1, vcc_lo
	v_add_co_u32 v4, vcc_lo, v4, v7
	v_add_co_ci_u32_e32 v5, vcc_lo, 0, v5, vcc_lo
	v_cmp_gt_i64_e32 vcc_lo, v[2:3], v[17:18]
	s_delay_alu instid0(VALU_DEP_3) | instskip(NEXT) | instid1(VALU_DEP_1)
	v_add_co_u32 v4, s0, v4, v8
	v_add_co_ci_u32_e64 v5, s0, 0, v5, s0
	v_cndmask_b32_e64 v7, 0, 1, vcc_lo
	s_delay_alu instid0(VALU_DEP_3) | instskip(NEXT) | instid1(VALU_DEP_3)
	v_add_co_u32 v4, vcc_lo, v4, v9
	v_add_co_ci_u32_e32 v5, vcc_lo, 0, v5, vcc_lo
	s_waitcnt lgkmcnt(0)
	v_cmp_gt_i64_e32 vcc_lo, v[2:3], v[19:20]
	s_delay_alu instid0(VALU_DEP_3) | instskip(NEXT) | instid1(VALU_DEP_1)
	v_add_co_u32 v4, s0, v4, v10
	v_add_co_ci_u32_e64 v5, s0, 0, v5, s0
	v_cndmask_b32_e64 v8, 0, 1, vcc_lo
	s_delay_alu instid0(VALU_DEP_3) | instskip(NEXT) | instid1(VALU_DEP_3)
	v_add_co_u32 v4, vcc_lo, v4, v11
	v_add_co_ci_u32_e32 v5, vcc_lo, 0, v5, vcc_lo
	v_cmp_gt_i64_e32 vcc_lo, v[2:3], v[21:22]
	s_delay_alu instid0(VALU_DEP_3) | instskip(NEXT) | instid1(VALU_DEP_1)
	v_add_co_u32 v4, s0, v4, v7
	v_add_co_ci_u32_e64 v5, s0, 0, v5, s0
	v_cndmask_b32_e64 v7, 0, 1, vcc_lo
	s_delay_alu instid0(VALU_DEP_3) | instskip(NEXT) | instid1(VALU_DEP_3)
	v_add_co_u32 v4, vcc_lo, v4, v8
	v_add_co_ci_u32_e32 v5, vcc_lo, 0, v5, vcc_lo
	s_delay_alu instid0(VALU_DEP_2) | instskip(NEXT) | instid1(VALU_DEP_2)
	v_add_co_u32 v4, vcc_lo, v4, v7
	v_add_co_ci_u32_e32 v5, vcc_lo, 0, v5, vcc_lo
	s_cbranch_scc0 .LBB106_86
; %bb.87:                               ;   in Loop: Header=BB106_84 Depth=1
	s_mov_b64 s[0:1], s[2:3]
.LBB106_88:                             ;   in Loop: Header=BB106_84 Depth=1
	s_and_not1_b32 vcc_lo, exec_lo, s13
	s_cbranch_vccnz .LBB106_83
; %bb.89:                               ;   in Loop: Header=BB106_84 Depth=1
	s_lshl_b32 s0, s0, 3
	s_delay_alu instid0(SALU_CYCLE_1)
	s_add_i32 s10, s0, 0
	s_mov_b64 s[0:1], s[6:7]
.LBB106_90:                             ;   Parent Loop BB106_84 Depth=1
                                        ; =>  This Inner Loop Header: Depth=2
	v_mov_b32_e32 v7, s10
	s_add_i32 s10, s10, 8
	s_add_u32 s0, s0, -1
	s_addc_u32 s1, s1, -1
	s_delay_alu instid0(SALU_CYCLE_1) | instskip(SKIP_4) | instid1(VALU_DEP_1)
	s_cmp_lg_u64 s[0:1], 0
	ds_load_b64 v[7:8], v7
	s_waitcnt lgkmcnt(0)
	v_cmp_gt_i64_e32 vcc_lo, v[2:3], v[7:8]
	v_cndmask_b32_e64 v7, 0, 1, vcc_lo
	v_add_co_u32 v4, vcc_lo, v4, v7
	v_add_co_ci_u32_e32 v5, vcc_lo, 0, v5, vcc_lo
	s_cbranch_scc1 .LBB106_90
	s_branch .LBB106_83
.LBB106_91:
	s_nop 0
	s_sendmsg sendmsg(MSG_DEALLOC_VGPRS)
	s_endpgm
	.section	.rodata,"a",@progbits
	.p2align	6, 0x0
	.amdhsa_kernel _ZN9rocsparseL26csrgemm_fill_block_per_rowILj1024ELj64ELj16384ELj137ELj64EllfEEvT5_PKS1_S3_NS_24const_host_device_scalarIT6_EEPKT4_S3_PKS5_S9_S3_SB_S6_S9_S3_SB_S9_PS1_PS5_21rocsparse_index_base_SE_SE_SE_bbb
		.amdhsa_group_segment_fixed_size 0
		.amdhsa_private_segment_fixed_size 0
		.amdhsa_kernarg_size 156
		.amdhsa_user_sgpr_count 15
		.amdhsa_user_sgpr_dispatch_ptr 0
		.amdhsa_user_sgpr_queue_ptr 0
		.amdhsa_user_sgpr_kernarg_segment_ptr 1
		.amdhsa_user_sgpr_dispatch_id 0
		.amdhsa_user_sgpr_private_segment_size 0
		.amdhsa_wavefront_size32 1
		.amdhsa_uses_dynamic_stack 0
		.amdhsa_enable_private_segment 0
		.amdhsa_system_sgpr_workgroup_id_x 1
		.amdhsa_system_sgpr_workgroup_id_y 0
		.amdhsa_system_sgpr_workgroup_id_z 0
		.amdhsa_system_sgpr_workgroup_info 0
		.amdhsa_system_vgpr_workitem_id 0
		.amdhsa_next_free_vgpr 23
		.amdhsa_next_free_sgpr 46
		.amdhsa_reserve_vcc 1
		.amdhsa_float_round_mode_32 0
		.amdhsa_float_round_mode_16_64 0
		.amdhsa_float_denorm_mode_32 3
		.amdhsa_float_denorm_mode_16_64 3
		.amdhsa_dx10_clamp 1
		.amdhsa_ieee_mode 1
		.amdhsa_fp16_overflow 0
		.amdhsa_workgroup_processor_mode 1
		.amdhsa_memory_ordered 1
		.amdhsa_forward_progress 0
		.amdhsa_shared_vgpr_count 0
		.amdhsa_exception_fp_ieee_invalid_op 0
		.amdhsa_exception_fp_denorm_src 0
		.amdhsa_exception_fp_ieee_div_zero 0
		.amdhsa_exception_fp_ieee_overflow 0
		.amdhsa_exception_fp_ieee_underflow 0
		.amdhsa_exception_fp_ieee_inexact 0
		.amdhsa_exception_int_div_zero 0
	.end_amdhsa_kernel
	.section	.text._ZN9rocsparseL26csrgemm_fill_block_per_rowILj1024ELj64ELj16384ELj137ELj64EllfEEvT5_PKS1_S3_NS_24const_host_device_scalarIT6_EEPKT4_S3_PKS5_S9_S3_SB_S6_S9_S3_SB_S9_PS1_PS5_21rocsparse_index_base_SE_SE_SE_bbb,"axG",@progbits,_ZN9rocsparseL26csrgemm_fill_block_per_rowILj1024ELj64ELj16384ELj137ELj64EllfEEvT5_PKS1_S3_NS_24const_host_device_scalarIT6_EEPKT4_S3_PKS5_S9_S3_SB_S6_S9_S3_SB_S9_PS1_PS5_21rocsparse_index_base_SE_SE_SE_bbb,comdat
.Lfunc_end106:
	.size	_ZN9rocsparseL26csrgemm_fill_block_per_rowILj1024ELj64ELj16384ELj137ELj64EllfEEvT5_PKS1_S3_NS_24const_host_device_scalarIT6_EEPKT4_S3_PKS5_S9_S3_SB_S6_S9_S3_SB_S9_PS1_PS5_21rocsparse_index_base_SE_SE_SE_bbb, .Lfunc_end106-_ZN9rocsparseL26csrgemm_fill_block_per_rowILj1024ELj64ELj16384ELj137ELj64EllfEEvT5_PKS1_S3_NS_24const_host_device_scalarIT6_EEPKT4_S3_PKS5_S9_S3_SB_S6_S9_S3_SB_S9_PS1_PS5_21rocsparse_index_base_SE_SE_SE_bbb
                                        ; -- End function
	.section	.AMDGPU.csdata,"",@progbits
; Kernel info:
; codeLenInByte = 3848
; NumSgprs: 48
; NumVgprs: 23
; ScratchSize: 0
; MemoryBound: 0
; FloatMode: 240
; IeeeMode: 1
; LDSByteSize: 0 bytes/workgroup (compile time only)
; SGPRBlocks: 5
; VGPRBlocks: 2
; NumSGPRsForWavesPerEU: 48
; NumVGPRsForWavesPerEU: 23
; Occupancy: 16
; WaveLimiterHint : 1
; COMPUTE_PGM_RSRC2:SCRATCH_EN: 0
; COMPUTE_PGM_RSRC2:USER_SGPR: 15
; COMPUTE_PGM_RSRC2:TRAP_HANDLER: 0
; COMPUTE_PGM_RSRC2:TGID_X_EN: 1
; COMPUTE_PGM_RSRC2:TGID_Y_EN: 0
; COMPUTE_PGM_RSRC2:TGID_Z_EN: 0
; COMPUTE_PGM_RSRC2:TIDIG_COMP_CNT: 0
	.section	.text._ZN9rocsparseL26csrgemm_fill_block_per_rowILj1024ELj64ELj32768ELj137ELj32EllfEEvT5_PKS1_S3_NS_24const_host_device_scalarIT6_EEPKT4_S3_PKS5_S9_S3_SB_S6_S9_S3_SB_S9_PS1_PS5_21rocsparse_index_base_SE_SE_SE_bbb,"axG",@progbits,_ZN9rocsparseL26csrgemm_fill_block_per_rowILj1024ELj64ELj32768ELj137ELj32EllfEEvT5_PKS1_S3_NS_24const_host_device_scalarIT6_EEPKT4_S3_PKS5_S9_S3_SB_S6_S9_S3_SB_S9_PS1_PS5_21rocsparse_index_base_SE_SE_SE_bbb,comdat
	.globl	_ZN9rocsparseL26csrgemm_fill_block_per_rowILj1024ELj64ELj32768ELj137ELj32EllfEEvT5_PKS1_S3_NS_24const_host_device_scalarIT6_EEPKT4_S3_PKS5_S9_S3_SB_S6_S9_S3_SB_S9_PS1_PS5_21rocsparse_index_base_SE_SE_SE_bbb ; -- Begin function _ZN9rocsparseL26csrgemm_fill_block_per_rowILj1024ELj64ELj32768ELj137ELj32EllfEEvT5_PKS1_S3_NS_24const_host_device_scalarIT6_EEPKT4_S3_PKS5_S9_S3_SB_S6_S9_S3_SB_S9_PS1_PS5_21rocsparse_index_base_SE_SE_SE_bbb
	.p2align	8
	.type	_ZN9rocsparseL26csrgemm_fill_block_per_rowILj1024ELj64ELj32768ELj137ELj32EllfEEvT5_PKS1_S3_NS_24const_host_device_scalarIT6_EEPKT4_S3_PKS5_S9_S3_SB_S6_S9_S3_SB_S9_PS1_PS5_21rocsparse_index_base_SE_SE_SE_bbb,@function
_ZN9rocsparseL26csrgemm_fill_block_per_rowILj1024ELj64ELj32768ELj137ELj32EllfEEvT5_PKS1_S3_NS_24const_host_device_scalarIT6_EEPKT4_S3_PKS5_S9_S3_SB_S6_S9_S3_SB_S9_PS1_PS5_21rocsparse_index_base_SE_SE_SE_bbb: ; @_ZN9rocsparseL26csrgemm_fill_block_per_rowILj1024ELj64ELj32768ELj137ELj32EllfEEvT5_PKS1_S3_NS_24const_host_device_scalarIT6_EEPKT4_S3_PKS5_S9_S3_SB_S6_S9_S3_SB_S9_PS1_PS5_21rocsparse_index_base_SE_SE_SE_bbb
; %bb.0:
	s_clause 0x3
	s_load_b32 s3, s[0:1], 0x98
	s_load_b128 s[44:47], s[0:1], 0x88
	s_load_b64 s[4:5], s[0:1], 0x18
	s_load_b64 s[20:21], s[0:1], 0x50
	s_mov_b32 s2, s15
	s_waitcnt lgkmcnt(0)
	s_bitcmp1_b32 s3, 0
	s_cselect_b32 s23, -1, 0
	s_bitcmp1_b32 s3, 16
	s_cselect_b32 s24, -1, 0
	s_xor_b32 s6, s23, -1
	s_delay_alu instid0(SALU_CYCLE_1) | instskip(NEXT) | instid1(SALU_CYCLE_1)
	s_or_b32 s6, s6, s24
	s_and_b32 vcc_lo, exec_lo, s6
	s_cbranch_vccnz .LBB107_2
; %bb.1:
	s_load_b32 s4, s[4:5], 0x0
	s_waitcnt lgkmcnt(0)
	v_mov_b32_e32 v15, s4
	s_branch .LBB107_3
.LBB107_2:
	v_cndmask_b32_e64 v15, 0, s4, s23
.LBB107_3:
	s_clause 0x4
	s_load_b128 s[48:51], s[0:1], 0x78
	s_load_b256 s[36:43], s[0:1], 0x58
	s_load_b128 s[12:15], s[0:1], 0x40
	s_load_b128 s[16:19], s[0:1], 0x8
	s_load_b256 s[4:11], s[0:1], 0x20
	s_bitcmp1_b32 s3, 8
	s_cselect_b32 s22, -1, 0
	s_delay_alu instid0(SALU_CYCLE_1) | instskip(NEXT) | instid1(SALU_CYCLE_1)
	s_xor_b32 s3, s22, -1
	s_or_b32 s3, s3, s24
	s_delay_alu instid0(SALU_CYCLE_1)
	s_and_b32 vcc_lo, exec_lo, s3
	s_cbranch_vccnz .LBB107_5
; %bb.4:
	s_load_b32 s3, s[20:21], 0x0
	s_waitcnt lgkmcnt(0)
	v_mov_b32_e32 v14, s3
	s_branch .LBB107_6
.LBB107_5:
	v_cndmask_b32_e64 v14, 0, s20, s22
.LBB107_6:
	s_load_b64 s[34:35], s[0:1], 0x0
	v_lshl_add_u32 v11, v0, 3, 0
	v_lshlrev_b32_e32 v1, 2, v0
	v_or_b32_e32 v13, 0xfffffc00, v0
	v_mov_b32_e32 v3, 0
	s_mov_b32 s0, 0
	v_mov_b32_e32 v4, v11
	v_add3_u32 v12, v1, 0, 0x40000
	s_delay_alu instid0(VALU_DEP_1)
	v_dual_mov_b32 v6, v13 :: v_dual_mov_b32 v5, v12
	s_waitcnt lgkmcnt(0)
	v_dual_mov_b32 v1, s34 :: v_dual_mov_b32 v2, s35
.LBB107_7:                              ; =>This Inner Loop Header: Depth=1
	s_delay_alu instid0(VALU_DEP_2)
	v_add_nc_u32_e32 v6, 0x400, v6
	ds_store_b64 v4, v[1:2]
	ds_store_b32 v5, v3
	v_add_nc_u32_e32 v5, 0x1000, v5
	v_add_nc_u32_e32 v4, 0x2000, v4
	v_cmp_lt_u32_e32 vcc_lo, 0x7bff, v6
	s_or_b32 s0, vcc_lo, s0
	s_delay_alu instid0(SALU_CYCLE_1)
	s_and_not1_b32 exec_lo, exec_lo, s0
	s_cbranch_execnz .LBB107_7
; %bb.8:
	s_or_b32 exec_lo, exec_lo, s0
	s_waitcnt lgkmcnt(0)
	s_barrier
	buffer_gl0_inv
	s_load_b64 s[0:1], s[16:17], 0x0
	s_mov_b32 s3, 0
	s_waitcnt lgkmcnt(0)
	s_lshl_b64 s[0:1], s[0:1], 3
	s_delay_alu instid0(SALU_CYCLE_1) | instskip(SKIP_2) | instid1(SALU_CYCLE_1)
	s_add_u32 s16, s18, s0
	s_addc_u32 s17, s19, s1
	s_lshl_b64 s[0:1], s[2:3], 3
	s_add_u32 s0, s16, s0
	s_addc_u32 s1, s17, s1
	s_and_b32 vcc_lo, exec_lo, s23
	s_load_b64 s[52:53], s[0:1], 0x0
	s_cbranch_vccz .LBB107_28
; %bb.9:
	s_waitcnt lgkmcnt(0)
	s_lshl_b64 s[0:1], s[52:53], 3
	v_lshrrev_b32_e32 v1, 6, v0
	s_add_u32 s0, s4, s0
	s_addc_u32 s1, s5, s1
	s_load_b128 s[0:3], s[0:1], 0x0
	s_delay_alu instid0(VALU_DEP_1) | instskip(NEXT) | instid1(VALU_DEP_1)
	v_sub_co_u32 v1, s4, v1, s44
	v_sub_co_ci_u32_e64 v2, null, 0, 0, s4
	s_waitcnt lgkmcnt(0)
	s_delay_alu instid0(VALU_DEP_2) | instskip(NEXT) | instid1(VALU_DEP_2)
	v_add_co_u32 v1, vcc_lo, s0, v1
	v_add_co_ci_u32_e32 v2, vcc_lo, s1, v2, vcc_lo
	s_sub_u32 s0, s2, s44
	s_subb_u32 s1, s3, 0
	s_mov_b32 s2, exec_lo
	s_delay_alu instid0(VALU_DEP_1)
	v_cmpx_gt_i64_e64 s[0:1], v[1:2]
	s_cbranch_execz .LBB107_27
; %bb.10:
	v_and_b32_e32 v3, 63, v0
	s_mov_b32 s4, s45
	s_delay_alu instid0(VALU_DEP_1) | instskip(NEXT) | instid1(VALU_DEP_1)
	v_sub_co_u32 v16, s3, v3, s45
	v_sub_co_ci_u32_e64 v17, null, 0, 0, s3
	s_mov_b32 s3, 0
	s_branch .LBB107_12
.LBB107_11:                             ;   in Loop: Header=BB107_12 Depth=1
	s_or_b32 exec_lo, exec_lo, s5
	v_add_co_u32 v1, vcc_lo, v1, 16
	v_add_co_ci_u32_e32 v2, vcc_lo, 0, v2, vcc_lo
	s_delay_alu instid0(VALU_DEP_1) | instskip(SKIP_1) | instid1(SALU_CYCLE_1)
	v_cmp_le_i64_e32 vcc_lo, s[0:1], v[1:2]
	s_or_b32 s3, vcc_lo, s3
	s_and_not1_b32 exec_lo, exec_lo, s3
	s_cbranch_execz .LBB107_27
.LBB107_12:                             ; =>This Loop Header: Depth=1
                                        ;     Child Loop BB107_15 Depth 2
                                        ;       Child Loop BB107_17 Depth 3
	v_lshlrev_b64 v[3:4], 3, v[1:2]
	s_mov_b32 s5, exec_lo
	s_delay_alu instid0(VALU_DEP_1) | instskip(NEXT) | instid1(VALU_DEP_2)
	v_add_co_u32 v3, vcc_lo, s6, v3
	v_add_co_ci_u32_e32 v4, vcc_lo, s7, v4, vcc_lo
	global_load_b64 v[3:4], v[3:4], off
	s_waitcnt vmcnt(0)
	v_sub_co_u32 v3, vcc_lo, v3, s44
	v_subrev_co_ci_u32_e32 v4, vcc_lo, 0, v4, vcc_lo
	s_delay_alu instid0(VALU_DEP_1) | instskip(NEXT) | instid1(VALU_DEP_1)
	v_lshlrev_b64 v[3:4], 3, v[3:4]
	v_add_co_u32 v3, vcc_lo, s10, v3
	s_delay_alu instid0(VALU_DEP_2)
	v_add_co_ci_u32_e32 v4, vcc_lo, s11, v4, vcc_lo
	global_load_b128 v[5:8], v[3:4], off
	s_waitcnt vmcnt(0)
	v_sub_co_u32 v3, vcc_lo, v7, s4
	v_subrev_co_ci_u32_e32 v4, vcc_lo, 0, v8, vcc_lo
	v_add_co_u32 v5, vcc_lo, v5, v16
	v_add_co_ci_u32_e32 v6, vcc_lo, v6, v17, vcc_lo
	s_delay_alu instid0(VALU_DEP_1)
	v_cmpx_lt_i64_e64 v[5:6], v[3:4]
	s_cbranch_execz .LBB107_11
; %bb.13:                               ;   in Loop: Header=BB107_12 Depth=1
	v_lshlrev_b64 v[7:8], 2, v[1:2]
	s_mov_b32 s16, 0
	s_delay_alu instid0(VALU_DEP_1) | instskip(NEXT) | instid1(VALU_DEP_2)
	v_add_co_u32 v7, vcc_lo, s8, v7
	v_add_co_ci_u32_e32 v8, vcc_lo, s9, v8, vcc_lo
	global_load_b32 v7, v[7:8], off
	s_waitcnt vmcnt(0)
	v_mul_f32_e32 v18, v15, v7
	s_branch .LBB107_15
.LBB107_14:                             ;   in Loop: Header=BB107_15 Depth=2
	s_or_b32 exec_lo, exec_lo, s17
	v_add_co_u32 v5, vcc_lo, v5, 64
	v_add_co_ci_u32_e32 v6, vcc_lo, 0, v6, vcc_lo
	s_delay_alu instid0(VALU_DEP_1) | instskip(SKIP_1) | instid1(SALU_CYCLE_1)
	v_cmp_ge_i64_e32 vcc_lo, v[5:6], v[3:4]
	s_or_b32 s16, vcc_lo, s16
	s_and_not1_b32 exec_lo, exec_lo, s16
	s_cbranch_execz .LBB107_11
.LBB107_15:                             ;   Parent Loop BB107_12 Depth=1
                                        ; =>  This Loop Header: Depth=2
                                        ;       Child Loop BB107_17 Depth 3
	v_lshlrev_b64 v[7:8], 3, v[5:6]
	v_lshlrev_b64 v[9:10], 2, v[5:6]
	s_mov_b32 s17, 0
	s_delay_alu instid0(VALU_DEP_2) | instskip(NEXT) | instid1(VALU_DEP_3)
	v_add_co_u32 v7, vcc_lo, s12, v7
	v_add_co_ci_u32_e32 v8, vcc_lo, s13, v8, vcc_lo
	s_delay_alu instid0(VALU_DEP_3) | instskip(NEXT) | instid1(VALU_DEP_4)
	v_add_co_u32 v9, vcc_lo, s14, v9
	v_add_co_ci_u32_e32 v10, vcc_lo, s15, v10, vcc_lo
	global_load_b64 v[7:8], v[7:8], off
	global_load_b32 v9, v[9:10], off
	s_waitcnt vmcnt(1)
	v_sub_co_u32 v7, vcc_lo, v7, s4
	v_subrev_co_ci_u32_e32 v8, vcc_lo, 0, v8, vcc_lo
	s_delay_alu instid0(VALU_DEP_2) | instskip(SKIP_1) | instid1(VALU_DEP_1)
	v_mul_lo_u32 v10, 0x89, v7
	s_waitcnt vmcnt(0)
	v_dual_mul_f32 v19, v18, v9 :: v_dual_and_b32 v20, 0x7fff, v10
	s_branch .LBB107_17
.LBB107_16:                             ;   in Loop: Header=BB107_17 Depth=3
	s_or_b32 exec_lo, exec_lo, s18
	s_xor_b32 s18, s19, -1
	s_delay_alu instid0(SALU_CYCLE_1) | instskip(NEXT) | instid1(SALU_CYCLE_1)
	s_and_b32 s18, exec_lo, s18
	s_or_b32 s17, s18, s17
	s_delay_alu instid0(SALU_CYCLE_1)
	s_and_not1_b32 exec_lo, exec_lo, s17
	s_cbranch_execz .LBB107_14
.LBB107_17:                             ;   Parent Loop BB107_12 Depth=1
                                        ;     Parent Loop BB107_15 Depth=2
                                        ; =>    This Inner Loop Header: Depth=3
	s_delay_alu instid0(VALU_DEP_1)
	v_lshl_add_u32 v21, v20, 3, 0
	s_mov_b32 s18, exec_lo
                                        ; implicit-def: $sgpr19
	ds_load_b64 v[9:10], v21
	s_waitcnt lgkmcnt(0)
	v_cmpx_ne_u64_e64 v[9:10], v[7:8]
	s_xor_b32 s18, exec_lo, s18
	s_cbranch_execz .LBB107_25
; %bb.18:                               ;   in Loop: Header=BB107_17 Depth=3
	s_mov_b32 s20, exec_lo
                                        ; implicit-def: $sgpr19
	v_cmpx_ne_u64_e64 s[34:35], v[9:10]
	s_xor_b32 s20, exec_lo, s20
; %bb.19:                               ;   in Loop: Header=BB107_17 Depth=3
	v_add_nc_u32_e32 v9, 1, v20
	s_mov_b32 s19, -1
                                        ; implicit-def: $vgpr21
	s_delay_alu instid0(VALU_DEP_1)
	v_and_b32_e32 v20, 0x7fff, v9
; %bb.20:                               ;   in Loop: Header=BB107_17 Depth=3
	s_and_not1_saveexec_b32 s20, s20
	s_cbranch_execz .LBB107_24
; %bb.21:                               ;   in Loop: Header=BB107_17 Depth=3
	v_dual_mov_b32 v9, s34 :: v_dual_mov_b32 v10, s35
	s_mov_b32 s21, -1
	s_mov_b32 s23, exec_lo
	ds_cmpstore_rtn_b64 v[9:10], v21, v[7:8], v[9:10]
	s_waitcnt lgkmcnt(0)
	v_cmpx_eq_u64_e64 s[34:35], v[9:10]
	s_cbranch_execz .LBB107_23
; %bb.22:                               ;   in Loop: Header=BB107_17 Depth=3
	v_lshlrev_b32_e32 v9, 2, v20
	s_xor_b32 s21, exec_lo, -1
	s_delay_alu instid0(VALU_DEP_1)
	v_add3_u32 v9, 0, v9, 0x40000
	ds_add_f32 v9, v19
.LBB107_23:                             ;   in Loop: Header=BB107_17 Depth=3
	s_or_b32 exec_lo, exec_lo, s23
	s_delay_alu instid0(SALU_CYCLE_1) | instskip(SKIP_1) | instid1(SALU_CYCLE_1)
	s_and_not1_b32 s19, s19, exec_lo
	s_and_b32 s21, s21, exec_lo
	s_or_b32 s19, s19, s21
.LBB107_24:                             ;   in Loop: Header=BB107_17 Depth=3
	s_or_b32 exec_lo, exec_lo, s20
	s_delay_alu instid0(SALU_CYCLE_1)
	s_and_b32 s19, s19, exec_lo
.LBB107_25:                             ;   in Loop: Header=BB107_17 Depth=3
	s_and_not1_saveexec_b32 s18, s18
	s_cbranch_execz .LBB107_16
; %bb.26:                               ;   in Loop: Header=BB107_17 Depth=3
	v_lshlrev_b32_e32 v9, 2, v20
	s_and_not1_b32 s19, s19, exec_lo
	s_delay_alu instid0(VALU_DEP_1)
	v_add3_u32 v9, 0, v9, 0x40000
	ds_add_f32 v9, v19
	s_branch .LBB107_16
.LBB107_27:
	s_or_b32 exec_lo, exec_lo, s2
.LBB107_28:
	s_delay_alu instid0(SALU_CYCLE_1)
	s_and_not1_b32 vcc_lo, exec_lo, s22
	s_cbranch_vccnz .LBB107_45
; %bb.29:
	s_waitcnt lgkmcnt(0)
	s_lshl_b64 s[0:1], s[52:53], 3
	v_sub_co_u32 v1, s4, v0, s47
	s_add_u32 s0, s36, s0
	s_addc_u32 s1, s37, s1
	v_sub_co_ci_u32_e64 v2, null, 0, 0, s4
	s_load_b128 s[0:3], s[0:1], 0x0
	s_waitcnt lgkmcnt(0)
	v_add_co_u32 v1, vcc_lo, s0, v1
	s_delay_alu instid0(VALU_DEP_2)
	v_add_co_ci_u32_e32 v2, vcc_lo, s1, v2, vcc_lo
	s_sub_u32 s0, s2, s47
	s_subb_u32 s1, s3, 0
	s_mov_b32 s2, 0
	s_mov_b32 s3, exec_lo
	v_cmpx_gt_i64_e64 s[0:1], v[1:2]
	s_cbranch_execz .LBB107_44
; %bb.30:
	s_mov_b32 s4, s47
	s_branch .LBB107_32
.LBB107_31:                             ;   in Loop: Header=BB107_32 Depth=1
	s_or_b32 exec_lo, exec_lo, s5
	v_add_co_u32 v1, vcc_lo, 0x400, v1
	v_add_co_ci_u32_e32 v2, vcc_lo, 0, v2, vcc_lo
	s_delay_alu instid0(VALU_DEP_1) | instskip(SKIP_1) | instid1(SALU_CYCLE_1)
	v_cmp_le_i64_e32 vcc_lo, s[0:1], v[1:2]
	s_or_b32 s2, vcc_lo, s2
	s_and_not1_b32 exec_lo, exec_lo, s2
	s_cbranch_execz .LBB107_44
.LBB107_32:                             ; =>This Loop Header: Depth=1
                                        ;     Child Loop BB107_34 Depth 2
	v_lshlrev_b64 v[3:4], 3, v[1:2]
	v_lshlrev_b64 v[5:6], 2, v[1:2]
	s_mov_b32 s5, 0
	s_delay_alu instid0(VALU_DEP_2) | instskip(NEXT) | instid1(VALU_DEP_3)
	v_add_co_u32 v3, vcc_lo, s38, v3
	v_add_co_ci_u32_e32 v4, vcc_lo, s39, v4, vcc_lo
	s_delay_alu instid0(VALU_DEP_3) | instskip(NEXT) | instid1(VALU_DEP_4)
	v_add_co_u32 v5, vcc_lo, s40, v5
	v_add_co_ci_u32_e32 v6, vcc_lo, s41, v6, vcc_lo
	global_load_b64 v[3:4], v[3:4], off
	global_load_b32 v5, v[5:6], off
	s_waitcnt vmcnt(1)
	v_sub_co_u32 v3, vcc_lo, v3, s4
	v_subrev_co_ci_u32_e32 v4, vcc_lo, 0, v4, vcc_lo
	s_delay_alu instid0(VALU_DEP_2) | instskip(SKIP_1) | instid1(VALU_DEP_1)
	v_mul_lo_u32 v6, 0x89, v3
	s_waitcnt vmcnt(0)
	v_dual_mul_f32 v7, v14, v5 :: v_dual_and_b32 v8, 0x7fff, v6
	s_branch .LBB107_34
.LBB107_33:                             ;   in Loop: Header=BB107_34 Depth=2
	s_or_b32 exec_lo, exec_lo, s6
	s_xor_b32 s6, s7, -1
	s_delay_alu instid0(SALU_CYCLE_1) | instskip(NEXT) | instid1(SALU_CYCLE_1)
	s_and_b32 s6, exec_lo, s6
	s_or_b32 s5, s6, s5
	s_delay_alu instid0(SALU_CYCLE_1)
	s_and_not1_b32 exec_lo, exec_lo, s5
	s_cbranch_execz .LBB107_31
.LBB107_34:                             ;   Parent Loop BB107_32 Depth=1
                                        ; =>  This Inner Loop Header: Depth=2
	s_delay_alu instid0(VALU_DEP_1)
	v_lshl_add_u32 v9, v8, 3, 0
	s_mov_b32 s6, exec_lo
                                        ; implicit-def: $sgpr7
	ds_load_b64 v[5:6], v9
	s_waitcnt lgkmcnt(0)
	v_cmpx_ne_u64_e64 v[5:6], v[3:4]
	s_xor_b32 s6, exec_lo, s6
	s_cbranch_execz .LBB107_42
; %bb.35:                               ;   in Loop: Header=BB107_34 Depth=2
	s_mov_b32 s8, exec_lo
                                        ; implicit-def: $sgpr7
	v_cmpx_ne_u64_e64 s[34:35], v[5:6]
	s_xor_b32 s8, exec_lo, s8
; %bb.36:                               ;   in Loop: Header=BB107_34 Depth=2
	v_add_nc_u32_e32 v5, 1, v8
	s_mov_b32 s7, -1
                                        ; implicit-def: $vgpr9
	s_delay_alu instid0(VALU_DEP_1)
	v_and_b32_e32 v8, 0x7fff, v5
; %bb.37:                               ;   in Loop: Header=BB107_34 Depth=2
	s_and_not1_saveexec_b32 s8, s8
	s_cbranch_execz .LBB107_41
; %bb.38:                               ;   in Loop: Header=BB107_34 Depth=2
	v_dual_mov_b32 v5, s34 :: v_dual_mov_b32 v6, s35
	s_mov_b32 s9, -1
	s_mov_b32 s10, exec_lo
	ds_cmpstore_rtn_b64 v[5:6], v9, v[3:4], v[5:6]
	s_waitcnt lgkmcnt(0)
	v_cmpx_eq_u64_e64 s[34:35], v[5:6]
	s_cbranch_execz .LBB107_40
; %bb.39:                               ;   in Loop: Header=BB107_34 Depth=2
	v_lshlrev_b32_e32 v5, 2, v8
	s_xor_b32 s9, exec_lo, -1
	s_delay_alu instid0(VALU_DEP_1)
	v_add3_u32 v5, 0, v5, 0x40000
	ds_add_f32 v5, v7
.LBB107_40:                             ;   in Loop: Header=BB107_34 Depth=2
	s_or_b32 exec_lo, exec_lo, s10
	s_delay_alu instid0(SALU_CYCLE_1) | instskip(SKIP_1) | instid1(SALU_CYCLE_1)
	s_and_not1_b32 s7, s7, exec_lo
	s_and_b32 s9, s9, exec_lo
	s_or_b32 s7, s7, s9
.LBB107_41:                             ;   in Loop: Header=BB107_34 Depth=2
	s_or_b32 exec_lo, exec_lo, s8
	s_delay_alu instid0(SALU_CYCLE_1)
	s_and_b32 s7, s7, exec_lo
.LBB107_42:                             ;   in Loop: Header=BB107_34 Depth=2
	s_and_not1_saveexec_b32 s6, s6
	s_cbranch_execz .LBB107_33
; %bb.43:                               ;   in Loop: Header=BB107_34 Depth=2
	v_lshlrev_b32_e32 v5, 2, v8
	s_and_not1_b32 s7, s7, exec_lo
	s_delay_alu instid0(VALU_DEP_1)
	v_add3_u32 v5, 0, v5, 0x40000
	ds_add_f32 v5, v7
	s_branch .LBB107_33
.LBB107_44:
	s_or_b32 exec_lo, exec_lo, s3
.LBB107_45:
	v_mbcnt_lo_u32_b32 v1, -1, 0
	v_lshrrev_b32_e32 v2, 2, v0
	s_add_i32 s73, 0, 0x600f8
	v_cmp_eq_u32_e32 vcc_lo, 0x3ff, v0
	v_cmp_lt_u32_e64 s0, 31, v0
	v_xor_b32_e32 v1, 63, v1
	v_dual_mov_b32 v14, s73 :: v_dual_and_b32 v3, 0xf8, v2
	v_cmp_lt_u32_e64 s1, 63, v0
	v_cmp_lt_u32_e64 s2, 0x5f, v0
	s_delay_alu instid0(VALU_DEP_4) | instskip(NEXT) | instid1(VALU_DEP_4)
	v_lshrrev_b64 v[1:2], v1, -1
	v_add3_u32 v10, 0, 0x60000, v3
	v_dual_mov_b32 v2, 0 :: v_dual_mov_b32 v5, 0
	v_cmp_lt_u32_e64 s3, 0x7f, v0
	v_cmp_lt_u32_e64 s4, 0x9f, v0
	;; [unrolled: 1-line block ×28, first 2 shown]
	v_mov_b32_e32 v3, 0
	s_mov_b32 s36, 0
	s_add_i32 s37, 0, 0x60000
	s_add_i32 s38, 0, 0x60008
	;; [unrolled: 1-line block ×31, first 2 shown]
	s_waitcnt lgkmcnt(0)
	s_barrier
	buffer_gl0_inv
	s_branch .LBB107_47
.LBB107_46:                             ;   in Loop: Header=BB107_47 Depth=1
	s_or_b32 exec_lo, exec_lo, s31
	s_waitcnt lgkmcnt(0)
	s_barrier
	buffer_gl0_inv
	ds_load_b64 v[6:7], v14
	v_add_nc_u32_e32 v13, 0x400, v13
	v_add_nc_u32_e32 v12, 0x1000, v12
	;; [unrolled: 1-line block ×3, first 2 shown]
	s_delay_alu instid0(VALU_DEP_3) | instskip(NEXT) | instid1(VALU_DEP_1)
	v_cmp_lt_u32_e64 s31, 0x7bff, v13
	s_or_b32 s36, s31, s36
	s_waitcnt lgkmcnt(0)
	v_add_co_u32 v2, s33, v6, v2
	s_delay_alu instid0(VALU_DEP_1)
	v_add_co_ci_u32_e64 v3, s33, v7, v3, s33
	s_and_not1_b32 exec_lo, exec_lo, s36
	s_cbranch_execz .LBB107_113
.LBB107_47:                             ; =>This Inner Loop Header: Depth=1
	ds_load_b64 v[6:7], v11
	ds_load_b32 v15, v12
	s_waitcnt lgkmcnt(0)
	s_barrier
	buffer_gl0_inv
	v_cmp_gt_i64_e64 s31, s[34:35], v[6:7]
	s_delay_alu instid0(VALU_DEP_1) | instskip(SKIP_1) | instid1(SALU_CYCLE_1)
	v_and_b32_e32 v8, s31, v1
	s_bcnt1_i32_b32 s33, s31
	v_mov_b32_e32 v4, s33
	s_delay_alu instid0(VALU_DEP_2)
	v_bcnt_u32_b32 v8, v8, 0
	ds_store_b64 v10, v[4:5]
	s_waitcnt lgkmcnt(0)
	s_barrier
	buffer_gl0_inv
	s_and_saveexec_b32 s33, s0
	s_cbranch_execnz .LBB107_80
; %bb.48:                               ;   in Loop: Header=BB107_47 Depth=1
	s_or_b32 exec_lo, exec_lo, s33
	s_and_saveexec_b32 s33, s1
	s_cbranch_execnz .LBB107_81
.LBB107_49:                             ;   in Loop: Header=BB107_47 Depth=1
	s_or_b32 exec_lo, exec_lo, s33
	s_and_saveexec_b32 s33, s2
	s_cbranch_execnz .LBB107_82
.LBB107_50:                             ;   in Loop: Header=BB107_47 Depth=1
	s_or_b32 exec_lo, exec_lo, s33
	s_and_saveexec_b32 s33, s3
	s_cbranch_execnz .LBB107_83
.LBB107_51:                             ;   in Loop: Header=BB107_47 Depth=1
	s_or_b32 exec_lo, exec_lo, s33
	s_and_saveexec_b32 s33, s4
	s_cbranch_execnz .LBB107_84
.LBB107_52:                             ;   in Loop: Header=BB107_47 Depth=1
	s_or_b32 exec_lo, exec_lo, s33
	s_and_saveexec_b32 s33, s5
	s_cbranch_execnz .LBB107_85
.LBB107_53:                             ;   in Loop: Header=BB107_47 Depth=1
	s_or_b32 exec_lo, exec_lo, s33
	s_and_saveexec_b32 s33, s6
	s_cbranch_execnz .LBB107_86
.LBB107_54:                             ;   in Loop: Header=BB107_47 Depth=1
	s_or_b32 exec_lo, exec_lo, s33
	s_and_saveexec_b32 s33, s7
	s_cbranch_execnz .LBB107_87
.LBB107_55:                             ;   in Loop: Header=BB107_47 Depth=1
	s_or_b32 exec_lo, exec_lo, s33
	s_and_saveexec_b32 s33, s8
	s_cbranch_execnz .LBB107_88
.LBB107_56:                             ;   in Loop: Header=BB107_47 Depth=1
	s_or_b32 exec_lo, exec_lo, s33
	s_and_saveexec_b32 s33, s9
	s_cbranch_execnz .LBB107_89
.LBB107_57:                             ;   in Loop: Header=BB107_47 Depth=1
	s_or_b32 exec_lo, exec_lo, s33
	s_and_saveexec_b32 s33, s10
	s_cbranch_execnz .LBB107_90
.LBB107_58:                             ;   in Loop: Header=BB107_47 Depth=1
	s_or_b32 exec_lo, exec_lo, s33
	s_and_saveexec_b32 s33, s11
	s_cbranch_execnz .LBB107_91
.LBB107_59:                             ;   in Loop: Header=BB107_47 Depth=1
	s_or_b32 exec_lo, exec_lo, s33
	s_and_saveexec_b32 s33, s12
	s_cbranch_execnz .LBB107_92
.LBB107_60:                             ;   in Loop: Header=BB107_47 Depth=1
	s_or_b32 exec_lo, exec_lo, s33
	s_and_saveexec_b32 s33, s13
	s_cbranch_execnz .LBB107_93
.LBB107_61:                             ;   in Loop: Header=BB107_47 Depth=1
	s_or_b32 exec_lo, exec_lo, s33
	s_and_saveexec_b32 s33, s14
	s_cbranch_execnz .LBB107_94
.LBB107_62:                             ;   in Loop: Header=BB107_47 Depth=1
	s_or_b32 exec_lo, exec_lo, s33
	s_and_saveexec_b32 s33, s15
	s_cbranch_execnz .LBB107_95
.LBB107_63:                             ;   in Loop: Header=BB107_47 Depth=1
	s_or_b32 exec_lo, exec_lo, s33
	s_and_saveexec_b32 s33, s16
	s_cbranch_execnz .LBB107_96
.LBB107_64:                             ;   in Loop: Header=BB107_47 Depth=1
	s_or_b32 exec_lo, exec_lo, s33
	s_and_saveexec_b32 s33, s17
	s_cbranch_execnz .LBB107_97
.LBB107_65:                             ;   in Loop: Header=BB107_47 Depth=1
	s_or_b32 exec_lo, exec_lo, s33
	s_and_saveexec_b32 s33, s18
	s_cbranch_execnz .LBB107_98
.LBB107_66:                             ;   in Loop: Header=BB107_47 Depth=1
	s_or_b32 exec_lo, exec_lo, s33
	s_and_saveexec_b32 s33, s19
	s_cbranch_execnz .LBB107_99
.LBB107_67:                             ;   in Loop: Header=BB107_47 Depth=1
	s_or_b32 exec_lo, exec_lo, s33
	s_and_saveexec_b32 s33, s20
	s_cbranch_execnz .LBB107_100
.LBB107_68:                             ;   in Loop: Header=BB107_47 Depth=1
	s_or_b32 exec_lo, exec_lo, s33
	s_and_saveexec_b32 s33, s21
	s_cbranch_execnz .LBB107_101
.LBB107_69:                             ;   in Loop: Header=BB107_47 Depth=1
	s_or_b32 exec_lo, exec_lo, s33
	s_and_saveexec_b32 s33, s22
	s_cbranch_execnz .LBB107_102
.LBB107_70:                             ;   in Loop: Header=BB107_47 Depth=1
	s_or_b32 exec_lo, exec_lo, s33
	s_and_saveexec_b32 s33, s23
	s_cbranch_execnz .LBB107_103
.LBB107_71:                             ;   in Loop: Header=BB107_47 Depth=1
	s_or_b32 exec_lo, exec_lo, s33
	s_and_saveexec_b32 s33, s24
	s_cbranch_execnz .LBB107_104
.LBB107_72:                             ;   in Loop: Header=BB107_47 Depth=1
	s_or_b32 exec_lo, exec_lo, s33
	s_and_saveexec_b32 s33, s25
	s_cbranch_execnz .LBB107_105
.LBB107_73:                             ;   in Loop: Header=BB107_47 Depth=1
	s_or_b32 exec_lo, exec_lo, s33
	s_and_saveexec_b32 s33, s26
	s_cbranch_execnz .LBB107_106
.LBB107_74:                             ;   in Loop: Header=BB107_47 Depth=1
	s_or_b32 exec_lo, exec_lo, s33
	s_and_saveexec_b32 s33, s27
	s_cbranch_execnz .LBB107_107
.LBB107_75:                             ;   in Loop: Header=BB107_47 Depth=1
	s_or_b32 exec_lo, exec_lo, s33
	s_and_saveexec_b32 s33, s28
	s_cbranch_execnz .LBB107_108
.LBB107_76:                             ;   in Loop: Header=BB107_47 Depth=1
	s_or_b32 exec_lo, exec_lo, s33
	s_and_saveexec_b32 s33, s29
	s_cbranch_execnz .LBB107_109
.LBB107_77:                             ;   in Loop: Header=BB107_47 Depth=1
	s_or_b32 exec_lo, exec_lo, s33
	s_and_saveexec_b32 s33, s30
	s_cbranch_execnz .LBB107_110
.LBB107_78:                             ;   in Loop: Header=BB107_47 Depth=1
	s_or_b32 exec_lo, exec_lo, s33
	v_ashrrev_i32_e32 v9, 31, v8
	s_and_saveexec_b32 s33, s31
	s_cbranch_execnz .LBB107_111
.LBB107_79:                             ;   in Loop: Header=BB107_47 Depth=1
	s_or_b32 exec_lo, exec_lo, s33
	s_and_saveexec_b32 s31, vcc_lo
	s_cbranch_execz .LBB107_46
	s_branch .LBB107_112
.LBB107_80:                             ;   in Loop: Header=BB107_47 Depth=1
	v_mov_b32_e32 v4, s37
	ds_load_b32 v4, v4
	s_waitcnt lgkmcnt(0)
	v_add_nc_u32_e32 v8, v4, v8
	s_or_b32 exec_lo, exec_lo, s33
	s_and_saveexec_b32 s33, s1
	s_cbranch_execz .LBB107_49
.LBB107_81:                             ;   in Loop: Header=BB107_47 Depth=1
	v_mov_b32_e32 v4, s38
	ds_load_b32 v4, v4
	s_waitcnt lgkmcnt(0)
	v_add_nc_u32_e32 v8, v8, v4
	s_or_b32 exec_lo, exec_lo, s33
	s_and_saveexec_b32 s33, s2
	s_cbranch_execz .LBB107_50
.LBB107_82:                             ;   in Loop: Header=BB107_47 Depth=1
	v_mov_b32_e32 v4, s39
	ds_load_b32 v4, v4
	s_waitcnt lgkmcnt(0)
	v_add_nc_u32_e32 v8, v8, v4
	s_or_b32 exec_lo, exec_lo, s33
	s_and_saveexec_b32 s33, s3
	s_cbranch_execz .LBB107_51
.LBB107_83:                             ;   in Loop: Header=BB107_47 Depth=1
	v_mov_b32_e32 v4, s40
	ds_load_b32 v4, v4
	s_waitcnt lgkmcnt(0)
	v_add_nc_u32_e32 v8, v8, v4
	s_or_b32 exec_lo, exec_lo, s33
	s_and_saveexec_b32 s33, s4
	s_cbranch_execz .LBB107_52
.LBB107_84:                             ;   in Loop: Header=BB107_47 Depth=1
	v_mov_b32_e32 v4, s41
	ds_load_b32 v4, v4
	s_waitcnt lgkmcnt(0)
	v_add_nc_u32_e32 v8, v8, v4
	s_or_b32 exec_lo, exec_lo, s33
	s_and_saveexec_b32 s33, s5
	s_cbranch_execz .LBB107_53
.LBB107_85:                             ;   in Loop: Header=BB107_47 Depth=1
	v_mov_b32_e32 v4, s44
	ds_load_b32 v4, v4
	s_waitcnt lgkmcnt(0)
	v_add_nc_u32_e32 v8, v8, v4
	s_or_b32 exec_lo, exec_lo, s33
	s_and_saveexec_b32 s33, s6
	s_cbranch_execz .LBB107_54
.LBB107_86:                             ;   in Loop: Header=BB107_47 Depth=1
	v_mov_b32_e32 v4, s45
	ds_load_b32 v4, v4
	s_waitcnt lgkmcnt(0)
	v_add_nc_u32_e32 v8, v8, v4
	s_or_b32 exec_lo, exec_lo, s33
	s_and_saveexec_b32 s33, s7
	s_cbranch_execz .LBB107_55
.LBB107_87:                             ;   in Loop: Header=BB107_47 Depth=1
	v_mov_b32_e32 v4, s47
	ds_load_b32 v4, v4
	s_waitcnt lgkmcnt(0)
	v_add_nc_u32_e32 v8, v8, v4
	s_or_b32 exec_lo, exec_lo, s33
	s_and_saveexec_b32 s33, s8
	s_cbranch_execz .LBB107_56
.LBB107_88:                             ;   in Loop: Header=BB107_47 Depth=1
	v_mov_b32_e32 v4, s54
	ds_load_b32 v4, v4
	s_waitcnt lgkmcnt(0)
	v_add_nc_u32_e32 v8, v8, v4
	s_or_b32 exec_lo, exec_lo, s33
	s_and_saveexec_b32 s33, s9
	s_cbranch_execz .LBB107_57
.LBB107_89:                             ;   in Loop: Header=BB107_47 Depth=1
	v_mov_b32_e32 v4, s55
	ds_load_b32 v4, v4
	s_waitcnt lgkmcnt(0)
	v_add_nc_u32_e32 v8, v8, v4
	s_or_b32 exec_lo, exec_lo, s33
	s_and_saveexec_b32 s33, s10
	s_cbranch_execz .LBB107_58
.LBB107_90:                             ;   in Loop: Header=BB107_47 Depth=1
	v_mov_b32_e32 v4, s56
	ds_load_b32 v4, v4
	s_waitcnt lgkmcnt(0)
	v_add_nc_u32_e32 v8, v8, v4
	s_or_b32 exec_lo, exec_lo, s33
	s_and_saveexec_b32 s33, s11
	s_cbranch_execz .LBB107_59
.LBB107_91:                             ;   in Loop: Header=BB107_47 Depth=1
	v_mov_b32_e32 v4, s57
	ds_load_b32 v4, v4
	s_waitcnt lgkmcnt(0)
	v_add_nc_u32_e32 v8, v8, v4
	s_or_b32 exec_lo, exec_lo, s33
	s_and_saveexec_b32 s33, s12
	s_cbranch_execz .LBB107_60
.LBB107_92:                             ;   in Loop: Header=BB107_47 Depth=1
	v_mov_b32_e32 v4, s58
	ds_load_b32 v4, v4
	s_waitcnt lgkmcnt(0)
	v_add_nc_u32_e32 v8, v8, v4
	s_or_b32 exec_lo, exec_lo, s33
	s_and_saveexec_b32 s33, s13
	s_cbranch_execz .LBB107_61
.LBB107_93:                             ;   in Loop: Header=BB107_47 Depth=1
	v_mov_b32_e32 v4, s59
	ds_load_b32 v4, v4
	s_waitcnt lgkmcnt(0)
	v_add_nc_u32_e32 v8, v8, v4
	s_or_b32 exec_lo, exec_lo, s33
	s_and_saveexec_b32 s33, s14
	s_cbranch_execz .LBB107_62
.LBB107_94:                             ;   in Loop: Header=BB107_47 Depth=1
	v_mov_b32_e32 v4, s60
	ds_load_b32 v4, v4
	s_waitcnt lgkmcnt(0)
	v_add_nc_u32_e32 v8, v8, v4
	s_or_b32 exec_lo, exec_lo, s33
	s_and_saveexec_b32 s33, s15
	s_cbranch_execz .LBB107_63
.LBB107_95:                             ;   in Loop: Header=BB107_47 Depth=1
	v_mov_b32_e32 v4, s61
	ds_load_b32 v4, v4
	s_waitcnt lgkmcnt(0)
	v_add_nc_u32_e32 v8, v8, v4
	s_or_b32 exec_lo, exec_lo, s33
	s_and_saveexec_b32 s33, s16
	s_cbranch_execz .LBB107_64
.LBB107_96:                             ;   in Loop: Header=BB107_47 Depth=1
	v_mov_b32_e32 v4, s62
	ds_load_b32 v4, v4
	s_waitcnt lgkmcnt(0)
	v_add_nc_u32_e32 v8, v8, v4
	s_or_b32 exec_lo, exec_lo, s33
	s_and_saveexec_b32 s33, s17
	s_cbranch_execz .LBB107_65
.LBB107_97:                             ;   in Loop: Header=BB107_47 Depth=1
	v_mov_b32_e32 v4, s63
	ds_load_b32 v4, v4
	s_waitcnt lgkmcnt(0)
	v_add_nc_u32_e32 v8, v8, v4
	s_or_b32 exec_lo, exec_lo, s33
	s_and_saveexec_b32 s33, s18
	s_cbranch_execz .LBB107_66
.LBB107_98:                             ;   in Loop: Header=BB107_47 Depth=1
	v_mov_b32_e32 v4, s64
	ds_load_b32 v4, v4
	s_waitcnt lgkmcnt(0)
	v_add_nc_u32_e32 v8, v8, v4
	s_or_b32 exec_lo, exec_lo, s33
	s_and_saveexec_b32 s33, s19
	s_cbranch_execz .LBB107_67
.LBB107_99:                             ;   in Loop: Header=BB107_47 Depth=1
	v_mov_b32_e32 v4, s65
	ds_load_b32 v4, v4
	s_waitcnt lgkmcnt(0)
	v_add_nc_u32_e32 v8, v8, v4
	s_or_b32 exec_lo, exec_lo, s33
	s_and_saveexec_b32 s33, s20
	s_cbranch_execz .LBB107_68
.LBB107_100:                            ;   in Loop: Header=BB107_47 Depth=1
	v_mov_b32_e32 v4, s66
	ds_load_b32 v4, v4
	s_waitcnt lgkmcnt(0)
	v_add_nc_u32_e32 v8, v8, v4
	s_or_b32 exec_lo, exec_lo, s33
	s_and_saveexec_b32 s33, s21
	s_cbranch_execz .LBB107_69
.LBB107_101:                            ;   in Loop: Header=BB107_47 Depth=1
	v_mov_b32_e32 v4, s67
	ds_load_b32 v4, v4
	s_waitcnt lgkmcnt(0)
	v_add_nc_u32_e32 v8, v8, v4
	s_or_b32 exec_lo, exec_lo, s33
	s_and_saveexec_b32 s33, s22
	s_cbranch_execz .LBB107_70
.LBB107_102:                            ;   in Loop: Header=BB107_47 Depth=1
	v_mov_b32_e32 v4, s68
	ds_load_b32 v4, v4
	s_waitcnt lgkmcnt(0)
	v_add_nc_u32_e32 v8, v8, v4
	s_or_b32 exec_lo, exec_lo, s33
	s_and_saveexec_b32 s33, s23
	s_cbranch_execz .LBB107_71
.LBB107_103:                            ;   in Loop: Header=BB107_47 Depth=1
	v_mov_b32_e32 v4, s69
	ds_load_b32 v4, v4
	s_waitcnt lgkmcnt(0)
	v_add_nc_u32_e32 v8, v8, v4
	s_or_b32 exec_lo, exec_lo, s33
	s_and_saveexec_b32 s33, s24
	s_cbranch_execz .LBB107_72
.LBB107_104:                            ;   in Loop: Header=BB107_47 Depth=1
	v_mov_b32_e32 v4, s70
	ds_load_b32 v4, v4
	s_waitcnt lgkmcnt(0)
	v_add_nc_u32_e32 v8, v8, v4
	s_or_b32 exec_lo, exec_lo, s33
	s_and_saveexec_b32 s33, s25
	s_cbranch_execz .LBB107_73
.LBB107_105:                            ;   in Loop: Header=BB107_47 Depth=1
	v_mov_b32_e32 v4, s71
	ds_load_b32 v4, v4
	s_waitcnt lgkmcnt(0)
	v_add_nc_u32_e32 v8, v8, v4
	s_or_b32 exec_lo, exec_lo, s33
	s_and_saveexec_b32 s33, s26
	s_cbranch_execz .LBB107_74
.LBB107_106:                            ;   in Loop: Header=BB107_47 Depth=1
	v_mov_b32_e32 v4, s72
	ds_load_b32 v4, v4
	s_waitcnt lgkmcnt(0)
	v_add_nc_u32_e32 v8, v8, v4
	s_or_b32 exec_lo, exec_lo, s33
	s_and_saveexec_b32 s33, s27
	s_cbranch_execz .LBB107_75
.LBB107_107:                            ;   in Loop: Header=BB107_47 Depth=1
	v_mov_b32_e32 v4, s74
	ds_load_b32 v4, v4
	s_waitcnt lgkmcnt(0)
	v_add_nc_u32_e32 v8, v8, v4
	s_or_b32 exec_lo, exec_lo, s33
	s_and_saveexec_b32 s33, s28
	s_cbranch_execz .LBB107_76
.LBB107_108:                            ;   in Loop: Header=BB107_47 Depth=1
	v_mov_b32_e32 v4, s75
	ds_load_b32 v4, v4
	s_waitcnt lgkmcnt(0)
	v_add_nc_u32_e32 v8, v8, v4
	s_or_b32 exec_lo, exec_lo, s33
	s_and_saveexec_b32 s33, s29
	s_cbranch_execz .LBB107_77
.LBB107_109:                            ;   in Loop: Header=BB107_47 Depth=1
	v_mov_b32_e32 v4, s76
	ds_load_b32 v4, v4
	s_waitcnt lgkmcnt(0)
	v_add_nc_u32_e32 v8, v8, v4
	s_or_b32 exec_lo, exec_lo, s33
	s_and_saveexec_b32 s33, s30
	s_cbranch_execz .LBB107_78
.LBB107_110:                            ;   in Loop: Header=BB107_47 Depth=1
	v_mov_b32_e32 v4, s77
	ds_load_b32 v4, v4
	s_waitcnt lgkmcnt(0)
	v_add_nc_u32_e32 v8, v8, v4
	s_or_b32 exec_lo, exec_lo, s33
	s_delay_alu instid0(VALU_DEP_1)
	v_ashrrev_i32_e32 v9, 31, v8
	s_and_saveexec_b32 s33, s31
	s_cbranch_execz .LBB107_79
.LBB107_111:                            ;   in Loop: Header=BB107_47 Depth=1
	v_add3_u32 v4, v2, -1, v8
	s_delay_alu instid0(VALU_DEP_1) | instskip(SKIP_1) | instid1(VALU_DEP_2)
	v_lshlrev_b32_e32 v16, 2, v4
	v_lshl_add_u32 v4, v4, 3, 0
	v_add3_u32 v16, 0, v16, 0x40000
	ds_store_b64 v4, v[6:7]
	ds_store_b32 v16, v15
	s_or_b32 exec_lo, exec_lo, s33
	s_and_saveexec_b32 s31, vcc_lo
	s_cbranch_execz .LBB107_46
.LBB107_112:                            ;   in Loop: Header=BB107_47 Depth=1
	v_mov_b32_e32 v4, s73
	ds_store_b64 v4, v[8:9]
	s_branch .LBB107_46
.LBB107_113:
	s_or_b32 exec_lo, exec_lo, s36
	s_lshl_b64 s[0:1], s[52:53], 3
	v_mov_b32_e32 v1, 0
	s_add_u32 s0, s42, s0
	s_addc_u32 s1, s43, s1
	s_mov_b32 s6, exec_lo
	s_load_b128 s[0:3], s[0:1], 0x0
	s_waitcnt lgkmcnt(0)
	s_sub_u32 s4, s2, s0
	s_subb_u32 s5, s3, s1
	s_delay_alu instid0(SALU_CYCLE_1)
	v_cmpx_gt_i64_e64 s[4:5], v[0:1]
	s_cbranch_execz .LBB107_123
; %bb.114:
	s_sub_u32 s8, s0, s46
	s_subb_u32 s9, s1, 0
	s_and_b32 s6, s4, 7
	s_sub_u32 s0, s0, s2
	s_subb_u32 s1, s1, s3
	s_mov_b32 s7, 0
	v_cmp_lt_u64_e64 s12, s[0:1], -7
	s_and_b32 s2, s4, -8
	s_cmp_lg_u64 s[6:7], 0
	s_mov_b32 s3, s5
	s_cselect_b32 s13, -1, 0
	s_mov_b32 s14, s7
	s_branch .LBB107_116
.LBB107_115:                            ;   in Loop: Header=BB107_116 Depth=1
	s_waitcnt lgkmcnt(1)
	v_add_co_u32 v2, vcc_lo, v2, s46
	v_lshlrev_b64 v[7:8], 3, v[4:5]
	v_add_co_ci_u32_e32 v3, vcc_lo, 0, v3, vcc_lo
	v_add_co_u32 v0, vcc_lo, 0x400, v0
	v_add_co_ci_u32_e32 v1, vcc_lo, 0, v1, vcc_lo
	v_lshlrev_b64 v[4:5], 2, v[4:5]
	v_add_co_u32 v7, vcc_lo, s48, v7
	v_add_co_ci_u32_e32 v8, vcc_lo, s49, v8, vcc_lo
	s_delay_alu instid0(VALU_DEP_4) | instskip(NEXT) | instid1(VALU_DEP_4)
	v_cmp_le_i64_e32 vcc_lo, s[4:5], v[0:1]
	v_add_co_u32 v4, s0, s50, v4
	s_delay_alu instid0(VALU_DEP_1) | instskip(SKIP_4) | instid1(SALU_CYCLE_1)
	v_add_co_ci_u32_e64 v5, s0, s51, v5, s0
	global_store_b64 v[7:8], v[2:3], off
	s_waitcnt lgkmcnt(0)
	global_store_b32 v[4:5], v6, off
	s_or_b32 s14, vcc_lo, s14
	s_and_not1_b32 exec_lo, exec_lo, s14
	s_cbranch_execz .LBB107_123
.LBB107_116:                            ; =>This Loop Header: Depth=1
                                        ;     Child Loop BB107_118 Depth 2
                                        ;     Child Loop BB107_122 Depth 2
	v_lshlrev_b32_e32 v2, 2, v0
	v_lshl_add_u32 v3, v0, 3, 0
	s_and_not1_b32 vcc_lo, exec_lo, s12
	s_mov_b64 s[0:1], 0
	s_delay_alu instid0(VALU_DEP_2)
	v_add3_u32 v4, 0, v2, 0x40000
	ds_load_b64 v[2:3], v3
	ds_load_b32 v6, v4
	v_dual_mov_b32 v4, s8 :: v_dual_mov_b32 v5, s9
	s_cbranch_vccnz .LBB107_120
; %bb.117:                              ;   in Loop: Header=BB107_116 Depth=1
	v_dual_mov_b32 v4, s8 :: v_dual_mov_b32 v5, s9
	s_mov_b64 s[10:11], 0
	s_mov_b32 s1, 0
.LBB107_118:                            ;   Parent Loop BB107_116 Depth=1
                                        ; =>  This Inner Loop Header: Depth=2
	s_delay_alu instid0(SALU_CYCLE_1)
	v_mov_b32_e32 v19, s1
	s_add_u32 s10, s10, 8
	s_addc_u32 s11, s11, 0
	s_add_i32 s1, s1, 64
	s_cmp_eq_u64 s[2:3], s[10:11]
	ds_load_2addr_b64 v[7:10], v19 offset1:1
	ds_load_2addr_b64 v[11:14], v19 offset0:2 offset1:3
	ds_load_2addr_b64 v[15:18], v19 offset0:4 offset1:5
	;; [unrolled: 1-line block ×3, first 2 shown]
	s_waitcnt lgkmcnt(3)
	v_cmp_gt_i64_e32 vcc_lo, v[2:3], v[7:8]
	v_cndmask_b32_e64 v7, 0, 1, vcc_lo
	v_cmp_gt_i64_e32 vcc_lo, v[2:3], v[9:10]
	v_cndmask_b32_e64 v8, 0, 1, vcc_lo
	s_waitcnt lgkmcnt(2)
	v_cmp_gt_i64_e32 vcc_lo, v[2:3], v[11:12]
	v_cndmask_b32_e64 v9, 0, 1, vcc_lo
	v_cmp_gt_i64_e32 vcc_lo, v[2:3], v[13:14]
	v_cndmask_b32_e64 v10, 0, 1, vcc_lo
	s_waitcnt lgkmcnt(1)
	v_cmp_gt_i64_e32 vcc_lo, v[2:3], v[15:16]
	v_cndmask_b32_e64 v11, 0, 1, vcc_lo
	v_add_co_u32 v4, vcc_lo, v4, v7
	v_add_co_ci_u32_e32 v5, vcc_lo, 0, v5, vcc_lo
	v_cmp_gt_i64_e32 vcc_lo, v[2:3], v[17:18]
	s_delay_alu instid0(VALU_DEP_3) | instskip(NEXT) | instid1(VALU_DEP_1)
	v_add_co_u32 v4, s0, v4, v8
	v_add_co_ci_u32_e64 v5, s0, 0, v5, s0
	v_cndmask_b32_e64 v7, 0, 1, vcc_lo
	s_delay_alu instid0(VALU_DEP_3) | instskip(NEXT) | instid1(VALU_DEP_3)
	v_add_co_u32 v4, vcc_lo, v4, v9
	v_add_co_ci_u32_e32 v5, vcc_lo, 0, v5, vcc_lo
	s_waitcnt lgkmcnt(0)
	v_cmp_gt_i64_e32 vcc_lo, v[2:3], v[19:20]
	s_delay_alu instid0(VALU_DEP_3) | instskip(NEXT) | instid1(VALU_DEP_1)
	v_add_co_u32 v4, s0, v4, v10
	v_add_co_ci_u32_e64 v5, s0, 0, v5, s0
	v_cndmask_b32_e64 v8, 0, 1, vcc_lo
	s_delay_alu instid0(VALU_DEP_3) | instskip(NEXT) | instid1(VALU_DEP_3)
	v_add_co_u32 v4, vcc_lo, v4, v11
	v_add_co_ci_u32_e32 v5, vcc_lo, 0, v5, vcc_lo
	v_cmp_gt_i64_e32 vcc_lo, v[2:3], v[21:22]
	s_delay_alu instid0(VALU_DEP_3) | instskip(NEXT) | instid1(VALU_DEP_1)
	v_add_co_u32 v4, s0, v4, v7
	v_add_co_ci_u32_e64 v5, s0, 0, v5, s0
	v_cndmask_b32_e64 v7, 0, 1, vcc_lo
	s_delay_alu instid0(VALU_DEP_3) | instskip(NEXT) | instid1(VALU_DEP_3)
	v_add_co_u32 v4, vcc_lo, v4, v8
	v_add_co_ci_u32_e32 v5, vcc_lo, 0, v5, vcc_lo
	s_delay_alu instid0(VALU_DEP_2) | instskip(NEXT) | instid1(VALU_DEP_2)
	v_add_co_u32 v4, vcc_lo, v4, v7
	v_add_co_ci_u32_e32 v5, vcc_lo, 0, v5, vcc_lo
	s_cbranch_scc0 .LBB107_118
; %bb.119:                              ;   in Loop: Header=BB107_116 Depth=1
	s_mov_b64 s[0:1], s[2:3]
.LBB107_120:                            ;   in Loop: Header=BB107_116 Depth=1
	s_and_not1_b32 vcc_lo, exec_lo, s13
	s_cbranch_vccnz .LBB107_115
; %bb.121:                              ;   in Loop: Header=BB107_116 Depth=1
	s_lshl_b32 s0, s0, 3
	s_delay_alu instid0(SALU_CYCLE_1)
	s_add_i32 s10, s0, 0
	s_mov_b64 s[0:1], s[6:7]
.LBB107_122:                            ;   Parent Loop BB107_116 Depth=1
                                        ; =>  This Inner Loop Header: Depth=2
	v_mov_b32_e32 v7, s10
	s_add_i32 s10, s10, 8
	s_add_u32 s0, s0, -1
	s_addc_u32 s1, s1, -1
	s_delay_alu instid0(SALU_CYCLE_1) | instskip(SKIP_4) | instid1(VALU_DEP_1)
	s_cmp_lg_u64 s[0:1], 0
	ds_load_b64 v[7:8], v7
	s_waitcnt lgkmcnt(0)
	v_cmp_gt_i64_e32 vcc_lo, v[2:3], v[7:8]
	v_cndmask_b32_e64 v7, 0, 1, vcc_lo
	v_add_co_u32 v4, vcc_lo, v4, v7
	v_add_co_ci_u32_e32 v5, vcc_lo, 0, v5, vcc_lo
	s_cbranch_scc1 .LBB107_122
	s_branch .LBB107_115
.LBB107_123:
	s_nop 0
	s_sendmsg sendmsg(MSG_DEALLOC_VGPRS)
	s_endpgm
	.section	.rodata,"a",@progbits
	.p2align	6, 0x0
	.amdhsa_kernel _ZN9rocsparseL26csrgemm_fill_block_per_rowILj1024ELj64ELj32768ELj137ELj32EllfEEvT5_PKS1_S3_NS_24const_host_device_scalarIT6_EEPKT4_S3_PKS5_S9_S3_SB_S6_S9_S3_SB_S9_PS1_PS5_21rocsparse_index_base_SE_SE_SE_bbb
		.amdhsa_group_segment_fixed_size 0
		.amdhsa_private_segment_fixed_size 0
		.amdhsa_kernarg_size 156
		.amdhsa_user_sgpr_count 15
		.amdhsa_user_sgpr_dispatch_ptr 0
		.amdhsa_user_sgpr_queue_ptr 0
		.amdhsa_user_sgpr_kernarg_segment_ptr 1
		.amdhsa_user_sgpr_dispatch_id 0
		.amdhsa_user_sgpr_private_segment_size 0
		.amdhsa_wavefront_size32 1
		.amdhsa_uses_dynamic_stack 0
		.amdhsa_enable_private_segment 0
		.amdhsa_system_sgpr_workgroup_id_x 1
		.amdhsa_system_sgpr_workgroup_id_y 0
		.amdhsa_system_sgpr_workgroup_id_z 0
		.amdhsa_system_sgpr_workgroup_info 0
		.amdhsa_system_vgpr_workitem_id 0
		.amdhsa_next_free_vgpr 23
		.amdhsa_next_free_sgpr 78
		.amdhsa_reserve_vcc 1
		.amdhsa_float_round_mode_32 0
		.amdhsa_float_round_mode_16_64 0
		.amdhsa_float_denorm_mode_32 3
		.amdhsa_float_denorm_mode_16_64 3
		.amdhsa_dx10_clamp 1
		.amdhsa_ieee_mode 1
		.amdhsa_fp16_overflow 0
		.amdhsa_workgroup_processor_mode 1
		.amdhsa_memory_ordered 1
		.amdhsa_forward_progress 0
		.amdhsa_shared_vgpr_count 0
		.amdhsa_exception_fp_ieee_invalid_op 0
		.amdhsa_exception_fp_denorm_src 0
		.amdhsa_exception_fp_ieee_div_zero 0
		.amdhsa_exception_fp_ieee_overflow 0
		.amdhsa_exception_fp_ieee_underflow 0
		.amdhsa_exception_fp_ieee_inexact 0
		.amdhsa_exception_int_div_zero 0
	.end_amdhsa_kernel
	.section	.text._ZN9rocsparseL26csrgemm_fill_block_per_rowILj1024ELj64ELj32768ELj137ELj32EllfEEvT5_PKS1_S3_NS_24const_host_device_scalarIT6_EEPKT4_S3_PKS5_S9_S3_SB_S6_S9_S3_SB_S9_PS1_PS5_21rocsparse_index_base_SE_SE_SE_bbb,"axG",@progbits,_ZN9rocsparseL26csrgemm_fill_block_per_rowILj1024ELj64ELj32768ELj137ELj32EllfEEvT5_PKS1_S3_NS_24const_host_device_scalarIT6_EEPKT4_S3_PKS5_S9_S3_SB_S6_S9_S3_SB_S9_PS1_PS5_21rocsparse_index_base_SE_SE_SE_bbb,comdat
.Lfunc_end107:
	.size	_ZN9rocsparseL26csrgemm_fill_block_per_rowILj1024ELj64ELj32768ELj137ELj32EllfEEvT5_PKS1_S3_NS_24const_host_device_scalarIT6_EEPKT4_S3_PKS5_S9_S3_SB_S6_S9_S3_SB_S9_PS1_PS5_21rocsparse_index_base_SE_SE_SE_bbb, .Lfunc_end107-_ZN9rocsparseL26csrgemm_fill_block_per_rowILj1024ELj64ELj32768ELj137ELj32EllfEEvT5_PKS1_S3_NS_24const_host_device_scalarIT6_EEPKT4_S3_PKS5_S9_S3_SB_S6_S9_S3_SB_S9_PS1_PS5_21rocsparse_index_base_SE_SE_SE_bbb
                                        ; -- End function
	.section	.AMDGPU.csdata,"",@progbits
; Kernel info:
; codeLenInByte = 4876
; NumSgprs: 80
; NumVgprs: 23
; ScratchSize: 0
; MemoryBound: 0
; FloatMode: 240
; IeeeMode: 1
; LDSByteSize: 0 bytes/workgroup (compile time only)
; SGPRBlocks: 9
; VGPRBlocks: 2
; NumSGPRsForWavesPerEU: 80
; NumVGPRsForWavesPerEU: 23
; Occupancy: 16
; WaveLimiterHint : 1
; COMPUTE_PGM_RSRC2:SCRATCH_EN: 0
; COMPUTE_PGM_RSRC2:USER_SGPR: 15
; COMPUTE_PGM_RSRC2:TRAP_HANDLER: 0
; COMPUTE_PGM_RSRC2:TGID_X_EN: 1
; COMPUTE_PGM_RSRC2:TGID_Y_EN: 0
; COMPUTE_PGM_RSRC2:TGID_Z_EN: 0
; COMPUTE_PGM_RSRC2:TIDIG_COMP_CNT: 0
	.section	.text._ZN9rocsparseL26csrgemm_fill_block_per_rowILj1024ELj64ELj32768ELj137ELj64EllfEEvT5_PKS1_S3_NS_24const_host_device_scalarIT6_EEPKT4_S3_PKS5_S9_S3_SB_S6_S9_S3_SB_S9_PS1_PS5_21rocsparse_index_base_SE_SE_SE_bbb,"axG",@progbits,_ZN9rocsparseL26csrgemm_fill_block_per_rowILj1024ELj64ELj32768ELj137ELj64EllfEEvT5_PKS1_S3_NS_24const_host_device_scalarIT6_EEPKT4_S3_PKS5_S9_S3_SB_S6_S9_S3_SB_S9_PS1_PS5_21rocsparse_index_base_SE_SE_SE_bbb,comdat
	.globl	_ZN9rocsparseL26csrgemm_fill_block_per_rowILj1024ELj64ELj32768ELj137ELj64EllfEEvT5_PKS1_S3_NS_24const_host_device_scalarIT6_EEPKT4_S3_PKS5_S9_S3_SB_S6_S9_S3_SB_S9_PS1_PS5_21rocsparse_index_base_SE_SE_SE_bbb ; -- Begin function _ZN9rocsparseL26csrgemm_fill_block_per_rowILj1024ELj64ELj32768ELj137ELj64EllfEEvT5_PKS1_S3_NS_24const_host_device_scalarIT6_EEPKT4_S3_PKS5_S9_S3_SB_S6_S9_S3_SB_S9_PS1_PS5_21rocsparse_index_base_SE_SE_SE_bbb
	.p2align	8
	.type	_ZN9rocsparseL26csrgemm_fill_block_per_rowILj1024ELj64ELj32768ELj137ELj64EllfEEvT5_PKS1_S3_NS_24const_host_device_scalarIT6_EEPKT4_S3_PKS5_S9_S3_SB_S6_S9_S3_SB_S9_PS1_PS5_21rocsparse_index_base_SE_SE_SE_bbb,@function
_ZN9rocsparseL26csrgemm_fill_block_per_rowILj1024ELj64ELj32768ELj137ELj64EllfEEvT5_PKS1_S3_NS_24const_host_device_scalarIT6_EEPKT4_S3_PKS5_S9_S3_SB_S6_S9_S3_SB_S9_PS1_PS5_21rocsparse_index_base_SE_SE_SE_bbb: ; @_ZN9rocsparseL26csrgemm_fill_block_per_rowILj1024ELj64ELj32768ELj137ELj64EllfEEvT5_PKS1_S3_NS_24const_host_device_scalarIT6_EEPKT4_S3_PKS5_S9_S3_SB_S6_S9_S3_SB_S9_PS1_PS5_21rocsparse_index_base_SE_SE_SE_bbb
; %bb.0:
	s_clause 0x3
	s_load_b32 s3, s[0:1], 0x98
	s_load_b128 s[20:23], s[0:1], 0x88
	s_load_b64 s[4:5], s[0:1], 0x18
	s_load_b64 s[34:35], s[0:1], 0x50
	s_mov_b32 s2, s15
	s_waitcnt lgkmcnt(0)
	s_bitcmp1_b32 s3, 0
	s_cselect_b32 s40, -1, 0
	s_bitcmp1_b32 s3, 16
	s_cselect_b32 s41, -1, 0
	s_xor_b32 s6, s40, -1
	s_delay_alu instid0(SALU_CYCLE_1) | instskip(NEXT) | instid1(SALU_CYCLE_1)
	s_or_b32 s6, s6, s41
	s_and_b32 vcc_lo, exec_lo, s6
	s_cbranch_vccnz .LBB108_2
; %bb.1:
	s_load_b32 s4, s[4:5], 0x0
	s_waitcnt lgkmcnt(0)
	v_mov_b32_e32 v16, s4
	s_branch .LBB108_3
.LBB108_2:
	v_cndmask_b32_e64 v16, 0, s4, s40
.LBB108_3:
	s_clause 0x4
	s_load_b128 s[24:27], s[0:1], 0x78
	s_load_b256 s[12:19], s[0:1], 0x58
	s_load_b128 s[28:31], s[0:1], 0x40
	s_load_b128 s[36:39], s[0:1], 0x8
	s_load_b256 s[4:11], s[0:1], 0x20
	s_bitcmp1_b32 s3, 8
	s_cselect_b32 s33, -1, 0
	s_delay_alu instid0(SALU_CYCLE_1) | instskip(NEXT) | instid1(SALU_CYCLE_1)
	s_xor_b32 s3, s33, -1
	s_or_b32 s3, s3, s41
	s_delay_alu instid0(SALU_CYCLE_1)
	s_and_b32 vcc_lo, exec_lo, s3
	s_cbranch_vccnz .LBB108_5
; %bb.4:
	s_load_b32 s3, s[34:35], 0x0
	s_waitcnt lgkmcnt(0)
	v_mov_b32_e32 v14, s3
	s_branch .LBB108_6
.LBB108_5:
	v_cndmask_b32_e64 v14, 0, s34, s33
.LBB108_6:
	s_load_b64 s[34:35], s[0:1], 0x0
	v_lshl_add_u32 v11, v0, 3, 0
	v_lshlrev_b32_e32 v1, 2, v0
	v_or_b32_e32 v13, 0xfffffc00, v0
	v_mov_b32_e32 v3, 0
	s_mov_b32 s0, 0
	v_mov_b32_e32 v4, v11
	v_add3_u32 v12, v1, 0, 0x40000
	s_delay_alu instid0(VALU_DEP_1)
	v_dual_mov_b32 v6, v13 :: v_dual_mov_b32 v5, v12
	s_waitcnt lgkmcnt(0)
	v_dual_mov_b32 v1, s34 :: v_dual_mov_b32 v2, s35
.LBB108_7:                              ; =>This Inner Loop Header: Depth=1
	s_delay_alu instid0(VALU_DEP_2)
	v_add_nc_u32_e32 v6, 0x400, v6
	ds_store_b64 v4, v[1:2]
	ds_store_b32 v5, v3
	v_add_nc_u32_e32 v5, 0x1000, v5
	v_add_nc_u32_e32 v4, 0x2000, v4
	v_cmp_lt_u32_e32 vcc_lo, 0x7bff, v6
	s_or_b32 s0, vcc_lo, s0
	s_delay_alu instid0(SALU_CYCLE_1)
	s_and_not1_b32 exec_lo, exec_lo, s0
	s_cbranch_execnz .LBB108_7
; %bb.8:
	s_or_b32 exec_lo, exec_lo, s0
	s_waitcnt lgkmcnt(0)
	s_barrier
	buffer_gl0_inv
	s_load_b64 s[0:1], s[36:37], 0x0
	s_mov_b32 s3, 0
	v_lshrrev_b32_e32 v15, 6, v0
	s_waitcnt lgkmcnt(0)
	s_lshl_b64 s[0:1], s[0:1], 3
	s_delay_alu instid0(SALU_CYCLE_1) | instskip(SKIP_2) | instid1(SALU_CYCLE_1)
	s_add_u32 s36, s38, s0
	s_addc_u32 s37, s39, s1
	s_lshl_b64 s[0:1], s[2:3], 3
	s_add_u32 s0, s36, s0
	s_addc_u32 s1, s37, s1
	s_and_b32 vcc_lo, exec_lo, s40
	s_load_b64 s[36:37], s[0:1], 0x0
	s_cbranch_vccz .LBB108_28
; %bb.9:
	s_waitcnt lgkmcnt(0)
	s_lshl_b64 s[0:1], s[36:37], 3
	s_delay_alu instid0(SALU_CYCLE_1)
	s_add_u32 s0, s4, s0
	s_addc_u32 s1, s5, s1
	v_sub_co_u32 v1, s4, v15, s20
	s_load_b128 s[0:3], s[0:1], 0x0
	v_sub_co_ci_u32_e64 v2, null, 0, 0, s4
	s_waitcnt lgkmcnt(0)
	s_delay_alu instid0(VALU_DEP_2) | instskip(NEXT) | instid1(VALU_DEP_2)
	v_add_co_u32 v1, vcc_lo, s0, v1
	v_add_co_ci_u32_e32 v2, vcc_lo, s1, v2, vcc_lo
	s_sub_u32 s0, s2, s20
	s_subb_u32 s1, s3, 0
	s_mov_b32 s2, exec_lo
	s_delay_alu instid0(VALU_DEP_1)
	v_cmpx_gt_i64_e64 s[0:1], v[1:2]
	s_cbranch_execz .LBB108_27
; %bb.10:
	v_and_b32_e32 v3, 63, v0
	s_mov_b32 s4, s21
	s_delay_alu instid0(VALU_DEP_1) | instskip(NEXT) | instid1(VALU_DEP_1)
	v_sub_co_u32 v17, s3, v3, s21
	v_sub_co_ci_u32_e64 v18, null, 0, 0, s3
	s_mov_b32 s3, 0
	s_branch .LBB108_12
.LBB108_11:                             ;   in Loop: Header=BB108_12 Depth=1
	s_or_b32 exec_lo, exec_lo, s5
	v_add_co_u32 v1, vcc_lo, v1, 16
	v_add_co_ci_u32_e32 v2, vcc_lo, 0, v2, vcc_lo
	s_delay_alu instid0(VALU_DEP_1) | instskip(SKIP_1) | instid1(SALU_CYCLE_1)
	v_cmp_le_i64_e32 vcc_lo, s[0:1], v[1:2]
	s_or_b32 s3, vcc_lo, s3
	s_and_not1_b32 exec_lo, exec_lo, s3
	s_cbranch_execz .LBB108_27
.LBB108_12:                             ; =>This Loop Header: Depth=1
                                        ;     Child Loop BB108_15 Depth 2
                                        ;       Child Loop BB108_17 Depth 3
	v_lshlrev_b64 v[3:4], 3, v[1:2]
	s_mov_b32 s5, exec_lo
	s_delay_alu instid0(VALU_DEP_1) | instskip(NEXT) | instid1(VALU_DEP_2)
	v_add_co_u32 v3, vcc_lo, s6, v3
	v_add_co_ci_u32_e32 v4, vcc_lo, s7, v4, vcc_lo
	global_load_b64 v[3:4], v[3:4], off
	s_waitcnt vmcnt(0)
	v_sub_co_u32 v3, vcc_lo, v3, s20
	v_subrev_co_ci_u32_e32 v4, vcc_lo, 0, v4, vcc_lo
	s_delay_alu instid0(VALU_DEP_1) | instskip(NEXT) | instid1(VALU_DEP_1)
	v_lshlrev_b64 v[3:4], 3, v[3:4]
	v_add_co_u32 v3, vcc_lo, s10, v3
	s_delay_alu instid0(VALU_DEP_2)
	v_add_co_ci_u32_e32 v4, vcc_lo, s11, v4, vcc_lo
	global_load_b128 v[5:8], v[3:4], off
	s_waitcnt vmcnt(0)
	v_sub_co_u32 v3, vcc_lo, v7, s4
	v_subrev_co_ci_u32_e32 v4, vcc_lo, 0, v8, vcc_lo
	v_add_co_u32 v5, vcc_lo, v5, v17
	v_add_co_ci_u32_e32 v6, vcc_lo, v6, v18, vcc_lo
	s_delay_alu instid0(VALU_DEP_1)
	v_cmpx_lt_i64_e64 v[5:6], v[3:4]
	s_cbranch_execz .LBB108_11
; %bb.13:                               ;   in Loop: Header=BB108_12 Depth=1
	v_lshlrev_b64 v[7:8], 2, v[1:2]
	s_mov_b32 s21, 0
	s_delay_alu instid0(VALU_DEP_1) | instskip(NEXT) | instid1(VALU_DEP_2)
	v_add_co_u32 v7, vcc_lo, s8, v7
	v_add_co_ci_u32_e32 v8, vcc_lo, s9, v8, vcc_lo
	global_load_b32 v7, v[7:8], off
	s_waitcnt vmcnt(0)
	v_mul_f32_e32 v19, v16, v7
	s_branch .LBB108_15
.LBB108_14:                             ;   in Loop: Header=BB108_15 Depth=2
	s_or_b32 exec_lo, exec_lo, s38
	v_add_co_u32 v5, vcc_lo, v5, 64
	v_add_co_ci_u32_e32 v6, vcc_lo, 0, v6, vcc_lo
	s_delay_alu instid0(VALU_DEP_1) | instskip(SKIP_1) | instid1(SALU_CYCLE_1)
	v_cmp_ge_i64_e32 vcc_lo, v[5:6], v[3:4]
	s_or_b32 s21, vcc_lo, s21
	s_and_not1_b32 exec_lo, exec_lo, s21
	s_cbranch_execz .LBB108_11
.LBB108_15:                             ;   Parent Loop BB108_12 Depth=1
                                        ; =>  This Loop Header: Depth=2
                                        ;       Child Loop BB108_17 Depth 3
	v_lshlrev_b64 v[7:8], 3, v[5:6]
	v_lshlrev_b64 v[9:10], 2, v[5:6]
	s_mov_b32 s38, 0
	s_delay_alu instid0(VALU_DEP_2) | instskip(NEXT) | instid1(VALU_DEP_3)
	v_add_co_u32 v7, vcc_lo, s28, v7
	v_add_co_ci_u32_e32 v8, vcc_lo, s29, v8, vcc_lo
	s_delay_alu instid0(VALU_DEP_3) | instskip(NEXT) | instid1(VALU_DEP_4)
	v_add_co_u32 v9, vcc_lo, s30, v9
	v_add_co_ci_u32_e32 v10, vcc_lo, s31, v10, vcc_lo
	global_load_b64 v[7:8], v[7:8], off
	global_load_b32 v9, v[9:10], off
	s_waitcnt vmcnt(1)
	v_sub_co_u32 v7, vcc_lo, v7, s4
	v_subrev_co_ci_u32_e32 v8, vcc_lo, 0, v8, vcc_lo
	s_delay_alu instid0(VALU_DEP_2) | instskip(SKIP_1) | instid1(VALU_DEP_1)
	v_mul_lo_u32 v10, 0x89, v7
	s_waitcnt vmcnt(0)
	v_dual_mul_f32 v20, v19, v9 :: v_dual_and_b32 v21, 0x7fff, v10
	s_branch .LBB108_17
.LBB108_16:                             ;   in Loop: Header=BB108_17 Depth=3
	s_or_b32 exec_lo, exec_lo, s39
	s_xor_b32 s39, s40, -1
	s_delay_alu instid0(SALU_CYCLE_1) | instskip(NEXT) | instid1(SALU_CYCLE_1)
	s_and_b32 s39, exec_lo, s39
	s_or_b32 s38, s39, s38
	s_delay_alu instid0(SALU_CYCLE_1)
	s_and_not1_b32 exec_lo, exec_lo, s38
	s_cbranch_execz .LBB108_14
.LBB108_17:                             ;   Parent Loop BB108_12 Depth=1
                                        ;     Parent Loop BB108_15 Depth=2
                                        ; =>    This Inner Loop Header: Depth=3
	s_delay_alu instid0(VALU_DEP_1)
	v_lshl_add_u32 v22, v21, 3, 0
	s_mov_b32 s39, exec_lo
                                        ; implicit-def: $sgpr40
	ds_load_b64 v[9:10], v22
	s_waitcnt lgkmcnt(0)
	v_cmpx_ne_u64_e64 v[9:10], v[7:8]
	s_xor_b32 s39, exec_lo, s39
	s_cbranch_execz .LBB108_25
; %bb.18:                               ;   in Loop: Header=BB108_17 Depth=3
	s_mov_b32 s41, exec_lo
                                        ; implicit-def: $sgpr40
	v_cmpx_ne_u64_e64 s[34:35], v[9:10]
	s_xor_b32 s41, exec_lo, s41
; %bb.19:                               ;   in Loop: Header=BB108_17 Depth=3
	v_add_nc_u32_e32 v9, 1, v21
	s_mov_b32 s40, -1
                                        ; implicit-def: $vgpr22
	s_delay_alu instid0(VALU_DEP_1)
	v_and_b32_e32 v21, 0x7fff, v9
; %bb.20:                               ;   in Loop: Header=BB108_17 Depth=3
	s_and_not1_saveexec_b32 s41, s41
	s_cbranch_execz .LBB108_24
; %bb.21:                               ;   in Loop: Header=BB108_17 Depth=3
	v_dual_mov_b32 v9, s34 :: v_dual_mov_b32 v10, s35
	s_mov_b32 s42, -1
	s_mov_b32 s43, exec_lo
	ds_cmpstore_rtn_b64 v[9:10], v22, v[7:8], v[9:10]
	s_waitcnt lgkmcnt(0)
	v_cmpx_eq_u64_e64 s[34:35], v[9:10]
	s_cbranch_execz .LBB108_23
; %bb.22:                               ;   in Loop: Header=BB108_17 Depth=3
	v_lshlrev_b32_e32 v9, 2, v21
	s_xor_b32 s42, exec_lo, -1
	s_delay_alu instid0(VALU_DEP_1)
	v_add3_u32 v9, 0, v9, 0x40000
	ds_add_f32 v9, v20
.LBB108_23:                             ;   in Loop: Header=BB108_17 Depth=3
	s_or_b32 exec_lo, exec_lo, s43
	s_delay_alu instid0(SALU_CYCLE_1) | instskip(SKIP_1) | instid1(SALU_CYCLE_1)
	s_and_not1_b32 s40, s40, exec_lo
	s_and_b32 s42, s42, exec_lo
	s_or_b32 s40, s40, s42
.LBB108_24:                             ;   in Loop: Header=BB108_17 Depth=3
	s_or_b32 exec_lo, exec_lo, s41
	s_delay_alu instid0(SALU_CYCLE_1)
	s_and_b32 s40, s40, exec_lo
.LBB108_25:                             ;   in Loop: Header=BB108_17 Depth=3
	s_and_not1_saveexec_b32 s39, s39
	s_cbranch_execz .LBB108_16
; %bb.26:                               ;   in Loop: Header=BB108_17 Depth=3
	v_lshlrev_b32_e32 v9, 2, v21
	s_and_not1_b32 s40, s40, exec_lo
	s_delay_alu instid0(VALU_DEP_1)
	v_add3_u32 v9, 0, v9, 0x40000
	ds_add_f32 v9, v20
	s_branch .LBB108_16
.LBB108_27:
	s_or_b32 exec_lo, exec_lo, s2
.LBB108_28:
	s_delay_alu instid0(SALU_CYCLE_1)
	s_and_not1_b32 vcc_lo, exec_lo, s33
	s_cbranch_vccnz .LBB108_45
; %bb.29:
	s_waitcnt lgkmcnt(0)
	s_lshl_b64 s[0:1], s[36:37], 3
	v_sub_co_u32 v1, s4, v0, s23
	s_add_u32 s0, s12, s0
	s_addc_u32 s1, s13, s1
	v_sub_co_ci_u32_e64 v2, null, 0, 0, s4
	s_load_b128 s[0:3], s[0:1], 0x0
	s_waitcnt lgkmcnt(0)
	v_add_co_u32 v1, vcc_lo, s0, v1
	s_delay_alu instid0(VALU_DEP_2)
	v_add_co_ci_u32_e32 v2, vcc_lo, s1, v2, vcc_lo
	s_sub_u32 s0, s2, s23
	s_subb_u32 s1, s3, 0
	s_mov_b32 s2, 0
	s_mov_b32 s3, exec_lo
	v_cmpx_gt_i64_e64 s[0:1], v[1:2]
	s_cbranch_execz .LBB108_44
; %bb.30:
	s_mov_b32 s4, s23
	s_branch .LBB108_32
.LBB108_31:                             ;   in Loop: Header=BB108_32 Depth=1
	s_or_b32 exec_lo, exec_lo, s5
	v_add_co_u32 v1, vcc_lo, 0x400, v1
	v_add_co_ci_u32_e32 v2, vcc_lo, 0, v2, vcc_lo
	s_delay_alu instid0(VALU_DEP_1) | instskip(SKIP_1) | instid1(SALU_CYCLE_1)
	v_cmp_le_i64_e32 vcc_lo, s[0:1], v[1:2]
	s_or_b32 s2, vcc_lo, s2
	s_and_not1_b32 exec_lo, exec_lo, s2
	s_cbranch_execz .LBB108_44
.LBB108_32:                             ; =>This Loop Header: Depth=1
                                        ;     Child Loop BB108_34 Depth 2
	v_lshlrev_b64 v[3:4], 3, v[1:2]
	v_lshlrev_b64 v[5:6], 2, v[1:2]
	s_mov_b32 s5, 0
	s_delay_alu instid0(VALU_DEP_2) | instskip(NEXT) | instid1(VALU_DEP_3)
	v_add_co_u32 v3, vcc_lo, s14, v3
	v_add_co_ci_u32_e32 v4, vcc_lo, s15, v4, vcc_lo
	s_delay_alu instid0(VALU_DEP_3) | instskip(NEXT) | instid1(VALU_DEP_4)
	v_add_co_u32 v5, vcc_lo, s16, v5
	v_add_co_ci_u32_e32 v6, vcc_lo, s17, v6, vcc_lo
	global_load_b64 v[3:4], v[3:4], off
	global_load_b32 v5, v[5:6], off
	s_waitcnt vmcnt(1)
	v_sub_co_u32 v3, vcc_lo, v3, s4
	v_subrev_co_ci_u32_e32 v4, vcc_lo, 0, v4, vcc_lo
	s_delay_alu instid0(VALU_DEP_2) | instskip(SKIP_1) | instid1(VALU_DEP_1)
	v_mul_lo_u32 v6, 0x89, v3
	s_waitcnt vmcnt(0)
	v_dual_mul_f32 v7, v14, v5 :: v_dual_and_b32 v8, 0x7fff, v6
	s_branch .LBB108_34
.LBB108_33:                             ;   in Loop: Header=BB108_34 Depth=2
	s_or_b32 exec_lo, exec_lo, s6
	s_xor_b32 s6, s7, -1
	s_delay_alu instid0(SALU_CYCLE_1) | instskip(NEXT) | instid1(SALU_CYCLE_1)
	s_and_b32 s6, exec_lo, s6
	s_or_b32 s5, s6, s5
	s_delay_alu instid0(SALU_CYCLE_1)
	s_and_not1_b32 exec_lo, exec_lo, s5
	s_cbranch_execz .LBB108_31
.LBB108_34:                             ;   Parent Loop BB108_32 Depth=1
                                        ; =>  This Inner Loop Header: Depth=2
	s_delay_alu instid0(VALU_DEP_1)
	v_lshl_add_u32 v9, v8, 3, 0
	s_mov_b32 s6, exec_lo
                                        ; implicit-def: $sgpr7
	ds_load_b64 v[5:6], v9
	s_waitcnt lgkmcnt(0)
	v_cmpx_ne_u64_e64 v[5:6], v[3:4]
	s_xor_b32 s6, exec_lo, s6
	s_cbranch_execz .LBB108_42
; %bb.35:                               ;   in Loop: Header=BB108_34 Depth=2
	s_mov_b32 s8, exec_lo
                                        ; implicit-def: $sgpr7
	v_cmpx_ne_u64_e64 s[34:35], v[5:6]
	s_xor_b32 s8, exec_lo, s8
; %bb.36:                               ;   in Loop: Header=BB108_34 Depth=2
	v_add_nc_u32_e32 v5, 1, v8
	s_mov_b32 s7, -1
                                        ; implicit-def: $vgpr9
	s_delay_alu instid0(VALU_DEP_1)
	v_and_b32_e32 v8, 0x7fff, v5
; %bb.37:                               ;   in Loop: Header=BB108_34 Depth=2
	s_and_not1_saveexec_b32 s8, s8
	s_cbranch_execz .LBB108_41
; %bb.38:                               ;   in Loop: Header=BB108_34 Depth=2
	v_dual_mov_b32 v5, s34 :: v_dual_mov_b32 v6, s35
	s_mov_b32 s9, -1
	s_mov_b32 s10, exec_lo
	ds_cmpstore_rtn_b64 v[5:6], v9, v[3:4], v[5:6]
	s_waitcnt lgkmcnt(0)
	v_cmpx_eq_u64_e64 s[34:35], v[5:6]
	s_cbranch_execz .LBB108_40
; %bb.39:                               ;   in Loop: Header=BB108_34 Depth=2
	v_lshlrev_b32_e32 v5, 2, v8
	s_xor_b32 s9, exec_lo, -1
	s_delay_alu instid0(VALU_DEP_1)
	v_add3_u32 v5, 0, v5, 0x40000
	ds_add_f32 v5, v7
.LBB108_40:                             ;   in Loop: Header=BB108_34 Depth=2
	s_or_b32 exec_lo, exec_lo, s10
	s_delay_alu instid0(SALU_CYCLE_1) | instskip(SKIP_1) | instid1(SALU_CYCLE_1)
	s_and_not1_b32 s7, s7, exec_lo
	s_and_b32 s9, s9, exec_lo
	s_or_b32 s7, s7, s9
.LBB108_41:                             ;   in Loop: Header=BB108_34 Depth=2
	s_or_b32 exec_lo, exec_lo, s8
	s_delay_alu instid0(SALU_CYCLE_1)
	s_and_b32 s7, s7, exec_lo
.LBB108_42:                             ;   in Loop: Header=BB108_34 Depth=2
	s_and_not1_saveexec_b32 s6, s6
	s_cbranch_execz .LBB108_33
; %bb.43:                               ;   in Loop: Header=BB108_34 Depth=2
	v_lshlrev_b32_e32 v5, 2, v8
	s_and_not1_b32 s7, s7, exec_lo
	s_delay_alu instid0(VALU_DEP_1)
	v_add3_u32 v5, 0, v5, 0x40000
	ds_add_f32 v5, v7
	s_branch .LBB108_33
.LBB108_44:
	s_or_b32 exec_lo, exec_lo, s3
.LBB108_45:
	v_mbcnt_lo_u32_b32 v1, -1, 0
	v_dual_mov_b32 v5, 0 :: v_dual_lshlrev_b32 v2, 3, v15
	s_add_i32 s41, 0, 0x60078
	v_cmp_eq_u32_e32 vcc_lo, 0x3ff, v0
	s_delay_alu instid0(VALU_DEP_3) | instskip(NEXT) | instid1(VALU_DEP_3)
	v_xor_b32_e32 v1, 63, v1
	v_add3_u32 v10, 0, 0x60000, v2
	v_cmp_lt_u32_e64 s0, 63, v0
	v_cmp_lt_u32_e64 s1, 0x7f, v0
	;; [unrolled: 1-line block ×3, first 2 shown]
	v_lshrrev_b64 v[1:2], v1, -1
	v_mov_b32_e32 v2, 0
	v_cmp_lt_u32_e64 s3, 0xff, v0
	v_cmp_lt_u32_e64 s4, 0x13f, v0
	;; [unrolled: 1-line block ×12, first 2 shown]
	v_dual_mov_b32 v3, 0 :: v_dual_mov_b32 v14, s41
	s_mov_b32 s17, 0
	s_add_i32 s20, 0, 0x60000
	s_add_i32 s21, 0, 0x60008
	;; [unrolled: 1-line block ×15, first 2 shown]
	s_waitcnt lgkmcnt(0)
	s_barrier
	buffer_gl0_inv
	s_branch .LBB108_47
.LBB108_46:                             ;   in Loop: Header=BB108_47 Depth=1
	s_or_b32 exec_lo, exec_lo, s15
	s_waitcnt lgkmcnt(0)
	s_barrier
	buffer_gl0_inv
	ds_load_b64 v[6:7], v14
	v_add_nc_u32_e32 v13, 0x400, v13
	v_add_nc_u32_e32 v12, 0x1000, v12
	;; [unrolled: 1-line block ×3, first 2 shown]
	s_delay_alu instid0(VALU_DEP_3) | instskip(NEXT) | instid1(VALU_DEP_1)
	v_cmp_lt_u32_e64 s15, 0x7bff, v13
	s_or_b32 s17, s15, s17
	s_waitcnt lgkmcnt(0)
	v_add_co_u32 v2, s16, v6, v2
	s_delay_alu instid0(VALU_DEP_1)
	v_add_co_ci_u32_e64 v3, s16, v7, v3, s16
	s_and_not1_b32 exec_lo, exec_lo, s17
	s_cbranch_execz .LBB108_81
.LBB108_47:                             ; =>This Inner Loop Header: Depth=1
	ds_load_b64 v[6:7], v11
	ds_load_b32 v15, v12
	s_waitcnt lgkmcnt(0)
	s_barrier
	buffer_gl0_inv
	v_cmp_gt_i64_e64 s15, s[34:35], v[6:7]
	s_delay_alu instid0(VALU_DEP_1) | instskip(SKIP_1) | instid1(SALU_CYCLE_1)
	v_and_b32_e32 v8, s15, v1
	s_bcnt1_i32_b32 s16, s15
	v_mov_b32_e32 v4, s16
	s_delay_alu instid0(VALU_DEP_2)
	v_bcnt_u32_b32 v8, v8, 0
	ds_store_b64 v10, v[4:5]
	s_waitcnt lgkmcnt(0)
	s_barrier
	buffer_gl0_inv
	s_and_saveexec_b32 s16, s0
	s_cbranch_execnz .LBB108_64
; %bb.48:                               ;   in Loop: Header=BB108_47 Depth=1
	s_or_b32 exec_lo, exec_lo, s16
	s_and_saveexec_b32 s16, s1
	s_cbranch_execnz .LBB108_65
.LBB108_49:                             ;   in Loop: Header=BB108_47 Depth=1
	s_or_b32 exec_lo, exec_lo, s16
	s_and_saveexec_b32 s16, s2
	s_cbranch_execnz .LBB108_66
.LBB108_50:                             ;   in Loop: Header=BB108_47 Depth=1
	s_or_b32 exec_lo, exec_lo, s16
	s_and_saveexec_b32 s16, s3
	s_cbranch_execnz .LBB108_67
.LBB108_51:                             ;   in Loop: Header=BB108_47 Depth=1
	s_or_b32 exec_lo, exec_lo, s16
	s_and_saveexec_b32 s16, s4
	s_cbranch_execnz .LBB108_68
.LBB108_52:                             ;   in Loop: Header=BB108_47 Depth=1
	s_or_b32 exec_lo, exec_lo, s16
	s_and_saveexec_b32 s16, s5
	s_cbranch_execnz .LBB108_69
.LBB108_53:                             ;   in Loop: Header=BB108_47 Depth=1
	s_or_b32 exec_lo, exec_lo, s16
	s_and_saveexec_b32 s16, s6
	s_cbranch_execnz .LBB108_70
.LBB108_54:                             ;   in Loop: Header=BB108_47 Depth=1
	s_or_b32 exec_lo, exec_lo, s16
	s_and_saveexec_b32 s16, s7
	s_cbranch_execnz .LBB108_71
.LBB108_55:                             ;   in Loop: Header=BB108_47 Depth=1
	s_or_b32 exec_lo, exec_lo, s16
	s_and_saveexec_b32 s16, s8
	s_cbranch_execnz .LBB108_72
.LBB108_56:                             ;   in Loop: Header=BB108_47 Depth=1
	s_or_b32 exec_lo, exec_lo, s16
	s_and_saveexec_b32 s16, s9
	s_cbranch_execnz .LBB108_73
.LBB108_57:                             ;   in Loop: Header=BB108_47 Depth=1
	s_or_b32 exec_lo, exec_lo, s16
	s_and_saveexec_b32 s16, s10
	s_cbranch_execnz .LBB108_74
.LBB108_58:                             ;   in Loop: Header=BB108_47 Depth=1
	s_or_b32 exec_lo, exec_lo, s16
	s_and_saveexec_b32 s16, s11
	s_cbranch_execnz .LBB108_75
.LBB108_59:                             ;   in Loop: Header=BB108_47 Depth=1
	s_or_b32 exec_lo, exec_lo, s16
	s_and_saveexec_b32 s16, s12
	s_cbranch_execnz .LBB108_76
.LBB108_60:                             ;   in Loop: Header=BB108_47 Depth=1
	s_or_b32 exec_lo, exec_lo, s16
	s_and_saveexec_b32 s16, s13
	s_cbranch_execnz .LBB108_77
.LBB108_61:                             ;   in Loop: Header=BB108_47 Depth=1
	s_or_b32 exec_lo, exec_lo, s16
	s_and_saveexec_b32 s16, s14
	s_cbranch_execnz .LBB108_78
.LBB108_62:                             ;   in Loop: Header=BB108_47 Depth=1
	s_or_b32 exec_lo, exec_lo, s16
	v_ashrrev_i32_e32 v9, 31, v8
	s_and_saveexec_b32 s16, s15
	s_cbranch_execnz .LBB108_79
.LBB108_63:                             ;   in Loop: Header=BB108_47 Depth=1
	s_or_b32 exec_lo, exec_lo, s16
	s_and_saveexec_b32 s15, vcc_lo
	s_cbranch_execz .LBB108_46
	s_branch .LBB108_80
.LBB108_64:                             ;   in Loop: Header=BB108_47 Depth=1
	v_mov_b32_e32 v4, s20
	ds_load_b32 v4, v4
	s_waitcnt lgkmcnt(0)
	v_add_nc_u32_e32 v8, v4, v8
	s_or_b32 exec_lo, exec_lo, s16
	s_and_saveexec_b32 s16, s1
	s_cbranch_execz .LBB108_49
.LBB108_65:                             ;   in Loop: Header=BB108_47 Depth=1
	v_mov_b32_e32 v4, s21
	ds_load_b32 v4, v4
	s_waitcnt lgkmcnt(0)
	v_add_nc_u32_e32 v8, v8, v4
	s_or_b32 exec_lo, exec_lo, s16
	s_and_saveexec_b32 s16, s2
	s_cbranch_execz .LBB108_50
.LBB108_66:                             ;   in Loop: Header=BB108_47 Depth=1
	v_mov_b32_e32 v4, s23
	ds_load_b32 v4, v4
	s_waitcnt lgkmcnt(0)
	v_add_nc_u32_e32 v8, v8, v4
	s_or_b32 exec_lo, exec_lo, s16
	s_and_saveexec_b32 s16, s3
	s_cbranch_execz .LBB108_51
.LBB108_67:                             ;   in Loop: Header=BB108_47 Depth=1
	v_mov_b32_e32 v4, s28
	ds_load_b32 v4, v4
	s_waitcnt lgkmcnt(0)
	v_add_nc_u32_e32 v8, v8, v4
	s_or_b32 exec_lo, exec_lo, s16
	s_and_saveexec_b32 s16, s4
	s_cbranch_execz .LBB108_52
.LBB108_68:                             ;   in Loop: Header=BB108_47 Depth=1
	v_mov_b32_e32 v4, s29
	ds_load_b32 v4, v4
	s_waitcnt lgkmcnt(0)
	v_add_nc_u32_e32 v8, v8, v4
	s_or_b32 exec_lo, exec_lo, s16
	s_and_saveexec_b32 s16, s5
	s_cbranch_execz .LBB108_53
.LBB108_69:                             ;   in Loop: Header=BB108_47 Depth=1
	v_mov_b32_e32 v4, s30
	ds_load_b32 v4, v4
	s_waitcnt lgkmcnt(0)
	v_add_nc_u32_e32 v8, v8, v4
	s_or_b32 exec_lo, exec_lo, s16
	s_and_saveexec_b32 s16, s6
	s_cbranch_execz .LBB108_54
.LBB108_70:                             ;   in Loop: Header=BB108_47 Depth=1
	v_mov_b32_e32 v4, s31
	ds_load_b32 v4, v4
	s_waitcnt lgkmcnt(0)
	v_add_nc_u32_e32 v8, v8, v4
	s_or_b32 exec_lo, exec_lo, s16
	s_and_saveexec_b32 s16, s7
	s_cbranch_execz .LBB108_55
.LBB108_71:                             ;   in Loop: Header=BB108_47 Depth=1
	v_mov_b32_e32 v4, s33
	ds_load_b32 v4, v4
	s_waitcnt lgkmcnt(0)
	v_add_nc_u32_e32 v8, v8, v4
	s_or_b32 exec_lo, exec_lo, s16
	s_and_saveexec_b32 s16, s8
	s_cbranch_execz .LBB108_56
.LBB108_72:                             ;   in Loop: Header=BB108_47 Depth=1
	v_mov_b32_e32 v4, s38
	ds_load_b32 v4, v4
	s_waitcnt lgkmcnt(0)
	v_add_nc_u32_e32 v8, v8, v4
	s_or_b32 exec_lo, exec_lo, s16
	s_and_saveexec_b32 s16, s9
	s_cbranch_execz .LBB108_57
.LBB108_73:                             ;   in Loop: Header=BB108_47 Depth=1
	v_mov_b32_e32 v4, s39
	ds_load_b32 v4, v4
	s_waitcnt lgkmcnt(0)
	v_add_nc_u32_e32 v8, v8, v4
	s_or_b32 exec_lo, exec_lo, s16
	s_and_saveexec_b32 s16, s10
	s_cbranch_execz .LBB108_58
.LBB108_74:                             ;   in Loop: Header=BB108_47 Depth=1
	v_mov_b32_e32 v4, s40
	ds_load_b32 v4, v4
	s_waitcnt lgkmcnt(0)
	v_add_nc_u32_e32 v8, v8, v4
	s_or_b32 exec_lo, exec_lo, s16
	s_and_saveexec_b32 s16, s11
	s_cbranch_execz .LBB108_59
.LBB108_75:                             ;   in Loop: Header=BB108_47 Depth=1
	v_mov_b32_e32 v4, s42
	ds_load_b32 v4, v4
	s_waitcnt lgkmcnt(0)
	v_add_nc_u32_e32 v8, v8, v4
	s_or_b32 exec_lo, exec_lo, s16
	s_and_saveexec_b32 s16, s12
	s_cbranch_execz .LBB108_60
.LBB108_76:                             ;   in Loop: Header=BB108_47 Depth=1
	v_mov_b32_e32 v4, s43
	ds_load_b32 v4, v4
	s_waitcnt lgkmcnt(0)
	v_add_nc_u32_e32 v8, v8, v4
	s_or_b32 exec_lo, exec_lo, s16
	s_and_saveexec_b32 s16, s13
	s_cbranch_execz .LBB108_61
.LBB108_77:                             ;   in Loop: Header=BB108_47 Depth=1
	v_mov_b32_e32 v4, s44
	ds_load_b32 v4, v4
	s_waitcnt lgkmcnt(0)
	v_add_nc_u32_e32 v8, v8, v4
	s_or_b32 exec_lo, exec_lo, s16
	s_and_saveexec_b32 s16, s14
	s_cbranch_execz .LBB108_62
.LBB108_78:                             ;   in Loop: Header=BB108_47 Depth=1
	v_mov_b32_e32 v4, s45
	ds_load_b32 v4, v4
	s_waitcnt lgkmcnt(0)
	v_add_nc_u32_e32 v8, v8, v4
	s_or_b32 exec_lo, exec_lo, s16
	s_delay_alu instid0(VALU_DEP_1)
	v_ashrrev_i32_e32 v9, 31, v8
	s_and_saveexec_b32 s16, s15
	s_cbranch_execz .LBB108_63
.LBB108_79:                             ;   in Loop: Header=BB108_47 Depth=1
	v_add3_u32 v4, v2, -1, v8
	s_delay_alu instid0(VALU_DEP_1) | instskip(SKIP_1) | instid1(VALU_DEP_2)
	v_lshlrev_b32_e32 v16, 2, v4
	v_lshl_add_u32 v4, v4, 3, 0
	v_add3_u32 v16, 0, v16, 0x40000
	ds_store_b64 v4, v[6:7]
	ds_store_b32 v16, v15
	s_or_b32 exec_lo, exec_lo, s16
	s_and_saveexec_b32 s15, vcc_lo
	s_cbranch_execz .LBB108_46
.LBB108_80:                             ;   in Loop: Header=BB108_47 Depth=1
	v_mov_b32_e32 v4, s41
	ds_store_b64 v4, v[8:9]
	s_branch .LBB108_46
.LBB108_81:
	s_or_b32 exec_lo, exec_lo, s17
	s_lshl_b64 s[0:1], s[36:37], 3
	v_mov_b32_e32 v1, 0
	s_add_u32 s0, s18, s0
	s_addc_u32 s1, s19, s1
	s_mov_b32 s6, exec_lo
	s_load_b128 s[0:3], s[0:1], 0x0
	s_waitcnt lgkmcnt(0)
	s_sub_u32 s4, s2, s0
	s_subb_u32 s5, s3, s1
	s_delay_alu instid0(SALU_CYCLE_1)
	v_cmpx_gt_i64_e64 s[4:5], v[0:1]
	s_cbranch_execz .LBB108_91
; %bb.82:
	s_sub_u32 s8, s0, s22
	s_subb_u32 s9, s1, 0
	s_and_b32 s6, s4, 7
	s_sub_u32 s0, s0, s2
	s_subb_u32 s1, s1, s3
	s_mov_b32 s7, 0
	v_cmp_lt_u64_e64 s12, s[0:1], -7
	s_and_b32 s2, s4, -8
	s_cmp_lg_u64 s[6:7], 0
	s_mov_b32 s3, s5
	s_cselect_b32 s13, -1, 0
	s_mov_b32 s14, s7
	s_branch .LBB108_84
.LBB108_83:                             ;   in Loop: Header=BB108_84 Depth=1
	s_waitcnt lgkmcnt(1)
	v_add_co_u32 v2, vcc_lo, v2, s22
	v_lshlrev_b64 v[7:8], 3, v[4:5]
	v_add_co_ci_u32_e32 v3, vcc_lo, 0, v3, vcc_lo
	v_add_co_u32 v0, vcc_lo, 0x400, v0
	v_add_co_ci_u32_e32 v1, vcc_lo, 0, v1, vcc_lo
	v_lshlrev_b64 v[4:5], 2, v[4:5]
	v_add_co_u32 v7, vcc_lo, s24, v7
	v_add_co_ci_u32_e32 v8, vcc_lo, s25, v8, vcc_lo
	s_delay_alu instid0(VALU_DEP_4) | instskip(NEXT) | instid1(VALU_DEP_4)
	v_cmp_le_i64_e32 vcc_lo, s[4:5], v[0:1]
	v_add_co_u32 v4, s0, s26, v4
	s_delay_alu instid0(VALU_DEP_1) | instskip(SKIP_4) | instid1(SALU_CYCLE_1)
	v_add_co_ci_u32_e64 v5, s0, s27, v5, s0
	global_store_b64 v[7:8], v[2:3], off
	s_waitcnt lgkmcnt(0)
	global_store_b32 v[4:5], v6, off
	s_or_b32 s14, vcc_lo, s14
	s_and_not1_b32 exec_lo, exec_lo, s14
	s_cbranch_execz .LBB108_91
.LBB108_84:                             ; =>This Loop Header: Depth=1
                                        ;     Child Loop BB108_86 Depth 2
                                        ;     Child Loop BB108_90 Depth 2
	v_lshlrev_b32_e32 v2, 2, v0
	v_lshl_add_u32 v3, v0, 3, 0
	s_and_not1_b32 vcc_lo, exec_lo, s12
	s_mov_b64 s[0:1], 0
	s_delay_alu instid0(VALU_DEP_2)
	v_add3_u32 v4, 0, v2, 0x40000
	ds_load_b64 v[2:3], v3
	ds_load_b32 v6, v4
	v_dual_mov_b32 v4, s8 :: v_dual_mov_b32 v5, s9
	s_cbranch_vccnz .LBB108_88
; %bb.85:                               ;   in Loop: Header=BB108_84 Depth=1
	v_dual_mov_b32 v4, s8 :: v_dual_mov_b32 v5, s9
	s_mov_b64 s[10:11], 0
	s_mov_b32 s1, 0
.LBB108_86:                             ;   Parent Loop BB108_84 Depth=1
                                        ; =>  This Inner Loop Header: Depth=2
	s_delay_alu instid0(SALU_CYCLE_1)
	v_mov_b32_e32 v19, s1
	s_add_u32 s10, s10, 8
	s_addc_u32 s11, s11, 0
	s_add_i32 s1, s1, 64
	s_cmp_eq_u64 s[2:3], s[10:11]
	ds_load_2addr_b64 v[7:10], v19 offset1:1
	ds_load_2addr_b64 v[11:14], v19 offset0:2 offset1:3
	ds_load_2addr_b64 v[15:18], v19 offset0:4 offset1:5
	;; [unrolled: 1-line block ×3, first 2 shown]
	s_waitcnt lgkmcnt(3)
	v_cmp_gt_i64_e32 vcc_lo, v[2:3], v[7:8]
	v_cndmask_b32_e64 v7, 0, 1, vcc_lo
	v_cmp_gt_i64_e32 vcc_lo, v[2:3], v[9:10]
	v_cndmask_b32_e64 v8, 0, 1, vcc_lo
	s_waitcnt lgkmcnt(2)
	v_cmp_gt_i64_e32 vcc_lo, v[2:3], v[11:12]
	v_cndmask_b32_e64 v9, 0, 1, vcc_lo
	v_cmp_gt_i64_e32 vcc_lo, v[2:3], v[13:14]
	v_cndmask_b32_e64 v10, 0, 1, vcc_lo
	s_waitcnt lgkmcnt(1)
	v_cmp_gt_i64_e32 vcc_lo, v[2:3], v[15:16]
	v_cndmask_b32_e64 v11, 0, 1, vcc_lo
	v_add_co_u32 v4, vcc_lo, v4, v7
	v_add_co_ci_u32_e32 v5, vcc_lo, 0, v5, vcc_lo
	v_cmp_gt_i64_e32 vcc_lo, v[2:3], v[17:18]
	s_delay_alu instid0(VALU_DEP_3) | instskip(NEXT) | instid1(VALU_DEP_1)
	v_add_co_u32 v4, s0, v4, v8
	v_add_co_ci_u32_e64 v5, s0, 0, v5, s0
	v_cndmask_b32_e64 v7, 0, 1, vcc_lo
	s_delay_alu instid0(VALU_DEP_3) | instskip(NEXT) | instid1(VALU_DEP_3)
	v_add_co_u32 v4, vcc_lo, v4, v9
	v_add_co_ci_u32_e32 v5, vcc_lo, 0, v5, vcc_lo
	s_waitcnt lgkmcnt(0)
	v_cmp_gt_i64_e32 vcc_lo, v[2:3], v[19:20]
	s_delay_alu instid0(VALU_DEP_3) | instskip(NEXT) | instid1(VALU_DEP_1)
	v_add_co_u32 v4, s0, v4, v10
	v_add_co_ci_u32_e64 v5, s0, 0, v5, s0
	v_cndmask_b32_e64 v8, 0, 1, vcc_lo
	s_delay_alu instid0(VALU_DEP_3) | instskip(NEXT) | instid1(VALU_DEP_3)
	v_add_co_u32 v4, vcc_lo, v4, v11
	v_add_co_ci_u32_e32 v5, vcc_lo, 0, v5, vcc_lo
	v_cmp_gt_i64_e32 vcc_lo, v[2:3], v[21:22]
	s_delay_alu instid0(VALU_DEP_3) | instskip(NEXT) | instid1(VALU_DEP_1)
	v_add_co_u32 v4, s0, v4, v7
	v_add_co_ci_u32_e64 v5, s0, 0, v5, s0
	v_cndmask_b32_e64 v7, 0, 1, vcc_lo
	s_delay_alu instid0(VALU_DEP_3) | instskip(NEXT) | instid1(VALU_DEP_3)
	v_add_co_u32 v4, vcc_lo, v4, v8
	v_add_co_ci_u32_e32 v5, vcc_lo, 0, v5, vcc_lo
	s_delay_alu instid0(VALU_DEP_2) | instskip(NEXT) | instid1(VALU_DEP_2)
	v_add_co_u32 v4, vcc_lo, v4, v7
	v_add_co_ci_u32_e32 v5, vcc_lo, 0, v5, vcc_lo
	s_cbranch_scc0 .LBB108_86
; %bb.87:                               ;   in Loop: Header=BB108_84 Depth=1
	s_mov_b64 s[0:1], s[2:3]
.LBB108_88:                             ;   in Loop: Header=BB108_84 Depth=1
	s_and_not1_b32 vcc_lo, exec_lo, s13
	s_cbranch_vccnz .LBB108_83
; %bb.89:                               ;   in Loop: Header=BB108_84 Depth=1
	s_lshl_b32 s0, s0, 3
	s_delay_alu instid0(SALU_CYCLE_1)
	s_add_i32 s10, s0, 0
	s_mov_b64 s[0:1], s[6:7]
.LBB108_90:                             ;   Parent Loop BB108_84 Depth=1
                                        ; =>  This Inner Loop Header: Depth=2
	v_mov_b32_e32 v7, s10
	s_add_i32 s10, s10, 8
	s_add_u32 s0, s0, -1
	s_addc_u32 s1, s1, -1
	s_delay_alu instid0(SALU_CYCLE_1) | instskip(SKIP_4) | instid1(VALU_DEP_1)
	s_cmp_lg_u64 s[0:1], 0
	ds_load_b64 v[7:8], v7
	s_waitcnt lgkmcnt(0)
	v_cmp_gt_i64_e32 vcc_lo, v[2:3], v[7:8]
	v_cndmask_b32_e64 v7, 0, 1, vcc_lo
	v_add_co_u32 v4, vcc_lo, v4, v7
	v_add_co_ci_u32_e32 v5, vcc_lo, 0, v5, vcc_lo
	s_cbranch_scc1 .LBB108_90
	s_branch .LBB108_83
.LBB108_91:
	s_nop 0
	s_sendmsg sendmsg(MSG_DEALLOC_VGPRS)
	s_endpgm
	.section	.rodata,"a",@progbits
	.p2align	6, 0x0
	.amdhsa_kernel _ZN9rocsparseL26csrgemm_fill_block_per_rowILj1024ELj64ELj32768ELj137ELj64EllfEEvT5_PKS1_S3_NS_24const_host_device_scalarIT6_EEPKT4_S3_PKS5_S9_S3_SB_S6_S9_S3_SB_S9_PS1_PS5_21rocsparse_index_base_SE_SE_SE_bbb
		.amdhsa_group_segment_fixed_size 0
		.amdhsa_private_segment_fixed_size 0
		.amdhsa_kernarg_size 156
		.amdhsa_user_sgpr_count 15
		.amdhsa_user_sgpr_dispatch_ptr 0
		.amdhsa_user_sgpr_queue_ptr 0
		.amdhsa_user_sgpr_kernarg_segment_ptr 1
		.amdhsa_user_sgpr_dispatch_id 0
		.amdhsa_user_sgpr_private_segment_size 0
		.amdhsa_wavefront_size32 1
		.amdhsa_uses_dynamic_stack 0
		.amdhsa_enable_private_segment 0
		.amdhsa_system_sgpr_workgroup_id_x 1
		.amdhsa_system_sgpr_workgroup_id_y 0
		.amdhsa_system_sgpr_workgroup_id_z 0
		.amdhsa_system_sgpr_workgroup_info 0
		.amdhsa_system_vgpr_workitem_id 0
		.amdhsa_next_free_vgpr 23
		.amdhsa_next_free_sgpr 46
		.amdhsa_reserve_vcc 1
		.amdhsa_float_round_mode_32 0
		.amdhsa_float_round_mode_16_64 0
		.amdhsa_float_denorm_mode_32 3
		.amdhsa_float_denorm_mode_16_64 3
		.amdhsa_dx10_clamp 1
		.amdhsa_ieee_mode 1
		.amdhsa_fp16_overflow 0
		.amdhsa_workgroup_processor_mode 1
		.amdhsa_memory_ordered 1
		.amdhsa_forward_progress 0
		.amdhsa_shared_vgpr_count 0
		.amdhsa_exception_fp_ieee_invalid_op 0
		.amdhsa_exception_fp_denorm_src 0
		.amdhsa_exception_fp_ieee_div_zero 0
		.amdhsa_exception_fp_ieee_overflow 0
		.amdhsa_exception_fp_ieee_underflow 0
		.amdhsa_exception_fp_ieee_inexact 0
		.amdhsa_exception_int_div_zero 0
	.end_amdhsa_kernel
	.section	.text._ZN9rocsparseL26csrgemm_fill_block_per_rowILj1024ELj64ELj32768ELj137ELj64EllfEEvT5_PKS1_S3_NS_24const_host_device_scalarIT6_EEPKT4_S3_PKS5_S9_S3_SB_S6_S9_S3_SB_S9_PS1_PS5_21rocsparse_index_base_SE_SE_SE_bbb,"axG",@progbits,_ZN9rocsparseL26csrgemm_fill_block_per_rowILj1024ELj64ELj32768ELj137ELj64EllfEEvT5_PKS1_S3_NS_24const_host_device_scalarIT6_EEPKT4_S3_PKS5_S9_S3_SB_S6_S9_S3_SB_S9_PS1_PS5_21rocsparse_index_base_SE_SE_SE_bbb,comdat
.Lfunc_end108:
	.size	_ZN9rocsparseL26csrgemm_fill_block_per_rowILj1024ELj64ELj32768ELj137ELj64EllfEEvT5_PKS1_S3_NS_24const_host_device_scalarIT6_EEPKT4_S3_PKS5_S9_S3_SB_S6_S9_S3_SB_S9_PS1_PS5_21rocsparse_index_base_SE_SE_SE_bbb, .Lfunc_end108-_ZN9rocsparseL26csrgemm_fill_block_per_rowILj1024ELj64ELj32768ELj137ELj64EllfEEvT5_PKS1_S3_NS_24const_host_device_scalarIT6_EEPKT4_S3_PKS5_S9_S3_SB_S6_S9_S3_SB_S9_PS1_PS5_21rocsparse_index_base_SE_SE_SE_bbb
                                        ; -- End function
	.section	.AMDGPU.csdata,"",@progbits
; Kernel info:
; codeLenInByte = 3848
; NumSgprs: 48
; NumVgprs: 23
; ScratchSize: 0
; MemoryBound: 0
; FloatMode: 240
; IeeeMode: 1
; LDSByteSize: 0 bytes/workgroup (compile time only)
; SGPRBlocks: 5
; VGPRBlocks: 2
; NumSGPRsForWavesPerEU: 48
; NumVGPRsForWavesPerEU: 23
; Occupancy: 16
; WaveLimiterHint : 1
; COMPUTE_PGM_RSRC2:SCRATCH_EN: 0
; COMPUTE_PGM_RSRC2:USER_SGPR: 15
; COMPUTE_PGM_RSRC2:TRAP_HANDLER: 0
; COMPUTE_PGM_RSRC2:TGID_X_EN: 1
; COMPUTE_PGM_RSRC2:TGID_Y_EN: 0
; COMPUTE_PGM_RSRC2:TGID_Z_EN: 0
; COMPUTE_PGM_RSRC2:TIDIG_COMP_CNT: 0
	.section	.text._ZN9rocsparseL36csrgemm_fill_block_per_row_multipassILj512ELj16ELj2048ELj32EllfEEvT4_PKS1_S3_NS_24const_host_device_scalarIT5_EEPKT3_S3_PKS5_S9_S3_SB_S6_S9_S3_SB_S9_PS1_PS5_PS7_21rocsparse_index_base_SF_SF_SF_bbb,"axG",@progbits,_ZN9rocsparseL36csrgemm_fill_block_per_row_multipassILj512ELj16ELj2048ELj32EllfEEvT4_PKS1_S3_NS_24const_host_device_scalarIT5_EEPKT3_S3_PKS5_S9_S3_SB_S6_S9_S3_SB_S9_PS1_PS5_PS7_21rocsparse_index_base_SF_SF_SF_bbb,comdat
	.globl	_ZN9rocsparseL36csrgemm_fill_block_per_row_multipassILj512ELj16ELj2048ELj32EllfEEvT4_PKS1_S3_NS_24const_host_device_scalarIT5_EEPKT3_S3_PKS5_S9_S3_SB_S6_S9_S3_SB_S9_PS1_PS5_PS7_21rocsparse_index_base_SF_SF_SF_bbb ; -- Begin function _ZN9rocsparseL36csrgemm_fill_block_per_row_multipassILj512ELj16ELj2048ELj32EllfEEvT4_PKS1_S3_NS_24const_host_device_scalarIT5_EEPKT3_S3_PKS5_S9_S3_SB_S6_S9_S3_SB_S9_PS1_PS5_PS7_21rocsparse_index_base_SF_SF_SF_bbb
	.p2align	8
	.type	_ZN9rocsparseL36csrgemm_fill_block_per_row_multipassILj512ELj16ELj2048ELj32EllfEEvT4_PKS1_S3_NS_24const_host_device_scalarIT5_EEPKT3_S3_PKS5_S9_S3_SB_S6_S9_S3_SB_S9_PS1_PS5_PS7_21rocsparse_index_base_SF_SF_SF_bbb,@function
_ZN9rocsparseL36csrgemm_fill_block_per_row_multipassILj512ELj16ELj2048ELj32EllfEEvT4_PKS1_S3_NS_24const_host_device_scalarIT5_EEPKT3_S3_PKS5_S9_S3_SB_S6_S9_S3_SB_S9_PS1_PS5_PS7_21rocsparse_index_base_SF_SF_SF_bbb: ; @_ZN9rocsparseL36csrgemm_fill_block_per_row_multipassILj512ELj16ELj2048ELj32EllfEEvT4_PKS1_S3_NS_24const_host_device_scalarIT5_EEPKT3_S3_PKS5_S9_S3_SB_S6_S9_S3_SB_S9_PS1_PS5_PS7_21rocsparse_index_base_SF_SF_SF_bbb
; %bb.0:
	s_clause 0x4
	s_load_b32 s3, s[0:1], 0xa0
	s_load_b128 s[4:7], s[0:1], 0x8
	s_load_b64 s[8:9], s[0:1], 0x18
	s_load_b128 s[28:31], s[0:1], 0x90
	s_load_b64 s[10:11], s[0:1], 0x50
	s_mov_b32 s2, s15
	s_waitcnt lgkmcnt(0)
	s_bitcmp1_b32 s3, 0
	s_cselect_b32 s12, -1, 0
	s_bitcmp1_b32 s3, 16
	s_cselect_b32 s13, -1, 0
	s_xor_b32 s14, s12, -1
	s_delay_alu instid0(SALU_CYCLE_1) | instskip(NEXT) | instid1(SALU_CYCLE_1)
	s_or_b32 s14, s14, s13
	s_and_b32 vcc_lo, exec_lo, s14
	s_cbranch_vccnz .LBB109_2
; %bb.1:
	s_load_b32 s8, s[8:9], 0x0
	s_waitcnt lgkmcnt(0)
	v_mov_b32_e32 v32, s8
	s_branch .LBB109_3
.LBB109_2:
	v_cndmask_b32_e64 v32, 0, s8, s12
.LBB109_3:
	s_load_b64 s[8:9], s[0:1], 0x20
	s_bitcmp1_b32 s3, 8
	s_cselect_b32 s33, -1, 0
	s_delay_alu instid0(SALU_CYCLE_1) | instskip(NEXT) | instid1(SALU_CYCLE_1)
	s_xor_b32 s3, s33, -1
	s_or_b32 s3, s3, s13
	s_delay_alu instid0(SALU_CYCLE_1)
	s_and_b32 vcc_lo, exec_lo, s3
	s_cbranch_vccnz .LBB109_5
; %bb.4:
	s_load_b32 s3, s[10:11], 0x0
	s_waitcnt lgkmcnt(0)
	v_mov_b32_e32 v33, s3
	s_branch .LBB109_6
.LBB109_5:
	v_cndmask_b32_e64 v33, 0, s10, s33
.LBB109_6:
	s_load_b64 s[4:5], s[4:5], 0x0
	s_mov_b32 s3, 0
	s_mov_b64 s[34:35], 0
	s_waitcnt lgkmcnt(0)
	s_lshl_b64 s[4:5], s[4:5], 3
	s_delay_alu instid0(SALU_CYCLE_1) | instskip(SKIP_2) | instid1(SALU_CYCLE_1)
	s_add_u32 s4, s6, s4
	s_addc_u32 s5, s7, s5
	s_lshl_b64 s[2:3], s[2:3], 3
	s_add_u32 s2, s4, s2
	s_addc_u32 s3, s5, s3
	s_and_not1_b32 vcc_lo, exec_lo, s12
	s_load_b64 s[4:5], s[2:3], 0x0
	s_mov_b64 s[2:3], 0
	s_cbranch_vccz .LBB109_9
; %bb.7:
	s_and_not1_b32 vcc_lo, exec_lo, s12
	s_cbranch_vccz .LBB109_10
.LBB109_8:
	s_load_b64 s[48:49], s[0:1], 0x0
	s_waitcnt lgkmcnt(0)
	v_cmp_lt_i64_e64 s6, s[48:49], 1
	s_delay_alu instid0(VALU_DEP_1)
	s_and_b32 vcc_lo, exec_lo, s6
	s_cbranch_vccz .LBB109_11
	s_branch .LBB109_65
.LBB109_9:
	s_waitcnt lgkmcnt(0)
	s_lshl_b64 s[2:3], s[4:5], 3
	s_delay_alu instid0(SALU_CYCLE_1)
	s_add_u32 s2, s8, s2
	s_addc_u32 s3, s9, s3
	s_load_b64 s[2:3], s[2:3], 0x0
	s_waitcnt lgkmcnt(0)
	s_sub_u32 s2, s2, s28
	s_subb_u32 s3, s3, 0
	s_and_not1_b32 vcc_lo, exec_lo, s12
	s_cbranch_vccnz .LBB109_8
.LBB109_10:
	s_waitcnt lgkmcnt(0)
	s_lshl_b64 s[6:7], s[4:5], 3
	s_delay_alu instid0(SALU_CYCLE_1)
	s_add_u32 s6, s8, s6
	s_addc_u32 s7, s9, s7
	s_load_b64 s[6:7], s[6:7], 0x8
	s_waitcnt lgkmcnt(0)
	s_sub_u32 s34, s6, s28
	s_subb_u32 s35, s7, 0
	s_load_b64 s[48:49], s[0:1], 0x0
	s_waitcnt lgkmcnt(0)
	v_cmp_lt_i64_e64 s6, s[48:49], 1
	s_delay_alu instid0(VALU_DEP_1)
	s_and_b32 vcc_lo, exec_lo, s6
	s_cbranch_vccnz .LBB109_65
.LBB109_11:
	s_clause 0x4
	s_load_b256 s[20:27], s[0:1], 0x58
	s_load_b64 s[50:51], s[0:1], 0x88
	s_load_b128 s[44:47], s[0:1], 0x78
	s_load_b64 s[52:53], s[0:1], 0x48
	s_load_b256 s[36:43], s[0:1], 0x28
	v_mbcnt_lo_u32_b32 v3, -1, 0
	v_lshrrev_b32_e32 v1, 4, v0
	s_lshl_b64 s[4:5], s[4:5], 3
	v_sub_co_u32 v36, s1, v0, s31
	s_delay_alu instid0(VALU_DEP_3) | instskip(SKIP_3) | instid1(VALU_DEP_4)
	v_xor_b32_e32 v4, 8, v3
	v_sub_co_ci_u32_e64 v37, null, 0, 0, s1
	v_add_co_u32 v1, s1, s2, v1
	v_xor_b32_e32 v6, 4, v3
	v_cmp_gt_i32_e64 s2, 32, v4
	v_xor_b32_e32 v7, 2, v3
	v_xor_b32_e32 v8, 1, v3
	v_add_co_ci_u32_e64 v2, null, s3, 0, s1
	s_waitcnt lgkmcnt(0)
	s_add_u32 s6, s26, s4
	s_addc_u32 s7, s27, s5
	v_cndmask_b32_e64 v4, v3, v4, s2
	s_load_b64 s[6:7], s[6:7], 0x0
	v_cmp_gt_i32_e64 s2, 32, v6
	v_cmp_gt_i64_e32 vcc_lo, s[34:35], v[1:2]
	v_xor_b32_e32 v9, 63, v3
	v_lshrrev_b32_e32 v5, 3, v0
	v_dual_mov_b32 v35, 0 :: v_dual_and_b32 v34, 15, v0
	v_cndmask_b32_e64 v6, v3, v6, s2
	v_cmp_gt_i32_e64 s2, 32, v7
	s_mov_b32 s54, s31
	v_cmp_eq_u32_e64 s0, 0, v0
	v_lshlrev_b32_e32 v38, 2, v4
	v_cmp_gt_u32_e64 s3, 32, v0
	v_cndmask_b32_e64 v7, v3, v7, s2
	v_cmp_gt_i32_e64 s2, 32, v8
	v_cmp_gt_u32_e64 s8, 0xc0, v0
	v_cmp_gt_u32_e64 s9, 0xe0, v0
	;; [unrolled: 1-line block ×4, first 2 shown]
	v_cndmask_b32_e64 v3, v3, v8, s2
	s_waitcnt lgkmcnt(0)
	s_sub_u32 s18, s6, s30
	s_subb_u32 s19, s7, 0
	s_add_u32 s20, s20, s4
	s_addc_u32 s21, s21, s5
	s_and_b32 s31, s12, vcc_lo
	v_lshlrev_b32_e32 v41, 2, v3
	v_lshrrev_b64 v[3:4], v9, -1
	v_mov_b32_e32 v8, 0x800
	v_cmp_eq_u32_e64 s2, 0x1ff, v0
	v_cmp_gt_u32_e64 s4, 64, v0
	v_cmp_gt_u32_e64 s5, 0x60, v0
	;; [unrolled: 1-line block ×10, first 2 shown]
	s_add_u32 s55, s40, 8
	v_or_b32_e32 v43, 0xfffffe00, v0
	v_lshlrev_b32_e32 v44, 2, v0
	v_add_co_u32 v0, s26, v0, s30
	v_lshlrev_b32_e32 v39, 2, v6
	v_dual_mov_b32 v9, 0 :: v_dual_lshlrev_b32 v40, 2, v7
	v_and_b32_e32 v42, 60, v5
	s_addc_u32 s56, s41, 0
	v_mov_b32_e32 v6, 0
	v_dual_mov_b32 v4, s18 :: v_dual_mov_b32 v5, s19
	v_cmp_eq_u32_e64 s1, 15, v34
	s_add_u32 s44, s44, -8
	v_add_co_ci_u32_e64 v45, null, 0, 0, s26
	v_dual_mov_b32 v7, 0 :: v_dual_mov_b32 v46, 1
	s_addc_u32 s30, s45, -1
	s_add_u32 s45, s46, -4
	s_addc_u32 s46, s47, -1
	s_branch .LBB109_13
.LBB109_12:                             ;   in Loop: Header=BB109_13 Depth=1
	s_or_b32 exec_lo, exec_lo, s19
	ds_load_b64 v[6:7], v35 offset:10240
	s_waitcnt lgkmcnt(0)
	s_barrier
	buffer_gl0_inv
	v_cmp_le_i64_e32 vcc_lo, s[48:49], v[6:7]
	v_add_co_u32 v8, s18, 0x800, v6
	s_delay_alu instid0(VALU_DEP_1)
	v_add_co_ci_u32_e64 v9, s18, 0, v7, s18
	s_cbranch_vccnz .LBB109_65
.LBB109_13:                             ; =>This Loop Header: Depth=1
                                        ;     Child Loop BB109_14 Depth 2
                                        ;     Child Loop BB109_20 Depth 2
                                        ;       Child Loop BB109_28 Depth 3
                                        ;     Child Loop BB109_44 Depth 2
                                        ;     Child Loop BB109_56 Depth 2
	;; [unrolled: 1-line block ×3, first 2 shown]
	v_dual_mov_b32 v10, v44 :: v_dual_mov_b32 v11, v43
	s_mov_b32 s18, 0
.LBB109_14:                             ;   Parent Loop BB109_13 Depth=1
                                        ; =>  This Inner Loop Header: Depth=2
	ds_store_b8 v11, v35 offset:8704
	v_add_nc_u32_e32 v11, 0x200, v11
	ds_store_b32 v10, v35
	v_add_nc_u32_e32 v10, 0x800, v10
	v_cmp_lt_u32_e32 vcc_lo, 0x5ff, v11
	s_or_b32 s18, vcc_lo, s18
	s_delay_alu instid0(SALU_CYCLE_1)
	s_and_not1_b32 exec_lo, exec_lo, s18
	s_cbranch_execnz .LBB109_14
; %bb.15:                               ;   in Loop: Header=BB109_13 Depth=1
	s_or_b32 exec_lo, exec_lo, s18
	s_and_saveexec_b32 s18, s0
	s_cbranch_execz .LBB109_17
; %bb.16:                               ;   in Loop: Header=BB109_13 Depth=1
	v_dual_mov_b32 v10, s48 :: v_dual_mov_b32 v11, s49
	ds_store_b64 v35, v[10:11] offset:10240
.LBB109_17:                             ;   in Loop: Header=BB109_13 Depth=1
	s_or_b32 exec_lo, exec_lo, s18
	v_dual_mov_b32 v10, s48 :: v_dual_mov_b32 v11, s49
	s_waitcnt lgkmcnt(0)
	s_barrier
	buffer_gl0_inv
	s_and_saveexec_b32 s26, s31
	s_cbranch_execz .LBB109_40
; %bb.18:                               ;   in Loop: Header=BB109_13 Depth=1
	v_cmp_ne_u64_e64 s18, 0, v[6:7]
	v_dual_mov_b32 v10, s48 :: v_dual_mov_b32 v11, s49
	v_dual_mov_b32 v13, v2 :: v_dual_mov_b32 v12, v1
	s_mov_b32 s27, 0
	s_branch .LBB109_20
.LBB109_19:                             ;   in Loop: Header=BB109_20 Depth=2
	s_or_b32 exec_lo, exec_lo, s47
	v_add_co_u32 v12, vcc_lo, v12, 32
	v_add_co_ci_u32_e32 v13, vcc_lo, 0, v13, vcc_lo
	s_delay_alu instid0(VALU_DEP_1) | instskip(SKIP_1) | instid1(SALU_CYCLE_1)
	v_cmp_le_i64_e32 vcc_lo, s[34:35], v[12:13]
	s_or_b32 s27, vcc_lo, s27
	s_and_not1_b32 exec_lo, exec_lo, s27
	s_cbranch_execz .LBB109_39
.LBB109_20:                             ;   Parent Loop BB109_13 Depth=1
                                        ; =>  This Loop Header: Depth=2
                                        ;       Child Loop BB109_28 Depth 3
	s_delay_alu instid0(VALU_DEP_1) | instskip(SKIP_2) | instid1(VALU_DEP_2)
	v_lshlrev_b64 v[14:15], 3, v[12:13]
	v_lshlrev_b64 v[16:17], 2, v[12:13]
	s_waitcnt lgkmcnt(0)
	v_add_co_u32 v18, vcc_lo, s36, v14
	s_delay_alu instid0(VALU_DEP_3) | instskip(NEXT) | instid1(VALU_DEP_3)
	v_add_co_ci_u32_e32 v19, vcc_lo, s37, v15, vcc_lo
	v_add_co_u32 v16, vcc_lo, s38, v16
	s_delay_alu instid0(VALU_DEP_4)
	v_add_co_ci_u32_e32 v17, vcc_lo, s39, v17, vcc_lo
	s_and_b32 vcc_lo, exec_lo, s18
	global_load_b64 v[18:19], v[18:19], off
	global_load_b32 v20, v[16:17], off
	s_cbranch_vccz .LBB109_22
; %bb.21:                               ;   in Loop: Header=BB109_20 Depth=2
	v_add_co_u32 v16, vcc_lo, s50, v14
	v_add_co_ci_u32_e32 v17, vcc_lo, s51, v15, vcc_lo
	s_mov_b32 s19, 0
	global_load_b64 v[16:17], v[16:17], off
	s_branch .LBB109_23
.LBB109_22:                             ;   in Loop: Header=BB109_20 Depth=2
	s_mov_b32 s19, -1
                                        ; implicit-def: $vgpr16_vgpr17
.LBB109_23:                             ;   in Loop: Header=BB109_20 Depth=2
	s_waitcnt vmcnt(1)
	v_sub_co_u32 v18, vcc_lo, v18, s28
	v_subrev_co_ci_u32_e32 v19, vcc_lo, 0, v19, vcc_lo
	s_and_not1_b32 vcc_lo, exec_lo, s19
	s_delay_alu instid0(VALU_DEP_1)
	v_lshlrev_b64 v[18:19], 3, v[18:19]
	s_cbranch_vccnz .LBB109_25
; %bb.24:                               ;   in Loop: Header=BB109_20 Depth=2
	s_waitcnt vmcnt(0)
	s_delay_alu instid0(VALU_DEP_1) | instskip(NEXT) | instid1(VALU_DEP_2)
	v_add_co_u32 v16, vcc_lo, s40, v18
	v_add_co_ci_u32_e32 v17, vcc_lo, s41, v19, vcc_lo
	global_load_b64 v[16:17], v[16:17], off
	s_waitcnt vmcnt(0)
	v_sub_co_u32 v16, vcc_lo, v16, s29
	v_subrev_co_ci_u32_e32 v17, vcc_lo, 0, v17, vcc_lo
.LBB109_25:                             ;   in Loop: Header=BB109_20 Depth=2
	s_delay_alu instid0(VALU_DEP_1) | instskip(NEXT) | instid1(VALU_DEP_2)
	v_add_co_u32 v18, vcc_lo, s55, v18
	v_add_co_ci_u32_e32 v19, vcc_lo, s56, v19, vcc_lo
	s_mov_b32 s47, exec_lo
	global_load_b64 v[18:19], v[18:19], off
	s_waitcnt vmcnt(0)
	v_sub_co_u32 v18, vcc_lo, v18, s29
	v_subrev_co_ci_u32_e32 v19, vcc_lo, 0, v19, vcc_lo
	v_add_co_u32 v16, vcc_lo, v16, v34
	v_add_co_ci_u32_e32 v17, vcc_lo, 0, v17, vcc_lo
	s_delay_alu instid0(VALU_DEP_1)
	v_cmpx_lt_i64_e64 v[16:17], v[18:19]
	s_cbranch_execz .LBB109_37
; %bb.26:                               ;   in Loop: Header=BB109_20 Depth=2
	v_lshlrev_b64 v[21:22], 3, v[16:17]
	v_lshlrev_b64 v[23:24], 2, v[16:17]
	v_mul_f32_e32 v47, v32, v20
	v_dual_mov_b32 v27, v17 :: v_dual_mov_b32 v26, v16
	s_mov_b32 s58, 0
	s_delay_alu instid0(VALU_DEP_4)
	v_add_co_u32 v20, vcc_lo, s42, v21
	v_add_co_ci_u32_e32 v21, vcc_lo, s43, v22, vcc_lo
	v_add_co_u32 v22, vcc_lo, s52, v23
	v_add_co_ci_u32_e32 v23, vcc_lo, s53, v24, vcc_lo
                                        ; implicit-def: $sgpr57
                                        ; implicit-def: $sgpr59
	s_branch .LBB109_28
.LBB109_27:                             ;   in Loop: Header=BB109_28 Depth=3
	s_or_b32 exec_lo, exec_lo, s60
	s_delay_alu instid0(SALU_CYCLE_1) | instskip(SKIP_4) | instid1(SALU_CYCLE_1)
	s_and_b32 s19, exec_lo, s61
	v_dual_mov_b32 v26, v30 :: v_dual_mov_b32 v27, v31
	s_or_b32 s58, s19, s58
	s_and_not1_b32 s19, s57, exec_lo
	s_and_b32 s57, s59, exec_lo
	s_or_b32 s57, s19, s57
	s_and_not1_b32 exec_lo, exec_lo, s58
	s_cbranch_execz .LBB109_34
.LBB109_28:                             ;   Parent Loop BB109_13 Depth=1
                                        ;     Parent Loop BB109_20 Depth=2
                                        ; =>    This Inner Loop Header: Depth=3
	global_load_b64 v[24:25], v[20:21], off
	s_waitcnt vmcnt(0)
	v_sub_co_u32 v24, vcc_lo, v24, s29
	v_subrev_co_ci_u32_e32 v25, vcc_lo, 0, v25, vcc_lo
	s_delay_alu instid0(VALU_DEP_1)
	v_cmp_lt_i64_e32 vcc_lo, v[24:25], v[8:9]
	v_cmp_lt_i64_e64 s19, v[24:25], v[6:7]
	s_xor_b32 s60, vcc_lo, -1
	s_delay_alu instid0(VALU_DEP_1) | instid1(SALU_CYCLE_1)
	s_or_b32 s61, s19, s60
	s_mov_b32 s19, 0
                                        ; implicit-def: $sgpr60
	s_and_saveexec_b32 s62, s61
	s_delay_alu instid0(SALU_CYCLE_1)
	s_xor_b32 s61, exec_lo, s62
; %bb.29:                               ;   in Loop: Header=BB109_28 Depth=3
	s_mov_b32 s60, -1
	s_and_b32 s19, vcc_lo, exec_lo
; %bb.30:                               ;   in Loop: Header=BB109_28 Depth=3
	s_and_not1_saveexec_b32 s61, s61
	s_cbranch_execz .LBB109_32
; %bb.31:                               ;   in Loop: Header=BB109_28 Depth=3
	global_load_b32 v28, v[22:23], off
	v_sub_nc_u32_e32 v29, v24, v6
	s_or_b32 s19, s19, exec_lo
	s_delay_alu instid0(VALU_DEP_1)
	v_lshlrev_b32_e32 v30, 2, v29
	ds_store_b8 v29, v46 offset:8192
	s_waitcnt vmcnt(0)
	v_mul_f32_e32 v28, v47, v28
	ds_add_f32 v30, v28
.LBB109_32:                             ;   in Loop: Header=BB109_28 Depth=3
	s_or_b32 exec_lo, exec_lo, s61
	v_dual_mov_b32 v29, v27 :: v_dual_mov_b32 v28, v26
	s_and_not1_b32 s59, s59, exec_lo
	s_and_b32 s60, s60, exec_lo
	s_mov_b32 s61, -1
	s_or_b32 s59, s59, s60
                                        ; implicit-def: $vgpr30_vgpr31
	s_and_saveexec_b32 s60, s19
	s_cbranch_execz .LBB109_27
; %bb.33:                               ;   in Loop: Header=BB109_28 Depth=3
	v_add_co_u32 v30, vcc_lo, v26, 16
	v_add_co_ci_u32_e32 v31, vcc_lo, 0, v27, vcc_lo
	v_add_co_u32 v20, vcc_lo, 0x80, v20
	v_add_co_ci_u32_e32 v21, vcc_lo, 0, v21, vcc_lo
	s_delay_alu instid0(VALU_DEP_3) | instskip(SKIP_1) | instid1(VALU_DEP_1)
	v_cmp_ge_i64_e32 vcc_lo, v[30:31], v[18:19]
	v_add_co_u32 v22, s19, v22, 64
	v_add_co_ci_u32_e64 v23, s19, 0, v23, s19
	v_dual_mov_b32 v29, v27 :: v_dual_mov_b32 v28, v26
	s_and_not1_b32 s59, s59, exec_lo
	s_or_not1_b32 s61, vcc_lo, exec_lo
	s_branch .LBB109_27
.LBB109_34:                             ;   in Loop: Header=BB109_20 Depth=2
	s_or_b32 exec_lo, exec_lo, s58
	s_and_saveexec_b32 s19, s57
	s_delay_alu instid0(SALU_CYCLE_1)
	s_xor_b32 s19, exec_lo, s19
; %bb.35:                               ;   in Loop: Header=BB109_20 Depth=2
	v_cmp_lt_i64_e32 vcc_lo, v[24:25], v[10:11]
	v_dual_mov_b32 v16, v28 :: v_dual_mov_b32 v17, v29
	v_dual_cndmask_b32 v11, v11, v25 :: v_dual_cndmask_b32 v10, v10, v24
; %bb.36:                               ;   in Loop: Header=BB109_20 Depth=2
	s_or_b32 exec_lo, exec_lo, s19
.LBB109_37:                             ;   in Loop: Header=BB109_20 Depth=2
	s_delay_alu instid0(SALU_CYCLE_1)
	s_or_b32 exec_lo, exec_lo, s47
	ds_bpermute_b32 v18, v38, v16
	ds_bpermute_b32 v19, v38, v17
	s_waitcnt lgkmcnt(0)
	v_cmp_lt_i64_e32 vcc_lo, v[18:19], v[16:17]
	v_dual_cndmask_b32 v17, v17, v19 :: v_dual_cndmask_b32 v16, v16, v18
	ds_bpermute_b32 v19, v39, v17
	ds_bpermute_b32 v18, v39, v16
	s_waitcnt lgkmcnt(0)
	v_cmp_lt_i64_e32 vcc_lo, v[18:19], v[16:17]
	v_dual_cndmask_b32 v17, v17, v19 :: v_dual_cndmask_b32 v16, v16, v18
	;; [unrolled: 5-line block ×3, first 2 shown]
	ds_bpermute_b32 v19, v41, v17
	ds_bpermute_b32 v18, v41, v16
	s_and_saveexec_b32 s47, s1
	s_cbranch_execz .LBB109_19
; %bb.38:                               ;   in Loop: Header=BB109_20 Depth=2
	s_waitcnt lgkmcnt(0)
	v_cmp_lt_i64_e32 vcc_lo, v[18:19], v[16:17]
	v_add_co_u32 v14, s19, s50, v14
	s_delay_alu instid0(VALU_DEP_1)
	v_add_co_ci_u32_e64 v15, s19, s51, v15, s19
	v_dual_cndmask_b32 v17, v17, v19 :: v_dual_cndmask_b32 v16, v16, v18
	global_store_b64 v[14:15], v[16:17], off
	s_branch .LBB109_19
.LBB109_39:                             ;   in Loop: Header=BB109_13 Depth=1
	s_or_b32 exec_lo, exec_lo, s27
.LBB109_40:                             ;   in Loop: Header=BB109_13 Depth=1
	s_delay_alu instid0(SALU_CYCLE_1) | instskip(NEXT) | instid1(SALU_CYCLE_1)
	s_or_b32 exec_lo, exec_lo, s26
	s_and_not1_b32 vcc_lo, exec_lo, s33
	s_cbranch_vccnz .LBB109_54
; %bb.41:                               ;   in Loop: Header=BB109_13 Depth=1
	s_load_b128 s[60:63], s[20:21], 0x0
	s_mov_b32 s19, exec_lo
	s_waitcnt lgkmcnt(0)
	v_add_co_u32 v12, vcc_lo, s60, v36
	v_add_co_ci_u32_e32 v13, vcc_lo, s61, v37, vcc_lo
	s_sub_u32 s26, s62, s54
	s_subb_u32 s27, s63, 0
	s_delay_alu instid0(VALU_DEP_1) | instid1(SALU_CYCLE_1)
	v_cmpx_gt_i64_e64 s[26:27], v[12:13]
	s_cbranch_execz .LBB109_53
; %bb.42:                               ;   in Loop: Header=BB109_13 Depth=1
	v_lshlrev_b64 v[14:15], 3, v[12:13]
	v_lshlrev_b64 v[16:17], 2, v[12:13]
	s_mov_b32 s47, 0
                                        ; implicit-def: $sgpr57
                                        ; implicit-def: $sgpr58
	s_delay_alu instid0(VALU_DEP_2) | instskip(NEXT) | instid1(VALU_DEP_3)
	v_add_co_u32 v14, vcc_lo, s22, v14
	v_add_co_ci_u32_e32 v15, vcc_lo, s23, v15, vcc_lo
	s_delay_alu instid0(VALU_DEP_3) | instskip(NEXT) | instid1(VALU_DEP_4)
	v_add_co_u32 v16, vcc_lo, s24, v16
	v_add_co_ci_u32_e32 v17, vcc_lo, s25, v17, vcc_lo
	s_branch .LBB109_44
.LBB109_43:                             ;   in Loop: Header=BB109_44 Depth=2
	s_or_b32 exec_lo, exec_lo, s59
	s_delay_alu instid0(SALU_CYCLE_1) | instskip(NEXT) | instid1(SALU_CYCLE_1)
	s_and_b32 s18, exec_lo, s60
	s_or_b32 s47, s18, s47
	s_and_not1_b32 s18, s57, exec_lo
	s_and_b32 s57, s58, exec_lo
	s_delay_alu instid0(SALU_CYCLE_1)
	s_or_b32 s57, s18, s57
	s_and_not1_b32 exec_lo, exec_lo, s47
	s_cbranch_execz .LBB109_50
.LBB109_44:                             ;   Parent Loop BB109_13 Depth=1
                                        ; =>  This Inner Loop Header: Depth=2
	global_load_b64 v[18:19], v[14:15], off
	s_waitcnt vmcnt(0)
	v_sub_co_u32 v18, vcc_lo, v18, s54
	v_subrev_co_ci_u32_e32 v19, vcc_lo, 0, v19, vcc_lo
	s_delay_alu instid0(VALU_DEP_1)
	v_cmp_lt_i64_e32 vcc_lo, v[18:19], v[8:9]
	v_cmp_lt_i64_e64 s18, v[18:19], v[6:7]
	s_xor_b32 s59, vcc_lo, -1
	s_delay_alu instid0(VALU_DEP_1) | instid1(SALU_CYCLE_1)
	s_or_b32 s60, s18, s59
	s_mov_b32 s18, 0
                                        ; implicit-def: $sgpr59
	s_and_saveexec_b32 s61, s60
	s_delay_alu instid0(SALU_CYCLE_1)
	s_xor_b32 s60, exec_lo, s61
; %bb.45:                               ;   in Loop: Header=BB109_44 Depth=2
	s_mov_b32 s59, -1
	s_and_b32 s18, vcc_lo, exec_lo
; %bb.46:                               ;   in Loop: Header=BB109_44 Depth=2
	s_and_not1_saveexec_b32 s60, s60
	s_cbranch_execz .LBB109_48
; %bb.47:                               ;   in Loop: Header=BB109_44 Depth=2
	global_load_b32 v20, v[16:17], off
	v_sub_nc_u32_e32 v21, v18, v6
	s_or_b32 s18, s18, exec_lo
	s_delay_alu instid0(VALU_DEP_1)
	v_lshlrev_b32_e32 v22, 2, v21
	ds_store_b8 v21, v46 offset:8192
	s_waitcnt vmcnt(0)
	v_mul_f32_e32 v20, v33, v20
	ds_add_f32 v22, v20
.LBB109_48:                             ;   in Loop: Header=BB109_44 Depth=2
	s_or_b32 exec_lo, exec_lo, s60
	s_delay_alu instid0(SALU_CYCLE_1)
	s_and_not1_b32 s58, s58, exec_lo
	s_and_b32 s59, s59, exec_lo
	s_mov_b32 s60, -1
	s_or_b32 s58, s58, s59
	s_and_saveexec_b32 s59, s18
	s_cbranch_execz .LBB109_43
; %bb.49:                               ;   in Loop: Header=BB109_44 Depth=2
	v_add_co_u32 v12, vcc_lo, 0x200, v12
	v_add_co_ci_u32_e32 v13, vcc_lo, 0, v13, vcc_lo
	v_add_co_u32 v14, vcc_lo, 0x1000, v14
	v_add_co_ci_u32_e32 v15, vcc_lo, 0, v15, vcc_lo
	s_delay_alu instid0(VALU_DEP_3) | instskip(SKIP_1) | instid1(VALU_DEP_1)
	v_cmp_le_i64_e32 vcc_lo, s[26:27], v[12:13]
	v_add_co_u32 v16, s18, 0x800, v16
	v_add_co_ci_u32_e64 v17, s18, 0, v17, s18
	s_and_not1_b32 s58, s58, exec_lo
	s_or_not1_b32 s60, vcc_lo, exec_lo
	s_branch .LBB109_43
.LBB109_50:                             ;   in Loop: Header=BB109_13 Depth=1
	s_or_b32 exec_lo, exec_lo, s47
	s_and_saveexec_b32 s18, s57
	s_delay_alu instid0(SALU_CYCLE_1)
	s_xor_b32 s18, exec_lo, s18
; %bb.51:                               ;   in Loop: Header=BB109_13 Depth=1
	v_cmp_lt_i64_e32 vcc_lo, v[18:19], v[10:11]
	v_dual_cndmask_b32 v11, v11, v19 :: v_dual_cndmask_b32 v10, v10, v18
; %bb.52:                               ;   in Loop: Header=BB109_13 Depth=1
	s_or_b32 exec_lo, exec_lo, s18
.LBB109_53:                             ;   in Loop: Header=BB109_13 Depth=1
	s_delay_alu instid0(SALU_CYCLE_1)
	s_or_b32 exec_lo, exec_lo, s19
.LBB109_54:                             ;   in Loop: Header=BB109_13 Depth=1
	ds_bpermute_b32 v8, v38, v10
	ds_bpermute_b32 v9, v38, v11
	s_waitcnt lgkmcnt(0)
	v_cmp_lt_i64_e32 vcc_lo, v[8:9], v[10:11]
	v_dual_cndmask_b32 v9, v11, v9 :: v_dual_cndmask_b32 v8, v10, v8
	ds_bpermute_b32 v11, v39, v9
	ds_bpermute_b32 v10, v39, v8
	s_waitcnt lgkmcnt(0)
	v_cmp_lt_i64_e32 vcc_lo, v[10:11], v[8:9]
	v_dual_cndmask_b32 v9, v9, v11 :: v_dual_cndmask_b32 v8, v8, v10
	;; [unrolled: 5-line block ×3, first 2 shown]
	ds_bpermute_b32 v11, v41, v9
	ds_bpermute_b32 v10, v41, v8
	s_and_saveexec_b32 s26, s1
	s_cbranch_execz .LBB109_59
; %bb.55:                               ;   in Loop: Header=BB109_13 Depth=1
	s_waitcnt lgkmcnt(0)
	v_cmp_lt_i64_e32 vcc_lo, v[10:11], v[8:9]
	s_mov_b32 s27, exec_lo
	s_mov_b64 s[18:19], -1
	v_dual_cndmask_b32 v9, v9, v11 :: v_dual_cndmask_b32 v8, v8, v10
.LBB109_56:                             ;   Parent Loop BB109_13 Depth=1
                                        ; =>  This Inner Loop Header: Depth=2
	s_ctz_i32_b32 s47, s27
	s_delay_alu instid0(VALU_DEP_1) | instid1(SALU_CYCLE_1)
	v_readlane_b32 s59, v9, s47
	s_delay_alu instid0(VALU_DEP_2) | instskip(NEXT) | instid1(VALU_DEP_1)
	v_readlane_b32 s58, v8, s47
	v_cmp_lt_u64_e64 s57, s[18:19], s[58:59]
	s_delay_alu instid0(VALU_DEP_1) | instskip(SKIP_3) | instid1(SALU_CYCLE_1)
	s_and_b32 s57, s57, exec_lo
	s_cselect_b32 s19, s19, s59
	s_cselect_b32 s18, s18, s58
	s_lshl_b32 s47, 1, s47
	s_and_not1_b32 s27, s27, s47
	s_delay_alu instid0(SALU_CYCLE_1)
	s_cmp_lg_u32 s27, 0
	s_cbranch_scc1 .LBB109_56
; %bb.57:                               ;   in Loop: Header=BB109_13 Depth=1
	v_mbcnt_lo_u32_b32 v8, exec_lo, 0
	s_mov_b32 s27, exec_lo
	s_delay_alu instid0(VALU_DEP_1)
	v_cmpx_eq_u32_e32 0, v8
	s_xor_b32 s27, exec_lo, s27
	s_cbranch_execz .LBB109_59
; %bb.58:                               ;   in Loop: Header=BB109_13 Depth=1
	v_dual_mov_b32 v8, s18 :: v_dual_mov_b32 v9, s19
	ds_min_u64 v35, v[8:9] offset:10240
.LBB109_59:                             ;   in Loop: Header=BB109_13 Depth=1
	s_or_b32 exec_lo, exec_lo, s26
	v_add_co_u32 v6, vcc_lo, v0, v6
	v_add_co_ci_u32_e32 v7, vcc_lo, v45, v7, vcc_lo
	v_dual_mov_b32 v8, v44 :: v_dual_mov_b32 v9, v43
	s_mov_b32 s19, 0
	s_waitcnt lgkmcnt(0)
	s_waitcnt_vscnt null, 0x0
	s_barrier
	buffer_gl0_inv
	s_branch .LBB109_61
.LBB109_60:                             ;   in Loop: Header=BB109_61 Depth=2
	s_or_b32 exec_lo, exec_lo, s18
	s_waitcnt lgkmcnt(0)
	s_waitcnt_vscnt null, 0x0
	s_barrier
	buffer_gl0_inv
	ds_load_b32 v10, v35 offset:60
	v_add_nc_u32_e32 v9, 0x200, v9
	v_add_co_u32 v6, vcc_lo, 0x200, v6
	v_add_co_ci_u32_e32 v7, vcc_lo, 0, v7, vcc_lo
	s_delay_alu instid0(VALU_DEP_3)
	v_cmp_lt_u32_e32 vcc_lo, 0x5ff, v9
	v_add_nc_u32_e32 v8, 0x800, v8
	s_or_b32 s19, vcc_lo, s19
	s_waitcnt lgkmcnt(0)
	v_ashrrev_i32_e32 v11, 31, v10
	v_add_co_u32 v4, s18, v4, v10
	s_delay_alu instid0(VALU_DEP_1)
	v_add_co_ci_u32_e64 v5, s18, v5, v11, s18
	s_and_not1_b32 exec_lo, exec_lo, s19
	s_cbranch_execz .LBB109_12
.LBB109_61:                             ;   Parent Loop BB109_13 Depth=1
                                        ; =>  This Inner Loop Header: Depth=2
	ds_load_u8 v23, v9 offset:8704
	ds_load_b32 v10, v8
	s_waitcnt lgkmcnt(0)
	s_barrier
	buffer_gl0_inv
	v_cmp_ne_u16_e32 vcc_lo, 0, v23
	s_bcnt1_i32_b32 s18, vcc_lo
	s_delay_alu instid0(SALU_CYCLE_1)
	v_dual_mov_b32 v11, s18 :: v_dual_and_b32 v24, vcc_lo, v3
	s_mov_b32 s18, exec_lo
	ds_store_b32 v42, v11
	s_waitcnt lgkmcnt(0)
	s_barrier
	buffer_gl0_inv
	ds_load_b128 v[11:14], v35
	ds_load_b128 v[15:18], v35 offset:16
	ds_load_b128 v[19:22], v35 offset:32
	s_waitcnt lgkmcnt(2)
	v_cndmask_b32_e64 v11, v11, 0, s3
	v_cndmask_b32_e64 v25, v12, 0, s4
	;; [unrolled: 1-line block ×4, first 2 shown]
	s_waitcnt lgkmcnt(1)
	v_cndmask_b32_e64 v15, v15, 0, s7
	v_bcnt_u32_b32 v24, v24, v11
	ds_load_b96 v[11:13], v35 offset:48
	v_cndmask_b32_e64 v16, v16, 0, s8
	v_cndmask_b32_e64 v17, v17, 0, s9
	v_add3_u32 v24, v24, v25, v26
	s_delay_alu instid0(VALU_DEP_1) | instskip(SKIP_3) | instid1(VALU_DEP_3)
	v_add3_u32 v14, v24, v14, v15
	v_cndmask_b32_e64 v15, v18, 0, s10
	s_waitcnt lgkmcnt(1)
	v_cndmask_b32_e64 v18, v19, 0, s11
	v_add3_u32 v14, v14, v16, v17
	v_cndmask_b32_e64 v16, v20, 0, s12
	v_cndmask_b32_e64 v17, v21, 0, s13
	s_delay_alu instid0(VALU_DEP_3)
	v_add3_u32 v14, v14, v15, v18
	v_cndmask_b32_e64 v15, v22, 0, s14
	s_waitcnt lgkmcnt(0)
	v_cndmask_b32_e64 v11, v11, 0, s15
	v_cndmask_b32_e64 v12, v12, 0, s16
	;; [unrolled: 1-line block ×3, first 2 shown]
	v_add3_u32 v14, v14, v16, v17
	s_delay_alu instid0(VALU_DEP_1) | instskip(SKIP_1) | instid1(VALU_DEP_2)
	v_add3_u32 v11, v14, v15, v11
	v_and_b32_e32 v14, 1, v23
	v_add3_u32 v11, v11, v12, v13
	s_delay_alu instid0(VALU_DEP_2)
	v_cmpx_eq_u32_e32 1, v14
	s_cbranch_execz .LBB109_63
; %bb.62:                               ;   in Loop: Header=BB109_61 Depth=2
	s_delay_alu instid0(VALU_DEP_2) | instskip(SKIP_1) | instid1(VALU_DEP_2)
	v_ashrrev_i32_e32 v13, 31, v11
	v_add_co_u32 v12, vcc_lo, v4, v11
	v_add_co_ci_u32_e32 v13, vcc_lo, v5, v13, vcc_lo
	s_delay_alu instid0(VALU_DEP_1) | instskip(SKIP_1) | instid1(VALU_DEP_2)
	v_lshlrev_b64 v[14:15], 3, v[12:13]
	v_lshlrev_b64 v[12:13], 2, v[12:13]
	v_add_co_u32 v14, vcc_lo, s44, v14
	s_delay_alu instid0(VALU_DEP_3) | instskip(NEXT) | instid1(VALU_DEP_3)
	v_add_co_ci_u32_e32 v15, vcc_lo, s30, v15, vcc_lo
	v_add_co_u32 v12, vcc_lo, s45, v12
	s_delay_alu instid0(VALU_DEP_4)
	v_add_co_ci_u32_e32 v13, vcc_lo, s46, v13, vcc_lo
	global_store_b64 v[14:15], v[6:7], off
	global_store_b32 v[12:13], v10, off
.LBB109_63:                             ;   in Loop: Header=BB109_61 Depth=2
	s_or_b32 exec_lo, exec_lo, s18
	s_and_saveexec_b32 s18, s2
	s_cbranch_execz .LBB109_60
; %bb.64:                               ;   in Loop: Header=BB109_61 Depth=2
	ds_store_b32 v35, v11 offset:60
	s_branch .LBB109_60
.LBB109_65:
	s_endpgm
	.section	.rodata,"a",@progbits
	.p2align	6, 0x0
	.amdhsa_kernel _ZN9rocsparseL36csrgemm_fill_block_per_row_multipassILj512ELj16ELj2048ELj32EllfEEvT4_PKS1_S3_NS_24const_host_device_scalarIT5_EEPKT3_S3_PKS5_S9_S3_SB_S6_S9_S3_SB_S9_PS1_PS5_PS7_21rocsparse_index_base_SF_SF_SF_bbb
		.amdhsa_group_segment_fixed_size 10248
		.amdhsa_private_segment_fixed_size 0
		.amdhsa_kernarg_size 164
		.amdhsa_user_sgpr_count 15
		.amdhsa_user_sgpr_dispatch_ptr 0
		.amdhsa_user_sgpr_queue_ptr 0
		.amdhsa_user_sgpr_kernarg_segment_ptr 1
		.amdhsa_user_sgpr_dispatch_id 0
		.amdhsa_user_sgpr_private_segment_size 0
		.amdhsa_wavefront_size32 1
		.amdhsa_uses_dynamic_stack 0
		.amdhsa_enable_private_segment 0
		.amdhsa_system_sgpr_workgroup_id_x 1
		.amdhsa_system_sgpr_workgroup_id_y 0
		.amdhsa_system_sgpr_workgroup_id_z 0
		.amdhsa_system_sgpr_workgroup_info 0
		.amdhsa_system_vgpr_workitem_id 0
		.amdhsa_next_free_vgpr 48
		.amdhsa_next_free_sgpr 64
		.amdhsa_reserve_vcc 1
		.amdhsa_float_round_mode_32 0
		.amdhsa_float_round_mode_16_64 0
		.amdhsa_float_denorm_mode_32 3
		.amdhsa_float_denorm_mode_16_64 3
		.amdhsa_dx10_clamp 1
		.amdhsa_ieee_mode 1
		.amdhsa_fp16_overflow 0
		.amdhsa_workgroup_processor_mode 1
		.amdhsa_memory_ordered 1
		.amdhsa_forward_progress 0
		.amdhsa_shared_vgpr_count 0
		.amdhsa_exception_fp_ieee_invalid_op 0
		.amdhsa_exception_fp_denorm_src 0
		.amdhsa_exception_fp_ieee_div_zero 0
		.amdhsa_exception_fp_ieee_overflow 0
		.amdhsa_exception_fp_ieee_underflow 0
		.amdhsa_exception_fp_ieee_inexact 0
		.amdhsa_exception_int_div_zero 0
	.end_amdhsa_kernel
	.section	.text._ZN9rocsparseL36csrgemm_fill_block_per_row_multipassILj512ELj16ELj2048ELj32EllfEEvT4_PKS1_S3_NS_24const_host_device_scalarIT5_EEPKT3_S3_PKS5_S9_S3_SB_S6_S9_S3_SB_S9_PS1_PS5_PS7_21rocsparse_index_base_SF_SF_SF_bbb,"axG",@progbits,_ZN9rocsparseL36csrgemm_fill_block_per_row_multipassILj512ELj16ELj2048ELj32EllfEEvT4_PKS1_S3_NS_24const_host_device_scalarIT5_EEPKT3_S3_PKS5_S9_S3_SB_S6_S9_S3_SB_S9_PS1_PS5_PS7_21rocsparse_index_base_SF_SF_SF_bbb,comdat
.Lfunc_end109:
	.size	_ZN9rocsparseL36csrgemm_fill_block_per_row_multipassILj512ELj16ELj2048ELj32EllfEEvT4_PKS1_S3_NS_24const_host_device_scalarIT5_EEPKT3_S3_PKS5_S9_S3_SB_S6_S9_S3_SB_S9_PS1_PS5_PS7_21rocsparse_index_base_SF_SF_SF_bbb, .Lfunc_end109-_ZN9rocsparseL36csrgemm_fill_block_per_row_multipassILj512ELj16ELj2048ELj32EllfEEvT4_PKS1_S3_NS_24const_host_device_scalarIT5_EEPKT3_S3_PKS5_S9_S3_SB_S6_S9_S3_SB_S9_PS1_PS5_PS7_21rocsparse_index_base_SF_SF_SF_bbb
                                        ; -- End function
	.section	.AMDGPU.csdata,"",@progbits
; Kernel info:
; codeLenInByte = 3392
; NumSgprs: 66
; NumVgprs: 48
; ScratchSize: 0
; MemoryBound: 0
; FloatMode: 240
; IeeeMode: 1
; LDSByteSize: 10248 bytes/workgroup (compile time only)
; SGPRBlocks: 8
; VGPRBlocks: 5
; NumSGPRsForWavesPerEU: 66
; NumVGPRsForWavesPerEU: 48
; Occupancy: 16
; WaveLimiterHint : 1
; COMPUTE_PGM_RSRC2:SCRATCH_EN: 0
; COMPUTE_PGM_RSRC2:USER_SGPR: 15
; COMPUTE_PGM_RSRC2:TRAP_HANDLER: 0
; COMPUTE_PGM_RSRC2:TGID_X_EN: 1
; COMPUTE_PGM_RSRC2:TGID_Y_EN: 0
; COMPUTE_PGM_RSRC2:TGID_Z_EN: 0
; COMPUTE_PGM_RSRC2:TIDIG_COMP_CNT: 0
	.section	.text._ZN9rocsparseL36csrgemm_fill_block_per_row_multipassILj512ELj16ELj2048ELj64EllfEEvT4_PKS1_S3_NS_24const_host_device_scalarIT5_EEPKT3_S3_PKS5_S9_S3_SB_S6_S9_S3_SB_S9_PS1_PS5_PS7_21rocsparse_index_base_SF_SF_SF_bbb,"axG",@progbits,_ZN9rocsparseL36csrgemm_fill_block_per_row_multipassILj512ELj16ELj2048ELj64EllfEEvT4_PKS1_S3_NS_24const_host_device_scalarIT5_EEPKT3_S3_PKS5_S9_S3_SB_S6_S9_S3_SB_S9_PS1_PS5_PS7_21rocsparse_index_base_SF_SF_SF_bbb,comdat
	.globl	_ZN9rocsparseL36csrgemm_fill_block_per_row_multipassILj512ELj16ELj2048ELj64EllfEEvT4_PKS1_S3_NS_24const_host_device_scalarIT5_EEPKT3_S3_PKS5_S9_S3_SB_S6_S9_S3_SB_S9_PS1_PS5_PS7_21rocsparse_index_base_SF_SF_SF_bbb ; -- Begin function _ZN9rocsparseL36csrgemm_fill_block_per_row_multipassILj512ELj16ELj2048ELj64EllfEEvT4_PKS1_S3_NS_24const_host_device_scalarIT5_EEPKT3_S3_PKS5_S9_S3_SB_S6_S9_S3_SB_S9_PS1_PS5_PS7_21rocsparse_index_base_SF_SF_SF_bbb
	.p2align	8
	.type	_ZN9rocsparseL36csrgemm_fill_block_per_row_multipassILj512ELj16ELj2048ELj64EllfEEvT4_PKS1_S3_NS_24const_host_device_scalarIT5_EEPKT3_S3_PKS5_S9_S3_SB_S6_S9_S3_SB_S9_PS1_PS5_PS7_21rocsparse_index_base_SF_SF_SF_bbb,@function
_ZN9rocsparseL36csrgemm_fill_block_per_row_multipassILj512ELj16ELj2048ELj64EllfEEvT4_PKS1_S3_NS_24const_host_device_scalarIT5_EEPKT3_S3_PKS5_S9_S3_SB_S6_S9_S3_SB_S9_PS1_PS5_PS7_21rocsparse_index_base_SF_SF_SF_bbb: ; @_ZN9rocsparseL36csrgemm_fill_block_per_row_multipassILj512ELj16ELj2048ELj64EllfEEvT4_PKS1_S3_NS_24const_host_device_scalarIT5_EEPKT3_S3_PKS5_S9_S3_SB_S6_S9_S3_SB_S9_PS1_PS5_PS7_21rocsparse_index_base_SF_SF_SF_bbb
; %bb.0:
	s_clause 0x4
	s_load_b32 s3, s[0:1], 0xa0
	s_load_b128 s[4:7], s[0:1], 0x8
	s_load_b64 s[8:9], s[0:1], 0x18
	s_load_b128 s[28:31], s[0:1], 0x90
	s_load_b64 s[10:11], s[0:1], 0x50
	s_mov_b32 s2, s15
	s_waitcnt lgkmcnt(0)
	s_bitcmp1_b32 s3, 0
	s_cselect_b32 s47, -1, 0
	s_bitcmp1_b32 s3, 16
	s_cselect_b32 s12, -1, 0
	s_xor_b32 s13, s47, -1
	s_delay_alu instid0(SALU_CYCLE_1) | instskip(NEXT) | instid1(SALU_CYCLE_1)
	s_or_b32 s13, s13, s12
	s_and_b32 vcc_lo, exec_lo, s13
	s_cbranch_vccnz .LBB110_2
; %bb.1:
	s_load_b32 s8, s[8:9], 0x0
	s_waitcnt lgkmcnt(0)
	v_mov_b32_e32 v32, s8
	s_branch .LBB110_3
.LBB110_2:
	v_cndmask_b32_e64 v32, 0, s8, s47
.LBB110_3:
	s_load_b64 s[8:9], s[0:1], 0x20
	s_bitcmp1_b32 s3, 8
	s_cselect_b32 s33, -1, 0
	s_delay_alu instid0(SALU_CYCLE_1) | instskip(NEXT) | instid1(SALU_CYCLE_1)
	s_xor_b32 s3, s33, -1
	s_or_b32 s3, s3, s12
	s_delay_alu instid0(SALU_CYCLE_1)
	s_and_b32 vcc_lo, exec_lo, s3
	s_cbranch_vccnz .LBB110_5
; %bb.4:
	s_load_b32 s3, s[10:11], 0x0
	s_waitcnt lgkmcnt(0)
	v_mov_b32_e32 v33, s3
	s_branch .LBB110_6
.LBB110_5:
	v_cndmask_b32_e64 v33, 0, s10, s33
.LBB110_6:
	s_load_b64 s[4:5], s[4:5], 0x0
	s_mov_b32 s3, 0
	s_mov_b64 s[34:35], 0
	s_waitcnt lgkmcnt(0)
	s_lshl_b64 s[4:5], s[4:5], 3
	s_delay_alu instid0(SALU_CYCLE_1) | instskip(SKIP_2) | instid1(SALU_CYCLE_1)
	s_add_u32 s4, s6, s4
	s_addc_u32 s5, s7, s5
	s_lshl_b64 s[2:3], s[2:3], 3
	s_add_u32 s2, s4, s2
	s_addc_u32 s3, s5, s3
	s_and_not1_b32 vcc_lo, exec_lo, s47
	s_load_b64 s[4:5], s[2:3], 0x0
	s_mov_b64 s[2:3], 0
	s_cbranch_vccz .LBB110_9
; %bb.7:
	s_and_not1_b32 vcc_lo, exec_lo, s47
	s_cbranch_vccz .LBB110_10
.LBB110_8:
	s_load_b64 s[40:41], s[0:1], 0x0
	s_waitcnt lgkmcnt(0)
	v_cmp_lt_i64_e64 s6, s[40:41], 1
	s_delay_alu instid0(VALU_DEP_1)
	s_and_b32 vcc_lo, exec_lo, s6
	s_cbranch_vccz .LBB110_11
	s_branch .LBB110_65
.LBB110_9:
	s_waitcnt lgkmcnt(0)
	s_lshl_b64 s[2:3], s[4:5], 3
	s_delay_alu instid0(SALU_CYCLE_1)
	s_add_u32 s2, s8, s2
	s_addc_u32 s3, s9, s3
	s_load_b64 s[2:3], s[2:3], 0x0
	s_waitcnt lgkmcnt(0)
	s_sub_u32 s2, s2, s28
	s_subb_u32 s3, s3, 0
	s_and_not1_b32 vcc_lo, exec_lo, s47
	s_cbranch_vccnz .LBB110_8
.LBB110_10:
	s_waitcnt lgkmcnt(0)
	s_lshl_b64 s[6:7], s[4:5], 3
	s_delay_alu instid0(SALU_CYCLE_1)
	s_add_u32 s6, s8, s6
	s_addc_u32 s7, s9, s7
	s_load_b64 s[6:7], s[6:7], 0x8
	s_waitcnt lgkmcnt(0)
	s_sub_u32 s34, s6, s28
	s_subb_u32 s35, s7, 0
	s_load_b64 s[40:41], s[0:1], 0x0
	s_waitcnt lgkmcnt(0)
	v_cmp_lt_i64_e64 s6, s[40:41], 1
	s_delay_alu instid0(VALU_DEP_1)
	s_and_b32 vcc_lo, exec_lo, s6
	s_cbranch_vccnz .LBB110_65
.LBB110_11:
	s_clause 0x4
	s_load_b256 s[12:19], s[0:1], 0x58
	s_load_b64 s[42:43], s[0:1], 0x88
	s_load_b128 s[36:39], s[0:1], 0x78
	s_load_b64 s[44:45], s[0:1], 0x48
	s_load_b256 s[20:27], s[0:1], 0x28
	v_mbcnt_lo_u32_b32 v3, -1, 0
	v_lshrrev_b32_e32 v5, 4, v0
	s_lshl_b64 s[4:5], s[4:5], 3
	v_sub_co_u32 v36, s1, v0, s31
	s_delay_alu instid0(VALU_DEP_3) | instskip(SKIP_3) | instid1(VALU_DEP_4)
	v_xor_b32_e32 v4, 8, v3
	v_xor_b32_e32 v6, 4, v3
	v_sub_co_ci_u32_e64 v37, null, 0, 0, s1
	v_add_co_u32 v1, s1, s2, v5
	v_cmp_gt_i32_e32 vcc_lo, 32, v4
	v_add_co_ci_u32_e64 v2, null, s3, 0, s1
	v_xor_b32_e32 v7, 2, v3
	s_waitcnt lgkmcnt(0)
	s_add_u32 s6, s18, s4
	s_addc_u32 s7, s19, s5
	v_cndmask_b32_e32 v4, v3, v4, vcc_lo
	s_load_b64 s[2:3], s[6:7], 0x0
	v_cmp_gt_i32_e32 vcc_lo, 32, v6
	v_xor_b32_e32 v8, 1, v3
	v_xor_b32_e32 v9, 63, v3
	v_dual_mov_b32 v35, 0 :: v_dual_and_b32 v34, 15, v0
	v_cndmask_b32_e32 v6, v3, v6, vcc_lo
	v_cmp_gt_i32_e32 vcc_lo, 32, v7
	s_mov_b32 s46, s31
	v_cmp_eq_u32_e64 s0, 0, v0
	v_cmp_gt_u32_e64 s6, 0x100, v0
	v_cmp_gt_u32_e64 s7, 0x140, v0
	v_cndmask_b32_e32 v7, v3, v7, vcc_lo
	v_cmp_gt_i32_e32 vcc_lo, 32, v8
	v_cmp_gt_u32_e64 s8, 0x180, v0
	v_cmp_gt_u32_e64 s9, 0x1c0, v0
	v_or_b32_e32 v43, 0xfffffe00, v0
	v_lshlrev_b32_e32 v44, 2, v0
	v_cndmask_b32_e32 v3, v3, v8, vcc_lo
	v_cmp_gt_i64_e32 vcc_lo, s[34:35], v[1:2]
	s_waitcnt lgkmcnt(0)
	s_sub_u32 s10, s2, s30
	s_subb_u32 s11, s3, 0
	s_add_u32 s12, s12, s4
	s_addc_u32 s13, s13, s5
	v_lshlrev_b32_e32 v41, 2, v3
	s_and_b32 s31, s47, vcc_lo
	v_lshlrev_b32_e32 v39, 2, v6
	v_lshlrev_b32_e32 v38, 2, v4
	;; [unrolled: 1-line block ×3, first 2 shown]
	v_lshrrev_b64 v[3:4], v9, -1
	v_cmp_eq_u32_e64 s2, 0x1ff, v0
	v_cmp_gt_u32_e64 s3, 64, v0
	v_cmp_gt_u32_e64 s4, 0x80, v0
	;; [unrolled: 1-line block ×3, first 2 shown]
	s_add_u32 s47, s24, 8
	v_add_co_u32 v0, s18, v0, s30
	v_and_b32_e32 v42, 28, v5
	s_addc_u32 s48, s25, 0
	v_mov_b32_e32 v6, 0
	v_mov_b32_e32 v8, 0x800
	v_dual_mov_b32 v4, s10 :: v_dual_mov_b32 v5, s11
	v_cmp_eq_u32_e64 s1, 15, v34
	s_add_u32 s36, s36, -8
	v_add_co_ci_u32_e64 v45, null, 0, 0, s18
	v_mov_b32_e32 v7, 0
	v_dual_mov_b32 v9, 0 :: v_dual_mov_b32 v46, 1
	s_addc_u32 s30, s37, -1
	s_add_u32 s37, s38, -4
	s_addc_u32 s38, s39, -1
	s_branch .LBB110_13
.LBB110_12:                             ;   in Loop: Header=BB110_13 Depth=1
	s_or_b32 exec_lo, exec_lo, s11
	ds_load_b64 v[6:7], v35 offset:10240
	s_waitcnt lgkmcnt(0)
	s_barrier
	buffer_gl0_inv
	v_cmp_le_i64_e32 vcc_lo, s[40:41], v[6:7]
	v_add_co_u32 v8, s10, 0x800, v6
	s_delay_alu instid0(VALU_DEP_1)
	v_add_co_ci_u32_e64 v9, s10, 0, v7, s10
	s_cbranch_vccnz .LBB110_65
.LBB110_13:                             ; =>This Loop Header: Depth=1
                                        ;     Child Loop BB110_14 Depth 2
                                        ;     Child Loop BB110_20 Depth 2
                                        ;       Child Loop BB110_28 Depth 3
                                        ;     Child Loop BB110_44 Depth 2
                                        ;     Child Loop BB110_56 Depth 2
	;; [unrolled: 1-line block ×3, first 2 shown]
	v_dual_mov_b32 v10, v44 :: v_dual_mov_b32 v11, v43
	s_mov_b32 s10, 0
.LBB110_14:                             ;   Parent Loop BB110_13 Depth=1
                                        ; =>  This Inner Loop Header: Depth=2
	ds_store_b8 v11, v35 offset:8704
	v_add_nc_u32_e32 v11, 0x200, v11
	ds_store_b32 v10, v35
	v_add_nc_u32_e32 v10, 0x800, v10
	v_cmp_lt_u32_e32 vcc_lo, 0x5ff, v11
	s_or_b32 s10, vcc_lo, s10
	s_delay_alu instid0(SALU_CYCLE_1)
	s_and_not1_b32 exec_lo, exec_lo, s10
	s_cbranch_execnz .LBB110_14
; %bb.15:                               ;   in Loop: Header=BB110_13 Depth=1
	s_or_b32 exec_lo, exec_lo, s10
	s_and_saveexec_b32 s10, s0
	s_cbranch_execz .LBB110_17
; %bb.16:                               ;   in Loop: Header=BB110_13 Depth=1
	v_dual_mov_b32 v10, s40 :: v_dual_mov_b32 v11, s41
	ds_store_b64 v35, v[10:11] offset:10240
.LBB110_17:                             ;   in Loop: Header=BB110_13 Depth=1
	s_or_b32 exec_lo, exec_lo, s10
	v_dual_mov_b32 v10, s40 :: v_dual_mov_b32 v11, s41
	s_waitcnt lgkmcnt(0)
	s_barrier
	buffer_gl0_inv
	s_and_saveexec_b32 s18, s31
	s_cbranch_execz .LBB110_40
; %bb.18:                               ;   in Loop: Header=BB110_13 Depth=1
	v_cmp_ne_u64_e64 s10, 0, v[6:7]
	v_dual_mov_b32 v10, s40 :: v_dual_mov_b32 v11, s41
	v_dual_mov_b32 v13, v2 :: v_dual_mov_b32 v12, v1
	s_mov_b32 s19, 0
	s_branch .LBB110_20
.LBB110_19:                             ;   in Loop: Header=BB110_20 Depth=2
	s_or_b32 exec_lo, exec_lo, s39
	v_add_co_u32 v12, vcc_lo, v12, 32
	v_add_co_ci_u32_e32 v13, vcc_lo, 0, v13, vcc_lo
	s_delay_alu instid0(VALU_DEP_1) | instskip(SKIP_1) | instid1(SALU_CYCLE_1)
	v_cmp_le_i64_e32 vcc_lo, s[34:35], v[12:13]
	s_or_b32 s19, vcc_lo, s19
	s_and_not1_b32 exec_lo, exec_lo, s19
	s_cbranch_execz .LBB110_39
.LBB110_20:                             ;   Parent Loop BB110_13 Depth=1
                                        ; =>  This Loop Header: Depth=2
                                        ;       Child Loop BB110_28 Depth 3
	s_delay_alu instid0(VALU_DEP_1) | instskip(SKIP_2) | instid1(VALU_DEP_2)
	v_lshlrev_b64 v[14:15], 3, v[12:13]
	v_lshlrev_b64 v[16:17], 2, v[12:13]
	s_waitcnt lgkmcnt(0)
	v_add_co_u32 v18, vcc_lo, s20, v14
	s_delay_alu instid0(VALU_DEP_3) | instskip(NEXT) | instid1(VALU_DEP_3)
	v_add_co_ci_u32_e32 v19, vcc_lo, s21, v15, vcc_lo
	v_add_co_u32 v16, vcc_lo, s22, v16
	s_delay_alu instid0(VALU_DEP_4)
	v_add_co_ci_u32_e32 v17, vcc_lo, s23, v17, vcc_lo
	s_and_b32 vcc_lo, exec_lo, s10
	global_load_b64 v[18:19], v[18:19], off
	global_load_b32 v20, v[16:17], off
	s_cbranch_vccz .LBB110_22
; %bb.21:                               ;   in Loop: Header=BB110_20 Depth=2
	v_add_co_u32 v16, vcc_lo, s42, v14
	v_add_co_ci_u32_e32 v17, vcc_lo, s43, v15, vcc_lo
	s_mov_b32 s11, 0
	global_load_b64 v[16:17], v[16:17], off
	s_branch .LBB110_23
.LBB110_22:                             ;   in Loop: Header=BB110_20 Depth=2
	s_mov_b32 s11, -1
                                        ; implicit-def: $vgpr16_vgpr17
.LBB110_23:                             ;   in Loop: Header=BB110_20 Depth=2
	s_waitcnt vmcnt(1)
	v_sub_co_u32 v18, vcc_lo, v18, s28
	v_subrev_co_ci_u32_e32 v19, vcc_lo, 0, v19, vcc_lo
	s_and_not1_b32 vcc_lo, exec_lo, s11
	s_delay_alu instid0(VALU_DEP_1)
	v_lshlrev_b64 v[18:19], 3, v[18:19]
	s_cbranch_vccnz .LBB110_25
; %bb.24:                               ;   in Loop: Header=BB110_20 Depth=2
	s_waitcnt vmcnt(0)
	s_delay_alu instid0(VALU_DEP_1) | instskip(NEXT) | instid1(VALU_DEP_2)
	v_add_co_u32 v16, vcc_lo, s24, v18
	v_add_co_ci_u32_e32 v17, vcc_lo, s25, v19, vcc_lo
	global_load_b64 v[16:17], v[16:17], off
	s_waitcnt vmcnt(0)
	v_sub_co_u32 v16, vcc_lo, v16, s29
	v_subrev_co_ci_u32_e32 v17, vcc_lo, 0, v17, vcc_lo
.LBB110_25:                             ;   in Loop: Header=BB110_20 Depth=2
	s_delay_alu instid0(VALU_DEP_1) | instskip(NEXT) | instid1(VALU_DEP_2)
	v_add_co_u32 v18, vcc_lo, s47, v18
	v_add_co_ci_u32_e32 v19, vcc_lo, s48, v19, vcc_lo
	s_mov_b32 s39, exec_lo
	global_load_b64 v[18:19], v[18:19], off
	s_waitcnt vmcnt(0)
	v_sub_co_u32 v18, vcc_lo, v18, s29
	v_subrev_co_ci_u32_e32 v19, vcc_lo, 0, v19, vcc_lo
	v_add_co_u32 v16, vcc_lo, v16, v34
	v_add_co_ci_u32_e32 v17, vcc_lo, 0, v17, vcc_lo
	s_delay_alu instid0(VALU_DEP_1)
	v_cmpx_lt_i64_e64 v[16:17], v[18:19]
	s_cbranch_execz .LBB110_37
; %bb.26:                               ;   in Loop: Header=BB110_20 Depth=2
	v_lshlrev_b64 v[21:22], 3, v[16:17]
	v_lshlrev_b64 v[23:24], 2, v[16:17]
	v_mul_f32_e32 v47, v32, v20
	v_dual_mov_b32 v27, v17 :: v_dual_mov_b32 v26, v16
	s_mov_b32 s50, 0
	s_delay_alu instid0(VALU_DEP_4)
	v_add_co_u32 v20, vcc_lo, s26, v21
	v_add_co_ci_u32_e32 v21, vcc_lo, s27, v22, vcc_lo
	v_add_co_u32 v22, vcc_lo, s44, v23
	v_add_co_ci_u32_e32 v23, vcc_lo, s45, v24, vcc_lo
                                        ; implicit-def: $sgpr49
                                        ; implicit-def: $sgpr51
	s_branch .LBB110_28
.LBB110_27:                             ;   in Loop: Header=BB110_28 Depth=3
	s_or_b32 exec_lo, exec_lo, s52
	s_delay_alu instid0(SALU_CYCLE_1) | instskip(SKIP_4) | instid1(SALU_CYCLE_1)
	s_and_b32 s11, exec_lo, s53
	v_dual_mov_b32 v26, v30 :: v_dual_mov_b32 v27, v31
	s_or_b32 s50, s11, s50
	s_and_not1_b32 s11, s49, exec_lo
	s_and_b32 s49, s51, exec_lo
	s_or_b32 s49, s11, s49
	s_and_not1_b32 exec_lo, exec_lo, s50
	s_cbranch_execz .LBB110_34
.LBB110_28:                             ;   Parent Loop BB110_13 Depth=1
                                        ;     Parent Loop BB110_20 Depth=2
                                        ; =>    This Inner Loop Header: Depth=3
	global_load_b64 v[24:25], v[20:21], off
	s_waitcnt vmcnt(0)
	v_sub_co_u32 v24, vcc_lo, v24, s29
	v_subrev_co_ci_u32_e32 v25, vcc_lo, 0, v25, vcc_lo
	s_delay_alu instid0(VALU_DEP_1)
	v_cmp_lt_i64_e32 vcc_lo, v[24:25], v[8:9]
	v_cmp_lt_i64_e64 s11, v[24:25], v[6:7]
	s_xor_b32 s52, vcc_lo, -1
	s_delay_alu instid0(VALU_DEP_1) | instid1(SALU_CYCLE_1)
	s_or_b32 s53, s11, s52
	s_mov_b32 s11, 0
                                        ; implicit-def: $sgpr52
	s_and_saveexec_b32 s54, s53
	s_delay_alu instid0(SALU_CYCLE_1)
	s_xor_b32 s53, exec_lo, s54
; %bb.29:                               ;   in Loop: Header=BB110_28 Depth=3
	s_mov_b32 s52, -1
	s_and_b32 s11, vcc_lo, exec_lo
; %bb.30:                               ;   in Loop: Header=BB110_28 Depth=3
	s_and_not1_saveexec_b32 s53, s53
	s_cbranch_execz .LBB110_32
; %bb.31:                               ;   in Loop: Header=BB110_28 Depth=3
	global_load_b32 v28, v[22:23], off
	v_sub_nc_u32_e32 v29, v24, v6
	s_or_b32 s11, s11, exec_lo
	s_delay_alu instid0(VALU_DEP_1)
	v_lshlrev_b32_e32 v30, 2, v29
	ds_store_b8 v29, v46 offset:8192
	s_waitcnt vmcnt(0)
	v_mul_f32_e32 v28, v47, v28
	ds_add_f32 v30, v28
.LBB110_32:                             ;   in Loop: Header=BB110_28 Depth=3
	s_or_b32 exec_lo, exec_lo, s53
	v_dual_mov_b32 v29, v27 :: v_dual_mov_b32 v28, v26
	s_and_not1_b32 s51, s51, exec_lo
	s_and_b32 s52, s52, exec_lo
	s_mov_b32 s53, -1
	s_or_b32 s51, s51, s52
                                        ; implicit-def: $vgpr30_vgpr31
	s_and_saveexec_b32 s52, s11
	s_cbranch_execz .LBB110_27
; %bb.33:                               ;   in Loop: Header=BB110_28 Depth=3
	v_add_co_u32 v30, vcc_lo, v26, 16
	v_add_co_ci_u32_e32 v31, vcc_lo, 0, v27, vcc_lo
	v_add_co_u32 v20, vcc_lo, 0x80, v20
	v_add_co_ci_u32_e32 v21, vcc_lo, 0, v21, vcc_lo
	s_delay_alu instid0(VALU_DEP_3) | instskip(SKIP_1) | instid1(VALU_DEP_1)
	v_cmp_ge_i64_e32 vcc_lo, v[30:31], v[18:19]
	v_add_co_u32 v22, s11, v22, 64
	v_add_co_ci_u32_e64 v23, s11, 0, v23, s11
	v_dual_mov_b32 v29, v27 :: v_dual_mov_b32 v28, v26
	s_and_not1_b32 s51, s51, exec_lo
	s_or_not1_b32 s53, vcc_lo, exec_lo
	s_branch .LBB110_27
.LBB110_34:                             ;   in Loop: Header=BB110_20 Depth=2
	s_or_b32 exec_lo, exec_lo, s50
	s_and_saveexec_b32 s11, s49
	s_delay_alu instid0(SALU_CYCLE_1)
	s_xor_b32 s11, exec_lo, s11
; %bb.35:                               ;   in Loop: Header=BB110_20 Depth=2
	v_cmp_lt_i64_e32 vcc_lo, v[24:25], v[10:11]
	v_dual_mov_b32 v16, v28 :: v_dual_mov_b32 v17, v29
	v_dual_cndmask_b32 v11, v11, v25 :: v_dual_cndmask_b32 v10, v10, v24
; %bb.36:                               ;   in Loop: Header=BB110_20 Depth=2
	s_or_b32 exec_lo, exec_lo, s11
.LBB110_37:                             ;   in Loop: Header=BB110_20 Depth=2
	s_delay_alu instid0(SALU_CYCLE_1)
	s_or_b32 exec_lo, exec_lo, s39
	ds_bpermute_b32 v18, v38, v16
	ds_bpermute_b32 v19, v38, v17
	s_waitcnt lgkmcnt(0)
	v_cmp_lt_i64_e32 vcc_lo, v[18:19], v[16:17]
	v_dual_cndmask_b32 v17, v17, v19 :: v_dual_cndmask_b32 v16, v16, v18
	ds_bpermute_b32 v19, v39, v17
	ds_bpermute_b32 v18, v39, v16
	s_waitcnt lgkmcnt(0)
	v_cmp_lt_i64_e32 vcc_lo, v[18:19], v[16:17]
	v_dual_cndmask_b32 v17, v17, v19 :: v_dual_cndmask_b32 v16, v16, v18
	;; [unrolled: 5-line block ×3, first 2 shown]
	ds_bpermute_b32 v19, v41, v17
	ds_bpermute_b32 v18, v41, v16
	s_and_saveexec_b32 s39, s1
	s_cbranch_execz .LBB110_19
; %bb.38:                               ;   in Loop: Header=BB110_20 Depth=2
	s_waitcnt lgkmcnt(0)
	v_cmp_lt_i64_e32 vcc_lo, v[18:19], v[16:17]
	v_add_co_u32 v14, s11, s42, v14
	s_delay_alu instid0(VALU_DEP_1)
	v_add_co_ci_u32_e64 v15, s11, s43, v15, s11
	v_dual_cndmask_b32 v17, v17, v19 :: v_dual_cndmask_b32 v16, v16, v18
	global_store_b64 v[14:15], v[16:17], off
	s_branch .LBB110_19
.LBB110_39:                             ;   in Loop: Header=BB110_13 Depth=1
	s_or_b32 exec_lo, exec_lo, s19
.LBB110_40:                             ;   in Loop: Header=BB110_13 Depth=1
	s_delay_alu instid0(SALU_CYCLE_1) | instskip(NEXT) | instid1(SALU_CYCLE_1)
	s_or_b32 exec_lo, exec_lo, s18
	s_and_not1_b32 vcc_lo, exec_lo, s33
	s_cbranch_vccnz .LBB110_54
; %bb.41:                               ;   in Loop: Header=BB110_13 Depth=1
	s_load_b128 s[52:55], s[12:13], 0x0
	s_mov_b32 s11, exec_lo
	s_waitcnt lgkmcnt(0)
	v_add_co_u32 v12, vcc_lo, s52, v36
	v_add_co_ci_u32_e32 v13, vcc_lo, s53, v37, vcc_lo
	s_sub_u32 s18, s54, s46
	s_subb_u32 s19, s55, 0
	s_delay_alu instid0(VALU_DEP_1) | instid1(SALU_CYCLE_1)
	v_cmpx_gt_i64_e64 s[18:19], v[12:13]
	s_cbranch_execz .LBB110_53
; %bb.42:                               ;   in Loop: Header=BB110_13 Depth=1
	v_lshlrev_b64 v[14:15], 3, v[12:13]
	v_lshlrev_b64 v[16:17], 2, v[12:13]
	s_mov_b32 s39, 0
                                        ; implicit-def: $sgpr49
                                        ; implicit-def: $sgpr50
	s_delay_alu instid0(VALU_DEP_2) | instskip(NEXT) | instid1(VALU_DEP_3)
	v_add_co_u32 v14, vcc_lo, s14, v14
	v_add_co_ci_u32_e32 v15, vcc_lo, s15, v15, vcc_lo
	s_delay_alu instid0(VALU_DEP_3) | instskip(NEXT) | instid1(VALU_DEP_4)
	v_add_co_u32 v16, vcc_lo, s16, v16
	v_add_co_ci_u32_e32 v17, vcc_lo, s17, v17, vcc_lo
	s_branch .LBB110_44
.LBB110_43:                             ;   in Loop: Header=BB110_44 Depth=2
	s_or_b32 exec_lo, exec_lo, s51
	s_delay_alu instid0(SALU_CYCLE_1) | instskip(NEXT) | instid1(SALU_CYCLE_1)
	s_and_b32 s10, exec_lo, s52
	s_or_b32 s39, s10, s39
	s_and_not1_b32 s10, s49, exec_lo
	s_and_b32 s49, s50, exec_lo
	s_delay_alu instid0(SALU_CYCLE_1)
	s_or_b32 s49, s10, s49
	s_and_not1_b32 exec_lo, exec_lo, s39
	s_cbranch_execz .LBB110_50
.LBB110_44:                             ;   Parent Loop BB110_13 Depth=1
                                        ; =>  This Inner Loop Header: Depth=2
	global_load_b64 v[18:19], v[14:15], off
	s_waitcnt vmcnt(0)
	v_sub_co_u32 v18, vcc_lo, v18, s46
	v_subrev_co_ci_u32_e32 v19, vcc_lo, 0, v19, vcc_lo
	s_delay_alu instid0(VALU_DEP_1)
	v_cmp_lt_i64_e32 vcc_lo, v[18:19], v[8:9]
	v_cmp_lt_i64_e64 s10, v[18:19], v[6:7]
	s_xor_b32 s51, vcc_lo, -1
	s_delay_alu instid0(VALU_DEP_1) | instid1(SALU_CYCLE_1)
	s_or_b32 s52, s10, s51
	s_mov_b32 s10, 0
                                        ; implicit-def: $sgpr51
	s_and_saveexec_b32 s53, s52
	s_delay_alu instid0(SALU_CYCLE_1)
	s_xor_b32 s52, exec_lo, s53
; %bb.45:                               ;   in Loop: Header=BB110_44 Depth=2
	s_mov_b32 s51, -1
	s_and_b32 s10, vcc_lo, exec_lo
; %bb.46:                               ;   in Loop: Header=BB110_44 Depth=2
	s_and_not1_saveexec_b32 s52, s52
	s_cbranch_execz .LBB110_48
; %bb.47:                               ;   in Loop: Header=BB110_44 Depth=2
	global_load_b32 v20, v[16:17], off
	v_sub_nc_u32_e32 v21, v18, v6
	s_or_b32 s10, s10, exec_lo
	s_delay_alu instid0(VALU_DEP_1)
	v_lshlrev_b32_e32 v22, 2, v21
	ds_store_b8 v21, v46 offset:8192
	s_waitcnt vmcnt(0)
	v_mul_f32_e32 v20, v33, v20
	ds_add_f32 v22, v20
.LBB110_48:                             ;   in Loop: Header=BB110_44 Depth=2
	s_or_b32 exec_lo, exec_lo, s52
	s_delay_alu instid0(SALU_CYCLE_1)
	s_and_not1_b32 s50, s50, exec_lo
	s_and_b32 s51, s51, exec_lo
	s_mov_b32 s52, -1
	s_or_b32 s50, s50, s51
	s_and_saveexec_b32 s51, s10
	s_cbranch_execz .LBB110_43
; %bb.49:                               ;   in Loop: Header=BB110_44 Depth=2
	v_add_co_u32 v12, vcc_lo, 0x200, v12
	v_add_co_ci_u32_e32 v13, vcc_lo, 0, v13, vcc_lo
	v_add_co_u32 v14, vcc_lo, 0x1000, v14
	v_add_co_ci_u32_e32 v15, vcc_lo, 0, v15, vcc_lo
	s_delay_alu instid0(VALU_DEP_3) | instskip(SKIP_1) | instid1(VALU_DEP_1)
	v_cmp_le_i64_e32 vcc_lo, s[18:19], v[12:13]
	v_add_co_u32 v16, s10, 0x800, v16
	v_add_co_ci_u32_e64 v17, s10, 0, v17, s10
	s_and_not1_b32 s50, s50, exec_lo
	s_or_not1_b32 s52, vcc_lo, exec_lo
	s_branch .LBB110_43
.LBB110_50:                             ;   in Loop: Header=BB110_13 Depth=1
	s_or_b32 exec_lo, exec_lo, s39
	s_and_saveexec_b32 s10, s49
	s_delay_alu instid0(SALU_CYCLE_1)
	s_xor_b32 s10, exec_lo, s10
; %bb.51:                               ;   in Loop: Header=BB110_13 Depth=1
	v_cmp_lt_i64_e32 vcc_lo, v[18:19], v[10:11]
	v_dual_cndmask_b32 v11, v11, v19 :: v_dual_cndmask_b32 v10, v10, v18
; %bb.52:                               ;   in Loop: Header=BB110_13 Depth=1
	s_or_b32 exec_lo, exec_lo, s10
.LBB110_53:                             ;   in Loop: Header=BB110_13 Depth=1
	s_delay_alu instid0(SALU_CYCLE_1)
	s_or_b32 exec_lo, exec_lo, s11
.LBB110_54:                             ;   in Loop: Header=BB110_13 Depth=1
	ds_bpermute_b32 v8, v38, v10
	ds_bpermute_b32 v9, v38, v11
	s_waitcnt lgkmcnt(0)
	v_cmp_lt_i64_e32 vcc_lo, v[8:9], v[10:11]
	v_dual_cndmask_b32 v9, v11, v9 :: v_dual_cndmask_b32 v8, v10, v8
	ds_bpermute_b32 v11, v39, v9
	ds_bpermute_b32 v10, v39, v8
	s_waitcnt lgkmcnt(0)
	v_cmp_lt_i64_e32 vcc_lo, v[10:11], v[8:9]
	v_dual_cndmask_b32 v9, v9, v11 :: v_dual_cndmask_b32 v8, v8, v10
	;; [unrolled: 5-line block ×3, first 2 shown]
	ds_bpermute_b32 v11, v41, v9
	ds_bpermute_b32 v10, v41, v8
	s_and_saveexec_b32 s18, s1
	s_cbranch_execz .LBB110_59
; %bb.55:                               ;   in Loop: Header=BB110_13 Depth=1
	s_waitcnt lgkmcnt(0)
	v_cmp_lt_i64_e32 vcc_lo, v[10:11], v[8:9]
	s_mov_b32 s19, exec_lo
	s_mov_b64 s[10:11], -1
	v_dual_cndmask_b32 v9, v9, v11 :: v_dual_cndmask_b32 v8, v8, v10
.LBB110_56:                             ;   Parent Loop BB110_13 Depth=1
                                        ; =>  This Inner Loop Header: Depth=2
	s_ctz_i32_b32 s39, s19
	s_delay_alu instid0(VALU_DEP_1) | instid1(SALU_CYCLE_1)
	v_readlane_b32 s51, v9, s39
	s_delay_alu instid0(VALU_DEP_2) | instskip(NEXT) | instid1(VALU_DEP_1)
	v_readlane_b32 s50, v8, s39
	v_cmp_lt_u64_e64 s49, s[10:11], s[50:51]
	s_delay_alu instid0(VALU_DEP_1) | instskip(SKIP_3) | instid1(SALU_CYCLE_1)
	s_and_b32 s49, s49, exec_lo
	s_cselect_b32 s11, s11, s51
	s_cselect_b32 s10, s10, s50
	s_lshl_b32 s39, 1, s39
	s_and_not1_b32 s19, s19, s39
	s_delay_alu instid0(SALU_CYCLE_1)
	s_cmp_lg_u32 s19, 0
	s_cbranch_scc1 .LBB110_56
; %bb.57:                               ;   in Loop: Header=BB110_13 Depth=1
	v_mbcnt_lo_u32_b32 v8, exec_lo, 0
	s_mov_b32 s19, exec_lo
	s_delay_alu instid0(VALU_DEP_1)
	v_cmpx_eq_u32_e32 0, v8
	s_xor_b32 s19, exec_lo, s19
	s_cbranch_execz .LBB110_59
; %bb.58:                               ;   in Loop: Header=BB110_13 Depth=1
	v_dual_mov_b32 v8, s10 :: v_dual_mov_b32 v9, s11
	ds_min_u64 v35, v[8:9] offset:10240
.LBB110_59:                             ;   in Loop: Header=BB110_13 Depth=1
	s_or_b32 exec_lo, exec_lo, s18
	v_add_co_u32 v6, vcc_lo, v0, v6
	v_add_co_ci_u32_e32 v7, vcc_lo, v45, v7, vcc_lo
	v_dual_mov_b32 v8, v44 :: v_dual_mov_b32 v9, v43
	s_mov_b32 s11, 0
	s_waitcnt lgkmcnt(0)
	s_waitcnt_vscnt null, 0x0
	s_barrier
	buffer_gl0_inv
	s_branch .LBB110_61
.LBB110_60:                             ;   in Loop: Header=BB110_61 Depth=2
	s_or_b32 exec_lo, exec_lo, s10
	s_waitcnt lgkmcnt(0)
	s_waitcnt_vscnt null, 0x0
	s_barrier
	buffer_gl0_inv
	ds_load_b32 v10, v35 offset:28
	v_add_nc_u32_e32 v9, 0x200, v9
	v_add_co_u32 v6, vcc_lo, 0x200, v6
	v_add_co_ci_u32_e32 v7, vcc_lo, 0, v7, vcc_lo
	s_delay_alu instid0(VALU_DEP_3)
	v_cmp_lt_u32_e32 vcc_lo, 0x5ff, v9
	v_add_nc_u32_e32 v8, 0x800, v8
	s_or_b32 s11, vcc_lo, s11
	s_waitcnt lgkmcnt(0)
	v_ashrrev_i32_e32 v11, 31, v10
	v_add_co_u32 v4, s10, v4, v10
	s_delay_alu instid0(VALU_DEP_1)
	v_add_co_ci_u32_e64 v5, s10, v5, v11, s10
	s_and_not1_b32 exec_lo, exec_lo, s11
	s_cbranch_execz .LBB110_12
.LBB110_61:                             ;   Parent Loop BB110_13 Depth=1
                                        ; =>  This Inner Loop Header: Depth=2
	ds_load_u8 v18, v9 offset:8704
	ds_load_b32 v10, v8
	s_waitcnt lgkmcnt(0)
	s_barrier
	buffer_gl0_inv
	v_cmp_ne_u16_e32 vcc_lo, 0, v18
	s_bcnt1_i32_b32 s10, vcc_lo
	v_and_b32_e32 v19, vcc_lo, v3
	v_mov_b32_e32 v11, s10
	s_mov_b32 s10, exec_lo
	ds_store_b32 v42, v11
	s_waitcnt lgkmcnt(0)
	s_barrier
	buffer_gl0_inv
	ds_load_b128 v[11:14], v35
	ds_load_b96 v[15:17], v35 offset:16
	s_waitcnt lgkmcnt(1)
	v_cndmask_b32_e64 v11, v11, 0, s3
	v_cndmask_b32_e64 v12, v12, 0, s4
	;; [unrolled: 1-line block ×4, first 2 shown]
	s_waitcnt lgkmcnt(0)
	v_cndmask_b32_e64 v15, v15, 0, s7
	v_bcnt_u32_b32 v11, v19, v11
	s_delay_alu instid0(VALU_DEP_1) | instskip(SKIP_2) | instid1(VALU_DEP_3)
	v_add3_u32 v11, v11, v12, v13
	v_cndmask_b32_e64 v12, v16, 0, s8
	v_cndmask_b32_e64 v13, v17, 0, s9
	v_add3_u32 v11, v11, v14, v15
	v_and_b32_e32 v14, 1, v18
	s_delay_alu instid0(VALU_DEP_2) | instskip(NEXT) | instid1(VALU_DEP_2)
	v_add3_u32 v11, v11, v12, v13
	v_cmpx_eq_u32_e32 1, v14
	s_cbranch_execz .LBB110_63
; %bb.62:                               ;   in Loop: Header=BB110_61 Depth=2
	s_delay_alu instid0(VALU_DEP_2) | instskip(SKIP_1) | instid1(VALU_DEP_2)
	v_ashrrev_i32_e32 v13, 31, v11
	v_add_co_u32 v12, vcc_lo, v4, v11
	v_add_co_ci_u32_e32 v13, vcc_lo, v5, v13, vcc_lo
	s_delay_alu instid0(VALU_DEP_1) | instskip(SKIP_1) | instid1(VALU_DEP_2)
	v_lshlrev_b64 v[14:15], 3, v[12:13]
	v_lshlrev_b64 v[12:13], 2, v[12:13]
	v_add_co_u32 v14, vcc_lo, s36, v14
	s_delay_alu instid0(VALU_DEP_3) | instskip(NEXT) | instid1(VALU_DEP_3)
	v_add_co_ci_u32_e32 v15, vcc_lo, s30, v15, vcc_lo
	v_add_co_u32 v12, vcc_lo, s37, v12
	s_delay_alu instid0(VALU_DEP_4)
	v_add_co_ci_u32_e32 v13, vcc_lo, s38, v13, vcc_lo
	global_store_b64 v[14:15], v[6:7], off
	global_store_b32 v[12:13], v10, off
.LBB110_63:                             ;   in Loop: Header=BB110_61 Depth=2
	s_or_b32 exec_lo, exec_lo, s10
	s_and_saveexec_b32 s10, s2
	s_cbranch_execz .LBB110_60
; %bb.64:                               ;   in Loop: Header=BB110_61 Depth=2
	ds_store_b32 v35, v11 offset:28
	s_branch .LBB110_60
.LBB110_65:
	s_endpgm
	.section	.rodata,"a",@progbits
	.p2align	6, 0x0
	.amdhsa_kernel _ZN9rocsparseL36csrgemm_fill_block_per_row_multipassILj512ELj16ELj2048ELj64EllfEEvT4_PKS1_S3_NS_24const_host_device_scalarIT5_EEPKT3_S3_PKS5_S9_S3_SB_S6_S9_S3_SB_S9_PS1_PS5_PS7_21rocsparse_index_base_SF_SF_SF_bbb
		.amdhsa_group_segment_fixed_size 10248
		.amdhsa_private_segment_fixed_size 0
		.amdhsa_kernarg_size 164
		.amdhsa_user_sgpr_count 15
		.amdhsa_user_sgpr_dispatch_ptr 0
		.amdhsa_user_sgpr_queue_ptr 0
		.amdhsa_user_sgpr_kernarg_segment_ptr 1
		.amdhsa_user_sgpr_dispatch_id 0
		.amdhsa_user_sgpr_private_segment_size 0
		.amdhsa_wavefront_size32 1
		.amdhsa_uses_dynamic_stack 0
		.amdhsa_enable_private_segment 0
		.amdhsa_system_sgpr_workgroup_id_x 1
		.amdhsa_system_sgpr_workgroup_id_y 0
		.amdhsa_system_sgpr_workgroup_id_z 0
		.amdhsa_system_sgpr_workgroup_info 0
		.amdhsa_system_vgpr_workitem_id 0
		.amdhsa_next_free_vgpr 48
		.amdhsa_next_free_sgpr 56
		.amdhsa_reserve_vcc 1
		.amdhsa_float_round_mode_32 0
		.amdhsa_float_round_mode_16_64 0
		.amdhsa_float_denorm_mode_32 3
		.amdhsa_float_denorm_mode_16_64 3
		.amdhsa_dx10_clamp 1
		.amdhsa_ieee_mode 1
		.amdhsa_fp16_overflow 0
		.amdhsa_workgroup_processor_mode 1
		.amdhsa_memory_ordered 1
		.amdhsa_forward_progress 0
		.amdhsa_shared_vgpr_count 0
		.amdhsa_exception_fp_ieee_invalid_op 0
		.amdhsa_exception_fp_denorm_src 0
		.amdhsa_exception_fp_ieee_div_zero 0
		.amdhsa_exception_fp_ieee_overflow 0
		.amdhsa_exception_fp_ieee_underflow 0
		.amdhsa_exception_fp_ieee_inexact 0
		.amdhsa_exception_int_div_zero 0
	.end_amdhsa_kernel
	.section	.text._ZN9rocsparseL36csrgemm_fill_block_per_row_multipassILj512ELj16ELj2048ELj64EllfEEvT4_PKS1_S3_NS_24const_host_device_scalarIT5_EEPKT3_S3_PKS5_S9_S3_SB_S6_S9_S3_SB_S9_PS1_PS5_PS7_21rocsparse_index_base_SF_SF_SF_bbb,"axG",@progbits,_ZN9rocsparseL36csrgemm_fill_block_per_row_multipassILj512ELj16ELj2048ELj64EllfEEvT4_PKS1_S3_NS_24const_host_device_scalarIT5_EEPKT3_S3_PKS5_S9_S3_SB_S6_S9_S3_SB_S9_PS1_PS5_PS7_21rocsparse_index_base_SF_SF_SF_bbb,comdat
.Lfunc_end110:
	.size	_ZN9rocsparseL36csrgemm_fill_block_per_row_multipassILj512ELj16ELj2048ELj64EllfEEvT4_PKS1_S3_NS_24const_host_device_scalarIT5_EEPKT3_S3_PKS5_S9_S3_SB_S6_S9_S3_SB_S9_PS1_PS5_PS7_21rocsparse_index_base_SF_SF_SF_bbb, .Lfunc_end110-_ZN9rocsparseL36csrgemm_fill_block_per_row_multipassILj512ELj16ELj2048ELj64EllfEEvT4_PKS1_S3_NS_24const_host_device_scalarIT5_EEPKT3_S3_PKS5_S9_S3_SB_S6_S9_S3_SB_S9_PS1_PS5_PS7_21rocsparse_index_base_SF_SF_SF_bbb
                                        ; -- End function
	.section	.AMDGPU.csdata,"",@progbits
; Kernel info:
; codeLenInByte = 3132
; NumSgprs: 58
; NumVgprs: 48
; ScratchSize: 0
; MemoryBound: 0
; FloatMode: 240
; IeeeMode: 1
; LDSByteSize: 10248 bytes/workgroup (compile time only)
; SGPRBlocks: 7
; VGPRBlocks: 5
; NumSGPRsForWavesPerEU: 58
; NumVGPRsForWavesPerEU: 48
; Occupancy: 16
; WaveLimiterHint : 1
; COMPUTE_PGM_RSRC2:SCRATCH_EN: 0
; COMPUTE_PGM_RSRC2:USER_SGPR: 15
; COMPUTE_PGM_RSRC2:TRAP_HANDLER: 0
; COMPUTE_PGM_RSRC2:TGID_X_EN: 1
; COMPUTE_PGM_RSRC2:TGID_Y_EN: 0
; COMPUTE_PGM_RSRC2:TGID_Z_EN: 0
; COMPUTE_PGM_RSRC2:TIDIG_COMP_CNT: 0
	.section	.text._ZN9rocsparseL26csrgemm_group_reduce_part2ILj256ELj11EdllEEvT3_PKT2_PS1_Pij,"axG",@progbits,_ZN9rocsparseL26csrgemm_group_reduce_part2ILj256ELj11EdllEEvT3_PKT2_PS1_Pij,comdat
	.globl	_ZN9rocsparseL26csrgemm_group_reduce_part2ILj256ELj11EdllEEvT3_PKT2_PS1_Pij ; -- Begin function _ZN9rocsparseL26csrgemm_group_reduce_part2ILj256ELj11EdllEEvT3_PKT2_PS1_Pij
	.p2align	8
	.type	_ZN9rocsparseL26csrgemm_group_reduce_part2ILj256ELj11EdllEEvT3_PKT2_PS1_Pij,@function
_ZN9rocsparseL26csrgemm_group_reduce_part2ILj256ELj11EdllEEvT3_PKT2_PS1_Pij: ; @_ZN9rocsparseL26csrgemm_group_reduce_part2ILj256ELj11EdllEEvT3_PKT2_PS1_Pij
; %bb.0:
	s_clause 0x1
	s_load_b64 s[4:5], s[0:1], 0x0
	s_load_b64 s[2:3], s[0:1], 0x10
	v_mul_u32_u24_e32 v1, 11, v0
	v_mov_b32_e32 v2, 0
	s_mov_b32 s7, 0
	v_lshl_or_b32 v7, s15, 8, v0
	s_mov_b32 s6, s7
	v_lshlrev_b32_e32 v11, 3, v1
	v_mov_b32_e32 v1, v2
	s_mov_b32 s8, s7
	s_mov_b32 s9, s7
	v_mov_b32_e32 v3, s6
	v_dual_mov_b32 v5, s8 :: v_dual_mov_b32 v6, s9
	v_mov_b32_e32 v4, s7
	ds_store_b64 v11, v[1:2] offset:80
	v_mov_b32_e32 v1, v7
	s_mov_b32 s12, exec_lo
	ds_store_2addr_b64 v11, v[3:4], v[5:6] offset0:8 offset1:9
	ds_store_2addr_b64 v11, v[3:4], v[5:6] offset1:1
	ds_store_2addr_b64 v11, v[3:4], v[5:6] offset0:2 offset1:3
	ds_store_2addr_b64 v11, v[3:4], v[5:6] offset0:4 offset1:5
	;; [unrolled: 1-line block ×3, first 2 shown]
	s_waitcnt lgkmcnt(0)
	buffer_gl0_inv
	v_cmpx_gt_i64_e64 s[4:5], v[1:2]
	s_cbranch_execz .LBB111_43
; %bb.1:
	s_clause 0x3
	s_load_b32 s6, s[0:1], 0x20
	s_load_b64 s[8:9], s[0:1], 0x18
	s_load_b64 s[10:11], s[0:1], 0x8
	s_load_b32 s0, s[0:1], 0x28
	v_lshlrev_b64 v[3:4], 2, v[1:2]
	v_lshlrev_b64 v[5:6], 3, v[1:2]
	v_dual_mov_b32 v12, 6 :: v_dual_mov_b32 v13, 7
	v_dual_mov_b32 v14, 8 :: v_dual_mov_b32 v15, 9
	;; [unrolled: 1-line block ×6, first 2 shown]
	s_waitcnt lgkmcnt(0)
	s_cmp_lt_u32 s6, 0x10108
	v_add_co_u32 v3, vcc_lo, s8, v3
	s_cselect_b32 s1, -1, 0
	s_cmp_lt_u32 s6, 0x20108
	v_add_co_ci_u32_e32 v4, vcc_lo, s9, v4, vcc_lo
	s_cselect_b32 s13, -1, 0
	s_cmp_lt_u32 s6, 0x40108
	v_add_co_u32 v5, vcc_lo, s10, v5
	s_cselect_b32 s14, -1, 0
	s_cmp_lt_u32 s6, 0x80108
	v_add_co_ci_u32_e32 v6, vcc_lo, s11, v6, vcc_lo
	s_cselect_b32 s16, -1, 0
	s_lshl_b32 s6, s0, 8
	s_xor_b32 s1, s1, -1
	s_lshl_b64 s[8:9], s[6:7], 2
	s_lshl_b64 s[10:11], s[6:7], 3
	s_xor_b32 s13, s13, -1
	s_xor_b32 s14, s14, -1
	;; [unrolled: 1-line block ×3, first 2 shown]
	s_branch .LBB111_3
.LBB111_2:                              ;   in Loop: Header=BB111_3 Depth=1
	s_or_b32 exec_lo, exec_lo, s0
	v_add_co_u32 v7, vcc_lo, v7, s6
	v_add_co_ci_u32_e32 v8, vcc_lo, 0, v8, vcc_lo
	v_add_co_u32 v3, vcc_lo, v3, s8
	v_add_co_ci_u32_e32 v4, vcc_lo, s9, v4, vcc_lo
	s_delay_alu instid0(VALU_DEP_3) | instskip(SKIP_1) | instid1(VALU_DEP_1)
	v_cmp_le_i64_e32 vcc_lo, s[4:5], v[7:8]
	v_add_co_u32 v5, s0, v5, s10
	v_add_co_ci_u32_e64 v6, s0, s11, v6, s0
	s_or_b32 s7, vcc_lo, s7
	s_delay_alu instid0(SALU_CYCLE_1)
	s_and_not1_b32 exec_lo, exec_lo, s7
	s_cbranch_execz .LBB111_43
.LBB111_3:                              ; =>This Inner Loop Header: Depth=1
	global_load_b128 v[22:25], v[5:6], off
	s_mov_b32 s0, exec_lo
	s_waitcnt vmcnt(0)
	v_sub_co_u32 v9, vcc_lo, v24, v22
	v_sub_co_ci_u32_e32 v10, vcc_lo, v25, v23, vcc_lo
	s_delay_alu instid0(VALU_DEP_1)
	v_cmpx_lt_i64_e32 16, v[9:10]
	s_xor_b32 s0, exec_lo, s0
	s_cbranch_execz .LBB111_41
; %bb.4:                                ;   in Loop: Header=BB111_3 Depth=1
	s_mov_b32 s17, exec_lo
	v_cmpx_lt_u64_e32 32, v[9:10]
	s_xor_b32 s17, exec_lo, s17
	s_cbranch_execz .LBB111_38
; %bb.5:                                ;   in Loop: Header=BB111_3 Depth=1
	s_mov_b32 s18, exec_lo
	v_cmpx_lt_u64_e32 0x100, v[9:10]
	;; [unrolled: 5-line block ×5, first 2 shown]
	s_xor_b32 s21, exec_lo, s21
	s_cbranch_execz .LBB111_26
; %bb.9:                                ;   in Loop: Header=BB111_3 Depth=1
	v_cmp_gt_u64_e32 vcc_lo, 0x1001, v[9:10]
	s_and_b32 s22, s1, vcc_lo
	s_delay_alu instid0(SALU_CYCLE_1) | instskip(NEXT) | instid1(SALU_CYCLE_1)
	s_and_saveexec_b32 s23, s22
	s_xor_b32 s22, exec_lo, s23
	s_cbranch_execz .LBB111_11
; %bb.10:                               ;   in Loop: Header=BB111_3 Depth=1
	ds_load_b64 v[9:10], v11 offset:48
	global_store_b32 v[3:4], v12, off
	s_waitcnt lgkmcnt(0)
	v_add_co_u32 v9, vcc_lo, v9, 1
	v_add_co_ci_u32_e32 v10, vcc_lo, 0, v10, vcc_lo
	ds_store_b64 v11, v[9:10] offset:48
                                        ; implicit-def: $vgpr9_vgpr10
.LBB111_11:                             ;   in Loop: Header=BB111_3 Depth=1
	s_and_not1_saveexec_b32 s22, s22
	s_cbranch_execz .LBB111_25
; %bb.12:                               ;   in Loop: Header=BB111_3 Depth=1
	v_cmp_gt_u64_e32 vcc_lo, 0x2001, v[9:10]
	s_and_b32 s23, s13, vcc_lo
	s_delay_alu instid0(SALU_CYCLE_1) | instskip(NEXT) | instid1(SALU_CYCLE_1)
	s_and_saveexec_b32 s24, s23
	s_xor_b32 s23, exec_lo, s24
	s_cbranch_execz .LBB111_14
; %bb.13:                               ;   in Loop: Header=BB111_3 Depth=1
	ds_load_b64 v[9:10], v11 offset:56
	global_store_b32 v[3:4], v13, off
	s_waitcnt lgkmcnt(0)
	v_add_co_u32 v9, vcc_lo, v9, 1
	v_add_co_ci_u32_e32 v10, vcc_lo, 0, v10, vcc_lo
	ds_store_b64 v11, v[9:10] offset:56
                                        ; implicit-def: $vgpr9_vgpr10
.LBB111_14:                             ;   in Loop: Header=BB111_3 Depth=1
	s_and_not1_saveexec_b32 s23, s23
	s_cbranch_execz .LBB111_24
; %bb.15:                               ;   in Loop: Header=BB111_3 Depth=1
	v_cmp_gt_u64_e32 vcc_lo, 0x4001, v[9:10]
	s_and_b32 s24, s14, vcc_lo
	s_delay_alu instid0(SALU_CYCLE_1) | instskip(NEXT) | instid1(SALU_CYCLE_1)
	s_and_saveexec_b32 s25, s24
	s_xor_b32 s24, exec_lo, s25
	s_cbranch_execz .LBB111_17
; %bb.16:                               ;   in Loop: Header=BB111_3 Depth=1
	ds_load_b64 v[9:10], v11 offset:64
	global_store_b32 v[3:4], v14, off
	s_waitcnt lgkmcnt(0)
	v_add_co_u32 v9, vcc_lo, v9, 1
	v_add_co_ci_u32_e32 v10, vcc_lo, 0, v10, vcc_lo
	ds_store_b64 v11, v[9:10] offset:64
                                        ; implicit-def: $vgpr9_vgpr10
.LBB111_17:                             ;   in Loop: Header=BB111_3 Depth=1
	s_and_not1_saveexec_b32 s24, s24
	s_cbranch_execz .LBB111_23
; %bb.18:                               ;   in Loop: Header=BB111_3 Depth=1
	v_cmp_gt_u64_e32 vcc_lo, 0x8001, v[9:10]
	s_and_b32 s25, s16, vcc_lo
	s_delay_alu instid0(SALU_CYCLE_1) | instskip(NEXT) | instid1(SALU_CYCLE_1)
	s_and_saveexec_b32 s26, s25
	s_xor_b32 s25, exec_lo, s26
	s_cbranch_execz .LBB111_20
; %bb.19:                               ;   in Loop: Header=BB111_3 Depth=1
	ds_load_b64 v[9:10], v11 offset:72
	global_store_b32 v[3:4], v15, off
	s_waitcnt lgkmcnt(0)
	v_add_co_u32 v9, vcc_lo, v9, 1
	v_add_co_ci_u32_e32 v10, vcc_lo, 0, v10, vcc_lo
	ds_store_b64 v11, v[9:10] offset:72
.LBB111_20:                             ;   in Loop: Header=BB111_3 Depth=1
	s_and_not1_saveexec_b32 s25, s25
	s_cbranch_execz .LBB111_22
; %bb.21:                               ;   in Loop: Header=BB111_3 Depth=1
	ds_load_b64 v[9:10], v11 offset:80
	global_store_b32 v[3:4], v16, off
	s_waitcnt lgkmcnt(0)
	v_add_co_u32 v9, vcc_lo, v9, 1
	v_add_co_ci_u32_e32 v10, vcc_lo, 0, v10, vcc_lo
	ds_store_b64 v11, v[9:10] offset:80
.LBB111_22:                             ;   in Loop: Header=BB111_3 Depth=1
	s_or_b32 exec_lo, exec_lo, s25
.LBB111_23:                             ;   in Loop: Header=BB111_3 Depth=1
	s_delay_alu instid0(SALU_CYCLE_1)
	s_or_b32 exec_lo, exec_lo, s24
.LBB111_24:                             ;   in Loop: Header=BB111_3 Depth=1
	s_delay_alu instid0(SALU_CYCLE_1)
	s_or_b32 exec_lo, exec_lo, s23
.LBB111_25:                             ;   in Loop: Header=BB111_3 Depth=1
	s_delay_alu instid0(SALU_CYCLE_1)
	s_or_b32 exec_lo, exec_lo, s22
.LBB111_26:                             ;   in Loop: Header=BB111_3 Depth=1
	s_and_not1_saveexec_b32 s21, s21
	s_cbranch_execz .LBB111_28
; %bb.27:                               ;   in Loop: Header=BB111_3 Depth=1
	ds_load_b64 v[9:10], v11 offset:40
	global_store_b32 v[3:4], v17, off
	s_waitcnt lgkmcnt(0)
	v_add_co_u32 v9, vcc_lo, v9, 1
	v_add_co_ci_u32_e32 v10, vcc_lo, 0, v10, vcc_lo
	ds_store_b64 v11, v[9:10] offset:40
.LBB111_28:                             ;   in Loop: Header=BB111_3 Depth=1
	s_or_b32 exec_lo, exec_lo, s21
.LBB111_29:                             ;   in Loop: Header=BB111_3 Depth=1
	s_and_not1_saveexec_b32 s20, s20
	s_cbranch_execz .LBB111_31
; %bb.30:                               ;   in Loop: Header=BB111_3 Depth=1
	ds_load_b64 v[9:10], v11 offset:32
	global_store_b32 v[3:4], v18, off
	s_waitcnt lgkmcnt(0)
	v_add_co_u32 v9, vcc_lo, v9, 1
	v_add_co_ci_u32_e32 v10, vcc_lo, 0, v10, vcc_lo
	ds_store_b64 v11, v[9:10] offset:32
.LBB111_31:                             ;   in Loop: Header=BB111_3 Depth=1
	s_or_b32 exec_lo, exec_lo, s20
.LBB111_32:                             ;   in Loop: Header=BB111_3 Depth=1
	s_and_not1_saveexec_b32 s19, s19
	s_cbranch_execz .LBB111_34
; %bb.33:                               ;   in Loop: Header=BB111_3 Depth=1
	ds_load_b64 v[9:10], v11 offset:24
	global_store_b32 v[3:4], v19, off
	s_waitcnt lgkmcnt(0)
	v_add_co_u32 v9, vcc_lo, v9, 1
	v_add_co_ci_u32_e32 v10, vcc_lo, 0, v10, vcc_lo
	ds_store_b64 v11, v[9:10] offset:24
.LBB111_34:                             ;   in Loop: Header=BB111_3 Depth=1
	s_or_b32 exec_lo, exec_lo, s19
.LBB111_35:                             ;   in Loop: Header=BB111_3 Depth=1
	s_and_not1_saveexec_b32 s18, s18
	s_cbranch_execz .LBB111_37
; %bb.36:                               ;   in Loop: Header=BB111_3 Depth=1
	ds_load_b64 v[9:10], v11 offset:16
	global_store_b32 v[3:4], v20, off
	s_waitcnt lgkmcnt(0)
	v_add_co_u32 v9, vcc_lo, v9, 1
	v_add_co_ci_u32_e32 v10, vcc_lo, 0, v10, vcc_lo
	ds_store_b64 v11, v[9:10] offset:16
.LBB111_37:                             ;   in Loop: Header=BB111_3 Depth=1
	s_or_b32 exec_lo, exec_lo, s18
.LBB111_38:                             ;   in Loop: Header=BB111_3 Depth=1
	s_and_not1_saveexec_b32 s17, s17
	s_cbranch_execz .LBB111_40
; %bb.39:                               ;   in Loop: Header=BB111_3 Depth=1
	ds_load_b64 v[9:10], v11 offset:8
	global_store_b32 v[3:4], v21, off
	s_waitcnt lgkmcnt(0)
	v_add_co_u32 v9, vcc_lo, v9, 1
	v_add_co_ci_u32_e32 v10, vcc_lo, 0, v10, vcc_lo
	ds_store_b64 v11, v[9:10] offset:8
.LBB111_40:                             ;   in Loop: Header=BB111_3 Depth=1
	s_or_b32 exec_lo, exec_lo, s17
.LBB111_41:                             ;   in Loop: Header=BB111_3 Depth=1
	s_and_not1_saveexec_b32 s0, s0
	s_cbranch_execz .LBB111_2
; %bb.42:                               ;   in Loop: Header=BB111_3 Depth=1
	ds_load_b64 v[9:10], v11
	global_store_b32 v[3:4], v2, off
	s_waitcnt lgkmcnt(0)
	v_add_co_u32 v9, vcc_lo, v9, 1
	v_add_co_ci_u32_e32 v10, vcc_lo, 0, v10, vcc_lo
	ds_store_b64 v11, v[9:10]
	s_branch .LBB111_2
.LBB111_43:
	s_or_b32 exec_lo, exec_lo, s12
	s_delay_alu instid0(SALU_CYCLE_1)
	s_mov_b32 s0, exec_lo
	s_waitcnt lgkmcnt(0)
	s_waitcnt_vscnt null, 0x0
	s_barrier
	buffer_gl0_inv
	s_barrier
	buffer_gl0_inv
	;; [unrolled: 2-line block ×3, first 2 shown]
	v_cmpx_gt_u32_e32 0x80, v0
	s_cbranch_execz .LBB111_45
; %bb.44:
	v_add_nc_u32_e32 v1, 0x2c00, v11
	v_add_nc_u32_e32 v9, 0x2c10, v11
	;; [unrolled: 1-line block ×4, first 2 shown]
	ds_load_2addr_b64 v[1:4], v1 offset1:1
	ds_load_2addr_b64 v[5:8], v11 offset1:1
	ds_load_2addr_b64 v[12:15], v11 offset0:2 offset1:3
	ds_load_2addr_b64 v[16:19], v9 offset1:1
	v_add_nc_u32_e32 v9, 0x2c20, v11
	ds_load_2addr_b64 v[20:23], v11 offset0:4 offset1:5
	ds_load_2addr_b64 v[24:27], v11 offset0:6 offset1:7
	ds_load_2addr_b64 v[28:31], v9 offset1:1
	ds_load_2addr_b64 v[32:35], v10 offset1:1
	ds_load_2addr_b64 v[36:39], v11 offset0:8 offset1:9
	s_waitcnt lgkmcnt(7)
	v_add_co_u32 v9, vcc_lo, v5, v1
	v_add_co_ci_u32_e32 v10, vcc_lo, v6, v2, vcc_lo
	v_add_co_u32 v40, vcc_lo, v7, v3
	v_add_co_ci_u32_e32 v41, vcc_lo, v8, v4, vcc_lo
	ds_load_2addr_b64 v[1:4], v42 offset1:1
	v_add_nc_u32_e32 v5, 0x50, v11
	s_waitcnt lgkmcnt(6)
	v_add_co_u32 v12, vcc_lo, v12, v16
	v_add_co_ci_u32_e32 v13, vcc_lo, v13, v17, vcc_lo
	v_add_co_u32 v14, vcc_lo, v14, v18
	ds_load_2addr_stride64_b64 v[5:8], v5 offset1:22
	v_add_co_ci_u32_e32 v15, vcc_lo, v15, v19, vcc_lo
	s_waitcnt lgkmcnt(4)
	v_add_co_u32 v16, vcc_lo, v20, v28
	v_add_co_ci_u32_e32 v17, vcc_lo, v21, v29, vcc_lo
	v_add_co_u32 v18, vcc_lo, v22, v30
	v_add_co_ci_u32_e32 v19, vcc_lo, v23, v31, vcc_lo
	s_waitcnt lgkmcnt(3)
	v_add_co_u32 v20, vcc_lo, v24, v32
	v_add_co_ci_u32_e32 v21, vcc_lo, v25, v33, vcc_lo
	v_add_co_u32 v22, vcc_lo, v26, v34
	;; [unrolled: 5-line block ×3, first 2 shown]
	v_add_co_ci_u32_e32 v4, vcc_lo, v39, v4, vcc_lo
	s_waitcnt lgkmcnt(0)
	v_add_co_u32 v5, vcc_lo, v5, v7
	v_add_co_ci_u32_e32 v6, vcc_lo, v6, v8, vcc_lo
	ds_store_2addr_b64 v11, v[9:10], v[40:41] offset1:1
	ds_store_2addr_b64 v11, v[12:13], v[14:15] offset0:2 offset1:3
	ds_store_2addr_b64 v11, v[16:17], v[18:19] offset0:4 offset1:5
	;; [unrolled: 1-line block ×4, first 2 shown]
	ds_store_b64 v11, v[5:6] offset:80
.LBB111_45:
	s_or_b32 exec_lo, exec_lo, s0
	s_delay_alu instid0(SALU_CYCLE_1)
	s_mov_b32 s0, exec_lo
	s_waitcnt lgkmcnt(0)
	s_barrier
	buffer_gl0_inv
	v_cmpx_gt_u32_e32 64, v0
	s_cbranch_execz .LBB111_47
; %bb.46:
	v_add_nc_u32_e32 v1, 0x1600, v11
	v_add_nc_u32_e32 v9, 0x1610, v11
	;; [unrolled: 1-line block ×4, first 2 shown]
	ds_load_2addr_b64 v[1:4], v1 offset1:1
	ds_load_2addr_b64 v[5:8], v11 offset1:1
	ds_load_2addr_b64 v[12:15], v11 offset0:2 offset1:3
	ds_load_2addr_b64 v[16:19], v9 offset1:1
	v_add_nc_u32_e32 v9, 0x1620, v11
	ds_load_2addr_b64 v[20:23], v11 offset0:4 offset1:5
	ds_load_2addr_b64 v[24:27], v11 offset0:6 offset1:7
	ds_load_2addr_b64 v[28:31], v9 offset1:1
	ds_load_2addr_b64 v[32:35], v10 offset1:1
	ds_load_2addr_b64 v[36:39], v11 offset0:8 offset1:9
	s_waitcnt lgkmcnt(7)
	v_add_co_u32 v9, vcc_lo, v5, v1
	v_add_co_ci_u32_e32 v10, vcc_lo, v6, v2, vcc_lo
	v_add_co_u32 v40, vcc_lo, v7, v3
	v_add_co_ci_u32_e32 v41, vcc_lo, v8, v4, vcc_lo
	ds_load_2addr_b64 v[1:4], v42 offset1:1
	v_add_nc_u32_e32 v5, 0x50, v11
	s_waitcnt lgkmcnt(6)
	v_add_co_u32 v12, vcc_lo, v12, v16
	v_add_co_ci_u32_e32 v13, vcc_lo, v13, v17, vcc_lo
	v_add_co_u32 v14, vcc_lo, v14, v18
	ds_load_2addr_stride64_b64 v[5:8], v5 offset1:11
	v_add_co_ci_u32_e32 v15, vcc_lo, v15, v19, vcc_lo
	s_waitcnt lgkmcnt(4)
	v_add_co_u32 v16, vcc_lo, v20, v28
	v_add_co_ci_u32_e32 v17, vcc_lo, v21, v29, vcc_lo
	v_add_co_u32 v18, vcc_lo, v22, v30
	v_add_co_ci_u32_e32 v19, vcc_lo, v23, v31, vcc_lo
	s_waitcnt lgkmcnt(3)
	v_add_co_u32 v20, vcc_lo, v24, v32
	v_add_co_ci_u32_e32 v21, vcc_lo, v25, v33, vcc_lo
	v_add_co_u32 v22, vcc_lo, v26, v34
	;; [unrolled: 5-line block ×3, first 2 shown]
	v_add_co_ci_u32_e32 v4, vcc_lo, v39, v4, vcc_lo
	s_waitcnt lgkmcnt(0)
	v_add_co_u32 v5, vcc_lo, v5, v7
	v_add_co_ci_u32_e32 v6, vcc_lo, v6, v8, vcc_lo
	ds_store_2addr_b64 v11, v[9:10], v[40:41] offset1:1
	ds_store_2addr_b64 v11, v[12:13], v[14:15] offset0:2 offset1:3
	ds_store_2addr_b64 v11, v[16:17], v[18:19] offset0:4 offset1:5
	;; [unrolled: 1-line block ×4, first 2 shown]
	ds_store_b64 v11, v[5:6] offset:80
.LBB111_47:
	s_or_b32 exec_lo, exec_lo, s0
	s_delay_alu instid0(SALU_CYCLE_1)
	s_mov_b32 s0, exec_lo
	s_waitcnt lgkmcnt(0)
	s_barrier
	buffer_gl0_inv
	v_cmpx_gt_u32_e32 32, v0
	s_cbranch_execz .LBB111_49
; %bb.48:
	v_add_nc_u32_e32 v1, 0xb00, v11
	v_add_nc_u32_e32 v9, 0xb10, v11
	;; [unrolled: 1-line block ×4, first 2 shown]
	ds_load_2addr_b64 v[1:4], v1 offset1:1
	ds_load_2addr_b64 v[5:8], v11 offset1:1
	ds_load_2addr_b64 v[12:15], v11 offset0:2 offset1:3
	ds_load_2addr_b64 v[16:19], v9 offset1:1
	v_add_nc_u32_e32 v9, 0xb20, v11
	ds_load_2addr_b64 v[20:23], v11 offset0:4 offset1:5
	ds_load_2addr_b64 v[24:27], v11 offset0:6 offset1:7
	ds_load_2addr_b64 v[28:31], v9 offset1:1
	ds_load_2addr_b64 v[32:35], v10 offset1:1
	ds_load_b64 v[9:10], v11 offset:2896
	s_waitcnt lgkmcnt(7)
	v_add_co_u32 v36, vcc_lo, v5, v1
	v_add_co_ci_u32_e32 v37, vcc_lo, v6, v2, vcc_lo
	v_add_co_u32 v38, vcc_lo, v7, v3
	v_add_co_ci_u32_e32 v39, vcc_lo, v8, v4, vcc_lo
	ds_load_2addr_b64 v[1:4], v40 offset1:1
	ds_load_2addr_b64 v[5:8], v11 offset0:8 offset1:9
	s_waitcnt lgkmcnt(7)
	v_add_co_u32 v12, vcc_lo, v12, v16
	v_add_co_ci_u32_e32 v13, vcc_lo, v13, v17, vcc_lo
	v_add_co_u32 v14, vcc_lo, v14, v18
	v_add_co_ci_u32_e32 v15, vcc_lo, v15, v19, vcc_lo
	ds_load_b64 v[18:19], v11 offset:80
	s_waitcnt lgkmcnt(5)
	v_add_co_u32 v16, vcc_lo, v20, v28
	v_add_co_ci_u32_e32 v17, vcc_lo, v21, v29, vcc_lo
	v_add_co_u32 v20, vcc_lo, v22, v30
	v_add_co_ci_u32_e32 v21, vcc_lo, v23, v31, vcc_lo
	s_waitcnt lgkmcnt(4)
	v_add_co_u32 v22, vcc_lo, v24, v32
	v_add_co_ci_u32_e32 v23, vcc_lo, v25, v33, vcc_lo
	v_add_co_u32 v24, vcc_lo, v26, v34
	v_add_co_ci_u32_e32 v25, vcc_lo, v27, v35, vcc_lo
	;; [unrolled: 5-line block ×3, first 2 shown]
	s_waitcnt lgkmcnt(0)
	v_add_co_u32 v5, vcc_lo, v18, v9
	v_add_co_ci_u32_e32 v6, vcc_lo, v19, v10, vcc_lo
	ds_store_2addr_b64 v11, v[36:37], v[38:39] offset1:1
	ds_store_2addr_b64 v11, v[12:13], v[14:15] offset0:2 offset1:3
	ds_store_2addr_b64 v11, v[16:17], v[20:21] offset0:4 offset1:5
	;; [unrolled: 1-line block ×4, first 2 shown]
	ds_store_b64 v11, v[5:6] offset:80
.LBB111_49:
	s_or_b32 exec_lo, exec_lo, s0
	s_delay_alu instid0(SALU_CYCLE_1)
	s_mov_b32 s0, exec_lo
	s_waitcnt lgkmcnt(0)
	s_barrier
	buffer_gl0_inv
	v_cmpx_gt_u32_e32 16, v0
	s_cbranch_execz .LBB111_51
; %bb.50:
	ds_load_2addr_b64 v[1:4], v11 offset0:176 offset1:177
	ds_load_2addr_b64 v[5:8], v11 offset1:1
	ds_load_2addr_b64 v[12:15], v11 offset0:2 offset1:3
	ds_load_2addr_b64 v[16:19], v11 offset0:178 offset1:179
	ds_load_2addr_b64 v[20:23], v11 offset0:180 offset1:181
	ds_load_2addr_b64 v[24:27], v11 offset0:182 offset1:183
	ds_load_2addr_b64 v[28:31], v11 offset0:4 offset1:5
	ds_load_2addr_b64 v[32:35], v11 offset0:6 offset1:7
	ds_load_2addr_b64 v[36:39], v11 offset0:8 offset1:9
	s_waitcnt lgkmcnt(7)
	v_add_co_u32 v9, vcc_lo, v5, v1
	v_add_co_ci_u32_e32 v10, vcc_lo, v6, v2, vcc_lo
	v_add_co_u32 v40, vcc_lo, v7, v3
	v_add_co_ci_u32_e32 v41, vcc_lo, v8, v4, vcc_lo
	ds_load_2addr_b64 v[1:4], v11 offset0:184 offset1:185
	s_waitcnt lgkmcnt(6)
	v_add_co_u32 v12, vcc_lo, v12, v16
	v_add_co_ci_u32_e32 v13, vcc_lo, v13, v17, vcc_lo
	v_add_co_u32 v14, vcc_lo, v14, v18
	ds_load_2addr_b64 v[5:8], v11 offset0:10 offset1:186
	v_add_co_ci_u32_e32 v15, vcc_lo, v15, v19, vcc_lo
	s_waitcnt lgkmcnt(4)
	v_add_co_u32 v16, vcc_lo, v28, v20
	v_add_co_ci_u32_e32 v17, vcc_lo, v29, v21, vcc_lo
	v_add_co_u32 v18, vcc_lo, v30, v22
	v_add_co_ci_u32_e32 v19, vcc_lo, v31, v23, vcc_lo
	s_waitcnt lgkmcnt(3)
	v_add_co_u32 v20, vcc_lo, v32, v24
	v_add_co_ci_u32_e32 v21, vcc_lo, v33, v25, vcc_lo
	v_add_co_u32 v22, vcc_lo, v34, v26
	v_add_co_ci_u32_e32 v23, vcc_lo, v35, v27, vcc_lo
	s_waitcnt lgkmcnt(1)
	v_add_co_u32 v1, vcc_lo, v36, v1
	v_add_co_ci_u32_e32 v2, vcc_lo, v37, v2, vcc_lo
	v_add_co_u32 v3, vcc_lo, v38, v3
	v_add_co_ci_u32_e32 v4, vcc_lo, v39, v4, vcc_lo
	s_waitcnt lgkmcnt(0)
	v_add_co_u32 v5, vcc_lo, v5, v7
	v_add_co_ci_u32_e32 v6, vcc_lo, v6, v8, vcc_lo
	ds_store_2addr_b64 v11, v[9:10], v[40:41] offset1:1
	ds_store_2addr_b64 v11, v[12:13], v[14:15] offset0:2 offset1:3
	ds_store_2addr_b64 v11, v[16:17], v[18:19] offset0:4 offset1:5
	ds_store_2addr_b64 v11, v[20:21], v[22:23] offset0:6 offset1:7
	ds_store_2addr_b64 v11, v[1:2], v[3:4] offset0:8 offset1:9
	ds_store_b64 v11, v[5:6] offset:80
.LBB111_51:
	s_or_b32 exec_lo, exec_lo, s0
	s_delay_alu instid0(SALU_CYCLE_1)
	s_mov_b32 s0, exec_lo
	s_waitcnt lgkmcnt(0)
	s_barrier
	buffer_gl0_inv
	v_cmpx_gt_u32_e32 8, v0
	s_cbranch_execz .LBB111_53
; %bb.52:
	ds_load_2addr_b64 v[1:4], v11 offset0:88 offset1:89
	ds_load_2addr_b64 v[5:8], v11 offset1:1
	ds_load_2addr_b64 v[12:15], v11 offset0:2 offset1:3
	ds_load_2addr_b64 v[16:19], v11 offset0:90 offset1:91
	ds_load_2addr_b64 v[20:23], v11 offset0:92 offset1:93
	ds_load_2addr_b64 v[24:27], v11 offset0:94 offset1:95
	ds_load_2addr_b64 v[28:31], v11 offset0:4 offset1:5
	ds_load_2addr_b64 v[32:35], v11 offset0:6 offset1:7
	ds_load_2addr_b64 v[36:39], v11 offset0:8 offset1:9
	s_waitcnt lgkmcnt(7)
	v_add_co_u32 v9, vcc_lo, v5, v1
	v_add_co_ci_u32_e32 v10, vcc_lo, v6, v2, vcc_lo
	v_add_co_u32 v40, vcc_lo, v7, v3
	v_add_co_ci_u32_e32 v41, vcc_lo, v8, v4, vcc_lo
	ds_load_2addr_b64 v[1:4], v11 offset0:96 offset1:97
	s_waitcnt lgkmcnt(6)
	v_add_co_u32 v12, vcc_lo, v12, v16
	v_add_co_ci_u32_e32 v13, vcc_lo, v13, v17, vcc_lo
	v_add_co_u32 v14, vcc_lo, v14, v18
	ds_load_2addr_b64 v[5:8], v11 offset0:10 offset1:98
	v_add_co_ci_u32_e32 v15, vcc_lo, v15, v19, vcc_lo
	s_waitcnt lgkmcnt(4)
	v_add_co_u32 v16, vcc_lo, v28, v20
	v_add_co_ci_u32_e32 v17, vcc_lo, v29, v21, vcc_lo
	v_add_co_u32 v18, vcc_lo, v30, v22
	v_add_co_ci_u32_e32 v19, vcc_lo, v31, v23, vcc_lo
	s_waitcnt lgkmcnt(3)
	v_add_co_u32 v20, vcc_lo, v32, v24
	v_add_co_ci_u32_e32 v21, vcc_lo, v33, v25, vcc_lo
	v_add_co_u32 v22, vcc_lo, v34, v26
	v_add_co_ci_u32_e32 v23, vcc_lo, v35, v27, vcc_lo
	s_waitcnt lgkmcnt(1)
	v_add_co_u32 v1, vcc_lo, v36, v1
	v_add_co_ci_u32_e32 v2, vcc_lo, v37, v2, vcc_lo
	v_add_co_u32 v3, vcc_lo, v38, v3
	v_add_co_ci_u32_e32 v4, vcc_lo, v39, v4, vcc_lo
	s_waitcnt lgkmcnt(0)
	v_add_co_u32 v5, vcc_lo, v5, v7
	v_add_co_ci_u32_e32 v6, vcc_lo, v6, v8, vcc_lo
	ds_store_2addr_b64 v11, v[9:10], v[40:41] offset1:1
	ds_store_2addr_b64 v11, v[12:13], v[14:15] offset0:2 offset1:3
	ds_store_2addr_b64 v11, v[16:17], v[18:19] offset0:4 offset1:5
	ds_store_2addr_b64 v11, v[20:21], v[22:23] offset0:6 offset1:7
	ds_store_2addr_b64 v11, v[1:2], v[3:4] offset0:8 offset1:9
	ds_store_b64 v11, v[5:6] offset:80
.LBB111_53:
	;; [unrolled: 55-line block ×4, first 2 shown]
	s_or_b32 exec_lo, exec_lo, s0
	s_delay_alu instid0(SALU_CYCLE_1)
	s_mov_b32 s0, exec_lo
	s_waitcnt lgkmcnt(0)
	s_barrier
	buffer_gl0_inv
	v_cmpx_eq_u32_e32 0, v0
	s_cbranch_execz .LBB111_59
; %bb.58:
	v_mov_b32_e32 v41, 0
	ds_load_b128 v[1:4], v41 offset:80
	ds_load_b128 v[5:8], v41
	ds_load_b128 v[9:12], v41 offset:96
	ds_load_b128 v[13:16], v41 offset:16
	;; [unrolled: 1-line block ×8, first 2 shown]
	s_waitcnt lgkmcnt(8)
	v_add_co_u32 v3, vcc_lo, v5, v3
	v_add_co_ci_u32_e32 v4, vcc_lo, v6, v4, vcc_lo
	s_waitcnt lgkmcnt(7)
	v_add_co_u32 v5, vcc_lo, v7, v9
	v_add_co_ci_u32_e32 v6, vcc_lo, v8, v10, vcc_lo
	;; [unrolled: 3-line block ×3, first 2 shown]
	ds_load_b128 v[11:14], v41 offset:160
	s_waitcnt lgkmcnt(6)
	v_add_co_u32 v9, vcc_lo, v15, v17
	v_add_co_ci_u32_e32 v10, vcc_lo, v16, v18, vcc_lo
	s_waitcnt lgkmcnt(5)
	v_add_co_u32 v15, vcc_lo, v21, v19
	v_add_co_ci_u32_e32 v16, vcc_lo, v22, v20, vcc_lo
	;; [unrolled: 3-line block ×3, first 2 shown]
	v_add_co_u32 v19, vcc_lo, v25, v31
	v_add_co_ci_u32_e32 v20, vcc_lo, v26, v32, vcc_lo
	s_waitcnt lgkmcnt(2)
	v_add_co_u32 v21, vcc_lo, v27, v33
	v_add_co_ci_u32_e32 v22, vcc_lo, v28, v34, vcc_lo
	s_waitcnt lgkmcnt(1)
	;; [unrolled: 3-line block ×3, first 2 shown]
	v_add_co_u32 v25, vcc_lo, v39, v11
	v_add_co_ci_u32_e32 v26, vcc_lo, v40, v12, vcc_lo
	v_add_co_u32 v1, vcc_lo, v1, v13
	v_add_co_ci_u32_e32 v2, vcc_lo, v2, v14, vcc_lo
	ds_store_b128 v41, v[3:6]
	ds_store_b128 v41, v[7:10] offset:16
	ds_store_b128 v41, v[15:18] offset:32
	;; [unrolled: 1-line block ×4, first 2 shown]
	ds_store_b64 v41, v[1:2] offset:80
.LBB111_59:
	s_or_b32 exec_lo, exec_lo, s0
	s_waitcnt lgkmcnt(0)
	s_barrier
	buffer_gl0_inv
	s_mov_b32 s0, exec_lo
	v_cmpx_gt_u32_e32 11, v0
	s_cbranch_execz .LBB111_61
; %bb.60:
	v_lshlrev_b32_e32 v3, 3, v0
	v_mad_u64_u32 v[1:2], null, s15, 11, v[0:1]
	v_mov_b32_e32 v2, 0
	ds_load_b64 v[3:4], v3
	v_lshlrev_b64 v[0:1], 3, v[1:2]
	s_delay_alu instid0(VALU_DEP_1) | instskip(NEXT) | instid1(VALU_DEP_2)
	v_add_co_u32 v0, vcc_lo, s2, v0
	v_add_co_ci_u32_e32 v1, vcc_lo, s3, v1, vcc_lo
	s_waitcnt lgkmcnt(0)
	global_store_b64 v[0:1], v[3:4], off
.LBB111_61:
	s_nop 0
	s_sendmsg sendmsg(MSG_DEALLOC_VGPRS)
	s_endpgm
	.section	.rodata,"a",@progbits
	.p2align	6, 0x0
	.amdhsa_kernel _ZN9rocsparseL26csrgemm_group_reduce_part2ILj256ELj11EdllEEvT3_PKT2_PS1_Pij
		.amdhsa_group_segment_fixed_size 22528
		.amdhsa_private_segment_fixed_size 0
		.amdhsa_kernarg_size 296
		.amdhsa_user_sgpr_count 15
		.amdhsa_user_sgpr_dispatch_ptr 0
		.amdhsa_user_sgpr_queue_ptr 0
		.amdhsa_user_sgpr_kernarg_segment_ptr 1
		.amdhsa_user_sgpr_dispatch_id 0
		.amdhsa_user_sgpr_private_segment_size 0
		.amdhsa_wavefront_size32 1
		.amdhsa_uses_dynamic_stack 0
		.amdhsa_enable_private_segment 0
		.amdhsa_system_sgpr_workgroup_id_x 1
		.amdhsa_system_sgpr_workgroup_id_y 0
		.amdhsa_system_sgpr_workgroup_id_z 0
		.amdhsa_system_sgpr_workgroup_info 0
		.amdhsa_system_vgpr_workitem_id 0
		.amdhsa_next_free_vgpr 43
		.amdhsa_next_free_sgpr 27
		.amdhsa_reserve_vcc 1
		.amdhsa_float_round_mode_32 0
		.amdhsa_float_round_mode_16_64 0
		.amdhsa_float_denorm_mode_32 3
		.amdhsa_float_denorm_mode_16_64 3
		.amdhsa_dx10_clamp 1
		.amdhsa_ieee_mode 1
		.amdhsa_fp16_overflow 0
		.amdhsa_workgroup_processor_mode 1
		.amdhsa_memory_ordered 1
		.amdhsa_forward_progress 0
		.amdhsa_shared_vgpr_count 0
		.amdhsa_exception_fp_ieee_invalid_op 0
		.amdhsa_exception_fp_denorm_src 0
		.amdhsa_exception_fp_ieee_div_zero 0
		.amdhsa_exception_fp_ieee_overflow 0
		.amdhsa_exception_fp_ieee_underflow 0
		.amdhsa_exception_fp_ieee_inexact 0
		.amdhsa_exception_int_div_zero 0
	.end_amdhsa_kernel
	.section	.text._ZN9rocsparseL26csrgemm_group_reduce_part2ILj256ELj11EdllEEvT3_PKT2_PS1_Pij,"axG",@progbits,_ZN9rocsparseL26csrgemm_group_reduce_part2ILj256ELj11EdllEEvT3_PKT2_PS1_Pij,comdat
.Lfunc_end111:
	.size	_ZN9rocsparseL26csrgemm_group_reduce_part2ILj256ELj11EdllEEvT3_PKT2_PS1_Pij, .Lfunc_end111-_ZN9rocsparseL26csrgemm_group_reduce_part2ILj256ELj11EdllEEvT3_PKT2_PS1_Pij
                                        ; -- End function
	.section	.AMDGPU.csdata,"",@progbits
; Kernel info:
; codeLenInByte = 4176
; NumSgprs: 29
; NumVgprs: 43
; ScratchSize: 0
; MemoryBound: 0
; FloatMode: 240
; IeeeMode: 1
; LDSByteSize: 22528 bytes/workgroup (compile time only)
; SGPRBlocks: 3
; VGPRBlocks: 5
; NumSGPRsForWavesPerEU: 29
; NumVGPRsForWavesPerEU: 43
; Occupancy: 10
; WaveLimiterHint : 0
; COMPUTE_PGM_RSRC2:SCRATCH_EN: 0
; COMPUTE_PGM_RSRC2:USER_SGPR: 15
; COMPUTE_PGM_RSRC2:TRAP_HANDLER: 0
; COMPUTE_PGM_RSRC2:TGID_X_EN: 1
; COMPUTE_PGM_RSRC2:TGID_Y_EN: 0
; COMPUTE_PGM_RSRC2:TGID_Z_EN: 0
; COMPUTE_PGM_RSRC2:TIDIG_COMP_CNT: 0
	.section	.text._ZN9rocsparseL23csrgemm_fill_wf_per_rowILj256ELj8ELj16ELj137ElldEEvT4_S1_PKS1_S3_NS_24const_host_device_scalarIT5_EEPKT3_S3_PKS5_S9_S3_SB_S6_S9_S3_SB_S9_PS1_PS5_21rocsparse_index_base_SE_SE_SE_bbb,"axG",@progbits,_ZN9rocsparseL23csrgemm_fill_wf_per_rowILj256ELj8ELj16ELj137ElldEEvT4_S1_PKS1_S3_NS_24const_host_device_scalarIT5_EEPKT3_S3_PKS5_S9_S3_SB_S6_S9_S3_SB_S9_PS1_PS5_21rocsparse_index_base_SE_SE_SE_bbb,comdat
	.globl	_ZN9rocsparseL23csrgemm_fill_wf_per_rowILj256ELj8ELj16ELj137ElldEEvT4_S1_PKS1_S3_NS_24const_host_device_scalarIT5_EEPKT3_S3_PKS5_S9_S3_SB_S6_S9_S3_SB_S9_PS1_PS5_21rocsparse_index_base_SE_SE_SE_bbb ; -- Begin function _ZN9rocsparseL23csrgemm_fill_wf_per_rowILj256ELj8ELj16ELj137ElldEEvT4_S1_PKS1_S3_NS_24const_host_device_scalarIT5_EEPKT3_S3_PKS5_S9_S3_SB_S6_S9_S3_SB_S9_PS1_PS5_21rocsparse_index_base_SE_SE_SE_bbb
	.p2align	8
	.type	_ZN9rocsparseL23csrgemm_fill_wf_per_rowILj256ELj8ELj16ELj137ElldEEvT4_S1_PKS1_S3_NS_24const_host_device_scalarIT5_EEPKT3_S3_PKS5_S9_S3_SB_S6_S9_S3_SB_S9_PS1_PS5_21rocsparse_index_base_SE_SE_SE_bbb,@function
_ZN9rocsparseL23csrgemm_fill_wf_per_rowILj256ELj8ELj16ELj137ElldEEvT4_S1_PKS1_S3_NS_24const_host_device_scalarIT5_EEPKT3_S3_PKS5_S9_S3_SB_S6_S9_S3_SB_S9_PS1_PS5_21rocsparse_index_base_SE_SE_SE_bbb: ; @_ZN9rocsparseL23csrgemm_fill_wf_per_rowILj256ELj8ELj16ELj137ElldEEvT4_S1_PKS1_S3_NS_24const_host_device_scalarIT5_EEPKT3_S3_PKS5_S9_S3_SB_S6_S9_S3_SB_S9_PS1_PS5_21rocsparse_index_base_SE_SE_SE_bbb
; %bb.0:
	s_clause 0x3
	s_load_b32 s12, s[0:1], 0xa0
	s_load_b64 s[4:5], s[0:1], 0x20
	s_load_b128 s[24:27], s[0:1], 0x90
	s_load_b64 s[2:3], s[0:1], 0x58
	s_waitcnt lgkmcnt(0)
	s_and_b32 s6, 1, s12
	s_bitcmp1_b32 s12, 16
	s_cselect_b32 s14, -1, 0
	s_cmp_eq_u32 s6, 1
	s_cselect_b32 s13, -1, 0
	s_delay_alu instid0(SALU_CYCLE_1)
	s_and_b32 s6, s13, exec_lo
	s_cselect_b32 s7, s5, 0
	s_cselect_b32 s6, s4, 0
	s_xor_b32 s8, s13, -1
	v_dual_mov_b32 v9, s7 :: v_dual_mov_b32 v8, s6
	s_or_b32 s8, s8, s14
	s_delay_alu instid0(SALU_CYCLE_1)
	s_and_b32 vcc_lo, exec_lo, s8
	s_cbranch_vccnz .LBB112_2
; %bb.1:
	v_dual_mov_b32 v1, s4 :: v_dual_mov_b32 v2, s5
	flat_load_b64 v[8:9], v[1:2]
.LBB112_2:
	s_clause 0x4
	s_load_b128 s[28:31], s[0:1], 0x80
	s_load_b256 s[4:11], s[0:1], 0x60
	s_load_b128 s[36:39], s[0:1], 0x48
	s_load_b128 s[40:43], s[0:1], 0x10
	s_load_b256 s[16:23], s[0:1], 0x28
	s_bitcmp1_b32 s12, 8
	s_cselect_b32 s12, -1, 0
	s_delay_alu instid0(SALU_CYCLE_1)
	s_and_b32 s33, s12, exec_lo
	s_cselect_b32 s35, s3, 0
	s_cselect_b32 s34, s2, 0
	s_xor_b32 s33, s12, -1
	v_dual_mov_b32 v4, s34 :: v_dual_mov_b32 v5, s35
	s_or_b32 s14, s33, s14
	s_delay_alu instid0(SALU_CYCLE_1)
	s_and_b32 vcc_lo, exec_lo, s14
	s_cbranch_vccnz .LBB112_4
; %bb.3:
	v_dual_mov_b32 v1, s2 :: v_dual_mov_b32 v2, s3
	flat_load_b64 v[4:5], v[1:2]
.LBB112_4:
	s_load_b128 s[0:3], s[0:1], 0x0
	v_and_b32_e32 v26, 7, v0
	v_lshrrev_b32_e32 v6, 3, v0
	s_mov_b32 s14, 0
	s_delay_alu instid0(VALU_DEP_2) | instskip(NEXT) | instid1(VALU_DEP_1)
	v_dual_mov_b32 v0, 0 :: v_dual_lshlrev_b32 v1, 3, v26
	v_lshl_or_b32 v22, v6, 7, v1
	s_delay_alu instid0(VALU_DEP_2) | instskip(SKIP_1) | instid1(VALU_DEP_1)
	v_mov_b32_e32 v1, v0
	v_or_b32_e32 v23, -8, v26
	v_dual_mov_b32 v7, v22 :: v_dual_mov_b32 v10, v23
	s_waitcnt lgkmcnt(0)
	v_dual_mov_b32 v2, s2 :: v_dual_mov_b32 v3, s3
.LBB112_5:                              ; =>This Inner Loop Header: Depth=1
	s_delay_alu instid0(VALU_DEP_2) | instskip(NEXT) | instid1(VALU_DEP_1)
	v_add_co_u32 v10, s33, v10, 8
	s_xor_b32 s33, s33, -1
	ds_store_2addr_stride64_b64 v7, v[0:1], v[2:3] offset1:8
	v_add_nc_u32_e32 v7, 64, v7
	s_and_b32 s33, exec_lo, s33
	s_delay_alu instid0(SALU_CYCLE_1) | instskip(NEXT) | instid1(SALU_CYCLE_1)
	s_or_b32 s14, s33, s14
	s_and_not1_b32 exec_lo, exec_lo, s14
	s_cbranch_execnz .LBB112_5
; %bb.6:
	s_or_b32 exec_lo, exec_lo, s14
	s_lshl_b32 s14, s15, 5
	v_mov_b32_e32 v1, 0
	v_and_or_b32 v0, 0x1fffffe0, s14, v6
	s_waitcnt vmcnt(0) lgkmcnt(0)
	buffer_gl0_inv
	v_cmp_gt_i64_e32 vcc_lo, s[0:1], v[0:1]
	s_and_saveexec_b32 s0, vcc_lo
	s_cbranch_execz .LBB112_58
; %bb.7:
	s_cmp_eq_u64 s[42:43], 0
	s_cbranch_scc1 .LBB112_9
; %bb.8:
	s_load_b64 s[0:1], s[40:41], 0x0
	v_lshlrev_b32_e32 v0, 3, v0
	s_waitcnt lgkmcnt(0)
	s_lshl_b64 s[0:1], s[0:1], 3
	s_delay_alu instid0(SALU_CYCLE_1)
	s_add_u32 s0, s42, s0
	s_addc_u32 s1, s43, s1
	global_load_b64 v[0:1], v0, s[0:1]
.LBB112_9:
	v_lshlrev_b32_e32 v25, 7, v6
	s_waitcnt vmcnt(0)
	v_lshlrev_b64 v[6:7], 3, v[0:1]
	s_and_not1_b32 vcc_lo, exec_lo, s13
	s_delay_alu instid0(VALU_DEP_2)
	v_or_b32_e32 v24, 0x1000, v25
	s_cbranch_vccnz .LBB112_33
; %bb.10:
	s_delay_alu instid0(VALU_DEP_2) | instskip(NEXT) | instid1(VALU_DEP_3)
	v_add_co_u32 v0, vcc_lo, s16, v6
	v_add_co_ci_u32_e32 v1, vcc_lo, s17, v7, vcc_lo
	v_sub_co_u32 v12, s0, v26, s24
	s_delay_alu instid0(VALU_DEP_1)
	v_sub_co_ci_u32_e64 v13, null, 0, 0, s0
	global_load_b128 v[0:3], v[0:1], off
	s_mov_b32 s1, 0
	s_mov_b32 s0, exec_lo
	s_waitcnt vmcnt(0)
	v_sub_co_u32 v10, vcc_lo, v2, s24
	v_subrev_co_ci_u32_e32 v11, vcc_lo, 0, v3, vcc_lo
	v_add_co_u32 v12, vcc_lo, v0, v12
	v_add_co_ci_u32_e32 v13, vcc_lo, v1, v13, vcc_lo
	s_delay_alu instid0(VALU_DEP_1)
	v_cmpx_lt_i64_e64 v[12:13], v[10:11]
	s_cbranch_execz .LBB112_32
; %bb.11:
	s_mov_b32 s13, s25
	s_branch .LBB112_13
.LBB112_12:                             ;   in Loop: Header=BB112_13 Depth=1
	s_or_b32 exec_lo, exec_lo, s14
	v_add_co_u32 v12, vcc_lo, v12, 8
	v_add_co_ci_u32_e32 v13, vcc_lo, 0, v13, vcc_lo
	s_delay_alu instid0(VALU_DEP_1) | instskip(SKIP_1) | instid1(SALU_CYCLE_1)
	v_cmp_ge_i64_e32 vcc_lo, v[12:13], v[10:11]
	s_or_b32 s1, vcc_lo, s1
	s_and_not1_b32 exec_lo, exec_lo, s1
	s_cbranch_execz .LBB112_32
.LBB112_13:                             ; =>This Loop Header: Depth=1
                                        ;     Child Loop BB112_16 Depth 2
                                        ;       Child Loop BB112_18 Depth 3
                                        ;         Child Loop BB112_24 Depth 4
                                        ;         Child Loop BB112_30 Depth 4
	v_lshlrev_b64 v[14:15], 3, v[12:13]
	s_mov_b32 s14, exec_lo
	s_delay_alu instid0(VALU_DEP_1) | instskip(NEXT) | instid1(VALU_DEP_2)
	v_add_co_u32 v0, vcc_lo, s18, v14
	v_add_co_ci_u32_e32 v1, vcc_lo, s19, v15, vcc_lo
	global_load_b64 v[0:1], v[0:1], off
	s_waitcnt vmcnt(0)
	v_sub_co_u32 v0, vcc_lo, v0, s24
	v_subrev_co_ci_u32_e32 v1, vcc_lo, 0, v1, vcc_lo
	s_delay_alu instid0(VALU_DEP_1) | instskip(NEXT) | instid1(VALU_DEP_1)
	v_lshlrev_b64 v[0:1], 3, v[0:1]
	v_add_co_u32 v0, vcc_lo, s22, v0
	s_delay_alu instid0(VALU_DEP_2)
	v_add_co_ci_u32_e32 v1, vcc_lo, s23, v1, vcc_lo
	global_load_b128 v[0:3], v[0:1], off
	s_waitcnt vmcnt(0)
	v_cmpx_lt_i64_e64 v[0:1], v[2:3]
	s_cbranch_execz .LBB112_12
; %bb.14:                               ;   in Loop: Header=BB112_13 Depth=1
	v_add_co_u32 v14, vcc_lo, s20, v14
	v_add_co_ci_u32_e32 v15, vcc_lo, s21, v15, vcc_lo
	v_sub_co_u32 v2, vcc_lo, v2, s13
	v_subrev_co_ci_u32_e32 v3, vcc_lo, 0, v3, vcc_lo
	global_load_b64 v[14:15], v[14:15], off
	v_sub_co_u32 v0, vcc_lo, v0, s13
	v_subrev_co_ci_u32_e32 v1, vcc_lo, 0, v1, vcc_lo
	s_mov_b32 s15, 0
	s_waitcnt vmcnt(0)
	v_mul_f64 v[14:15], v[8:9], v[14:15]
	s_branch .LBB112_16
.LBB112_15:                             ;   in Loop: Header=BB112_16 Depth=2
	s_or_b32 exec_lo, exec_lo, s16
	v_add_co_u32 v0, vcc_lo, v0, 1
	v_add_co_ci_u32_e32 v1, vcc_lo, 0, v1, vcc_lo
	s_delay_alu instid0(VALU_DEP_1) | instskip(SKIP_1) | instid1(SALU_CYCLE_1)
	v_cmp_ge_i64_e32 vcc_lo, v[0:1], v[2:3]
	s_or_b32 s15, vcc_lo, s15
	s_and_not1_b32 exec_lo, exec_lo, s15
	s_cbranch_execz .LBB112_12
.LBB112_16:                             ;   Parent Loop BB112_13 Depth=1
                                        ; =>  This Loop Header: Depth=2
                                        ;       Child Loop BB112_18 Depth 3
                                        ;         Child Loop BB112_24 Depth 4
                                        ;         Child Loop BB112_30 Depth 4
	v_lshlrev_b64 v[16:17], 3, v[0:1]
	s_mov_b32 s16, 0
	s_delay_alu instid0(VALU_DEP_1) | instskip(NEXT) | instid1(VALU_DEP_2)
	v_add_co_u32 v18, vcc_lo, s38, v16
	v_add_co_ci_u32_e32 v19, vcc_lo, s39, v17, vcc_lo
	v_add_co_u32 v16, vcc_lo, s36, v16
	v_add_co_ci_u32_e32 v17, vcc_lo, s37, v17, vcc_lo
	global_load_b64 v[18:19], v[18:19], off
	global_load_b64 v[20:21], v[16:17], off
	s_waitcnt vmcnt(1)
	v_mul_f64 v[16:17], v[14:15], v[18:19]
	s_waitcnt vmcnt(0)
	v_sub_co_u32 v18, vcc_lo, v20, s13
	v_subrev_co_ci_u32_e32 v19, vcc_lo, 0, v21, vcc_lo
	s_delay_alu instid0(VALU_DEP_2) | instskip(NEXT) | instid1(VALU_DEP_1)
	v_lshl_add_u32 v20, v18, 3, v18
	v_and_b32_e32 v27, 15, v20
	s_branch .LBB112_18
.LBB112_17:                             ;   in Loop: Header=BB112_18 Depth=3
	s_or_b32 exec_lo, exec_lo, s17
	s_xor_b32 s17, s25, -1
	s_delay_alu instid0(SALU_CYCLE_1) | instskip(NEXT) | instid1(SALU_CYCLE_1)
	s_and_b32 s17, exec_lo, s17
	s_or_b32 s16, s17, s16
	s_delay_alu instid0(SALU_CYCLE_1)
	s_and_not1_b32 exec_lo, exec_lo, s16
	s_cbranch_execz .LBB112_15
.LBB112_18:                             ;   Parent Loop BB112_13 Depth=1
                                        ;     Parent Loop BB112_16 Depth=2
                                        ; =>    This Loop Header: Depth=3
                                        ;         Child Loop BB112_24 Depth 4
                                        ;         Child Loop BB112_30 Depth 4
	s_delay_alu instid0(VALU_DEP_1)
	v_lshl_add_u32 v28, v27, 3, v24
	s_mov_b32 s17, exec_lo
                                        ; implicit-def: $sgpr25
	ds_load_b64 v[20:21], v28
	s_waitcnt lgkmcnt(0)
	v_cmpx_ne_u64_e64 v[20:21], v[18:19]
	s_xor_b32 s17, exec_lo, s17
	s_cbranch_execz .LBB112_28
; %bb.19:                               ;   in Loop: Header=BB112_18 Depth=3
	s_mov_b32 s33, exec_lo
                                        ; implicit-def: $sgpr25
	v_cmpx_ne_u64_e64 s[2:3], v[20:21]
	s_xor_b32 s33, exec_lo, s33
; %bb.20:                               ;   in Loop: Header=BB112_18 Depth=3
	v_add_nc_u32_e32 v20, 1, v27
	s_mov_b32 s25, -1
                                        ; implicit-def: $vgpr28
	s_delay_alu instid0(VALU_DEP_1)
	v_and_b32_e32 v27, 15, v20
; %bb.21:                               ;   in Loop: Header=BB112_18 Depth=3
	s_and_not1_saveexec_b32 s33, s33
	s_cbranch_execz .LBB112_27
; %bb.22:                               ;   in Loop: Header=BB112_18 Depth=3
	v_dual_mov_b32 v21, s3 :: v_dual_mov_b32 v20, s2
	s_mov_b32 s35, -1
	s_mov_b32 s34, exec_lo
	ds_cmpstore_rtn_b64 v[20:21], v28, v[18:19], v[20:21]
	s_waitcnt lgkmcnt(0)
	v_cmpx_eq_u64_e64 s[2:3], v[20:21]
	s_cbranch_execz .LBB112_26
; %bb.23:                               ;   in Loop: Header=BB112_18 Depth=3
	v_lshl_add_u32 v28, v27, 3, v25
	s_mov_b32 s35, 0
	ds_load_b64 v[20:21], v28
.LBB112_24:                             ;   Parent Loop BB112_13 Depth=1
                                        ;     Parent Loop BB112_16 Depth=2
                                        ;       Parent Loop BB112_18 Depth=3
                                        ; =>      This Inner Loop Header: Depth=4
	s_waitcnt lgkmcnt(0)
	v_add_f64 v[29:30], v[20:21], v[16:17]
	ds_cmpstore_rtn_b64 v[29:30], v28, v[29:30], v[20:21]
	s_waitcnt lgkmcnt(0)
	v_cmp_eq_u64_e32 vcc_lo, v[29:30], v[20:21]
	v_dual_mov_b32 v20, v29 :: v_dual_mov_b32 v21, v30
	s_or_b32 s35, vcc_lo, s35
	s_delay_alu instid0(SALU_CYCLE_1)
	s_and_not1_b32 exec_lo, exec_lo, s35
	s_cbranch_execnz .LBB112_24
; %bb.25:                               ;   in Loop: Header=BB112_18 Depth=3
	s_or_b32 exec_lo, exec_lo, s35
	s_delay_alu instid0(SALU_CYCLE_1)
	s_xor_b32 s35, exec_lo, -1
.LBB112_26:                             ;   in Loop: Header=BB112_18 Depth=3
	s_or_b32 exec_lo, exec_lo, s34
	s_delay_alu instid0(SALU_CYCLE_1) | instskip(SKIP_1) | instid1(SALU_CYCLE_1)
	s_and_not1_b32 s25, s25, exec_lo
	s_and_b32 s34, s35, exec_lo
	s_or_b32 s25, s25, s34
.LBB112_27:                             ;   in Loop: Header=BB112_18 Depth=3
	s_or_b32 exec_lo, exec_lo, s33
	s_delay_alu instid0(SALU_CYCLE_1)
	s_and_b32 s25, s25, exec_lo
.LBB112_28:                             ;   in Loop: Header=BB112_18 Depth=3
	s_and_not1_saveexec_b32 s17, s17
	s_cbranch_execz .LBB112_17
; %bb.29:                               ;   in Loop: Header=BB112_18 Depth=3
	v_lshl_add_u32 v28, v27, 3, v25
	s_mov_b32 s33, 0
	ds_load_b64 v[20:21], v28
.LBB112_30:                             ;   Parent Loop BB112_13 Depth=1
                                        ;     Parent Loop BB112_16 Depth=2
                                        ;       Parent Loop BB112_18 Depth=3
                                        ; =>      This Inner Loop Header: Depth=4
	s_waitcnt lgkmcnt(0)
	v_add_f64 v[29:30], v[20:21], v[16:17]
	ds_cmpstore_rtn_b64 v[29:30], v28, v[29:30], v[20:21]
	s_waitcnt lgkmcnt(0)
	v_cmp_eq_u64_e32 vcc_lo, v[29:30], v[20:21]
	v_dual_mov_b32 v20, v29 :: v_dual_mov_b32 v21, v30
	s_or_b32 s33, vcc_lo, s33
	s_delay_alu instid0(SALU_CYCLE_1)
	s_and_not1_b32 exec_lo, exec_lo, s33
	s_cbranch_execnz .LBB112_30
; %bb.31:                               ;   in Loop: Header=BB112_18 Depth=3
	s_or_b32 exec_lo, exec_lo, s33
	s_delay_alu instid0(SALU_CYCLE_1)
	s_and_not1_b32 s25, s25, exec_lo
	s_branch .LBB112_17
.LBB112_32:
	s_or_b32 exec_lo, exec_lo, s0
.LBB112_33:
	s_delay_alu instid0(SALU_CYCLE_1)
	s_and_not1_b32 vcc_lo, exec_lo, s12
	s_cbranch_vccnz .LBB112_54
; %bb.34:
	v_add_co_u32 v0, vcc_lo, s4, v6
	v_add_co_ci_u32_e32 v1, vcc_lo, s5, v7, vcc_lo
	v_sub_co_u32 v2, s0, v26, s27
	s_delay_alu instid0(VALU_DEP_1)
	v_sub_co_ci_u32_e64 v3, null, 0, 0, s0
	global_load_b128 v[8:11], v[0:1], off
	s_mov_b32 s0, 0
	s_mov_b32 s1, exec_lo
	s_waitcnt vmcnt(0)
	v_sub_co_u32 v0, vcc_lo, v10, s27
	v_subrev_co_ci_u32_e32 v1, vcc_lo, 0, v11, vcc_lo
	v_add_co_u32 v2, vcc_lo, v8, v2
	v_add_co_ci_u32_e32 v3, vcc_lo, v9, v3, vcc_lo
	s_delay_alu instid0(VALU_DEP_1)
	v_cmpx_lt_i64_e64 v[2:3], v[0:1]
	s_cbranch_execz .LBB112_53
; %bb.35:
	s_mov_b32 s4, s27
	s_branch .LBB112_37
.LBB112_36:                             ;   in Loop: Header=BB112_37 Depth=1
	s_or_b32 exec_lo, exec_lo, s5
	v_add_co_u32 v2, vcc_lo, v2, 8
	v_add_co_ci_u32_e32 v3, vcc_lo, 0, v3, vcc_lo
	s_delay_alu instid0(VALU_DEP_1) | instskip(SKIP_1) | instid1(SALU_CYCLE_1)
	v_cmp_ge_i64_e32 vcc_lo, v[2:3], v[0:1]
	s_or_b32 s0, vcc_lo, s0
	s_and_not1_b32 exec_lo, exec_lo, s0
	s_cbranch_execz .LBB112_53
.LBB112_37:                             ; =>This Loop Header: Depth=1
                                        ;     Child Loop BB112_39 Depth 2
                                        ;       Child Loop BB112_45 Depth 3
                                        ;       Child Loop BB112_51 Depth 3
	v_lshlrev_b64 v[8:9], 3, v[2:3]
	s_mov_b32 s5, 0
	s_delay_alu instid0(VALU_DEP_1) | instskip(NEXT) | instid1(VALU_DEP_2)
	v_add_co_u32 v10, vcc_lo, s8, v8
	v_add_co_ci_u32_e32 v11, vcc_lo, s9, v9, vcc_lo
	v_add_co_u32 v8, vcc_lo, s6, v8
	v_add_co_ci_u32_e32 v9, vcc_lo, s7, v9, vcc_lo
	global_load_b64 v[10:11], v[10:11], off
	global_load_b64 v[12:13], v[8:9], off
	s_waitcnt vmcnt(1)
	v_mul_f64 v[8:9], v[4:5], v[10:11]
	s_waitcnt vmcnt(0)
	v_sub_co_u32 v10, vcc_lo, v12, s4
	v_subrev_co_ci_u32_e32 v11, vcc_lo, 0, v13, vcc_lo
	s_delay_alu instid0(VALU_DEP_2) | instskip(NEXT) | instid1(VALU_DEP_1)
	v_lshl_add_u32 v12, v10, 3, v10
	v_and_b32_e32 v14, 15, v12
	s_branch .LBB112_39
.LBB112_38:                             ;   in Loop: Header=BB112_39 Depth=2
	s_or_b32 exec_lo, exec_lo, s12
	s_xor_b32 s12, s13, -1
	s_delay_alu instid0(SALU_CYCLE_1) | instskip(NEXT) | instid1(SALU_CYCLE_1)
	s_and_b32 s12, exec_lo, s12
	s_or_b32 s5, s12, s5
	s_delay_alu instid0(SALU_CYCLE_1)
	s_and_not1_b32 exec_lo, exec_lo, s5
	s_cbranch_execz .LBB112_36
.LBB112_39:                             ;   Parent Loop BB112_37 Depth=1
                                        ; =>  This Loop Header: Depth=2
                                        ;       Child Loop BB112_45 Depth 3
                                        ;       Child Loop BB112_51 Depth 3
	s_delay_alu instid0(VALU_DEP_1)
	v_lshl_add_u32 v15, v14, 3, v24
	s_mov_b32 s12, exec_lo
                                        ; implicit-def: $sgpr13
	ds_load_b64 v[12:13], v15
	s_waitcnt lgkmcnt(0)
	v_cmpx_ne_u64_e64 v[12:13], v[10:11]
	s_xor_b32 s12, exec_lo, s12
	s_cbranch_execz .LBB112_49
; %bb.40:                               ;   in Loop: Header=BB112_39 Depth=2
	s_mov_b32 s14, exec_lo
                                        ; implicit-def: $sgpr13
	v_cmpx_ne_u64_e64 s[2:3], v[12:13]
	s_xor_b32 s14, exec_lo, s14
; %bb.41:                               ;   in Loop: Header=BB112_39 Depth=2
	v_add_nc_u32_e32 v12, 1, v14
	s_mov_b32 s13, -1
                                        ; implicit-def: $vgpr15
	s_delay_alu instid0(VALU_DEP_1)
	v_and_b32_e32 v14, 15, v12
; %bb.42:                               ;   in Loop: Header=BB112_39 Depth=2
	s_and_not1_saveexec_b32 s14, s14
	s_cbranch_execz .LBB112_48
; %bb.43:                               ;   in Loop: Header=BB112_39 Depth=2
	v_dual_mov_b32 v13, s3 :: v_dual_mov_b32 v12, s2
	s_mov_b32 s16, -1
	s_mov_b32 s15, exec_lo
	ds_cmpstore_rtn_b64 v[12:13], v15, v[10:11], v[12:13]
	s_waitcnt lgkmcnt(0)
	v_cmpx_eq_u64_e64 s[2:3], v[12:13]
	s_cbranch_execz .LBB112_47
; %bb.44:                               ;   in Loop: Header=BB112_39 Depth=2
	v_lshl_add_u32 v15, v14, 3, v25
	s_mov_b32 s16, 0
	ds_load_b64 v[12:13], v15
.LBB112_45:                             ;   Parent Loop BB112_37 Depth=1
                                        ;     Parent Loop BB112_39 Depth=2
                                        ; =>    This Inner Loop Header: Depth=3
	s_waitcnt lgkmcnt(0)
	v_add_f64 v[16:17], v[12:13], v[8:9]
	ds_cmpstore_rtn_b64 v[16:17], v15, v[16:17], v[12:13]
	s_waitcnt lgkmcnt(0)
	v_cmp_eq_u64_e32 vcc_lo, v[16:17], v[12:13]
	v_dual_mov_b32 v12, v16 :: v_dual_mov_b32 v13, v17
	s_or_b32 s16, vcc_lo, s16
	s_delay_alu instid0(SALU_CYCLE_1)
	s_and_not1_b32 exec_lo, exec_lo, s16
	s_cbranch_execnz .LBB112_45
; %bb.46:                               ;   in Loop: Header=BB112_39 Depth=2
	s_or_b32 exec_lo, exec_lo, s16
	s_delay_alu instid0(SALU_CYCLE_1)
	s_xor_b32 s16, exec_lo, -1
.LBB112_47:                             ;   in Loop: Header=BB112_39 Depth=2
	s_or_b32 exec_lo, exec_lo, s15
	s_delay_alu instid0(SALU_CYCLE_1) | instskip(SKIP_1) | instid1(SALU_CYCLE_1)
	s_and_not1_b32 s13, s13, exec_lo
	s_and_b32 s15, s16, exec_lo
	s_or_b32 s13, s13, s15
.LBB112_48:                             ;   in Loop: Header=BB112_39 Depth=2
	s_or_b32 exec_lo, exec_lo, s14
	s_delay_alu instid0(SALU_CYCLE_1)
	s_and_b32 s13, s13, exec_lo
.LBB112_49:                             ;   in Loop: Header=BB112_39 Depth=2
	s_and_not1_saveexec_b32 s12, s12
	s_cbranch_execz .LBB112_38
; %bb.50:                               ;   in Loop: Header=BB112_39 Depth=2
	v_lshl_add_u32 v15, v14, 3, v25
	s_mov_b32 s14, 0
	ds_load_b64 v[12:13], v15
.LBB112_51:                             ;   Parent Loop BB112_37 Depth=1
                                        ;     Parent Loop BB112_39 Depth=2
                                        ; =>    This Inner Loop Header: Depth=3
	s_waitcnt lgkmcnt(0)
	v_add_f64 v[16:17], v[12:13], v[8:9]
	ds_cmpstore_rtn_b64 v[16:17], v15, v[16:17], v[12:13]
	s_waitcnt lgkmcnt(0)
	v_cmp_eq_u64_e32 vcc_lo, v[16:17], v[12:13]
	v_dual_mov_b32 v12, v16 :: v_dual_mov_b32 v13, v17
	s_or_b32 s14, vcc_lo, s14
	s_delay_alu instid0(SALU_CYCLE_1)
	s_and_not1_b32 exec_lo, exec_lo, s14
	s_cbranch_execnz .LBB112_51
; %bb.52:                               ;   in Loop: Header=BB112_39 Depth=2
	s_or_b32 exec_lo, exec_lo, s14
	s_delay_alu instid0(SALU_CYCLE_1)
	s_and_not1_b32 s13, s13, exec_lo
	s_branch .LBB112_38
.LBB112_53:
	s_or_b32 exec_lo, exec_lo, s1
.LBB112_54:
	v_add_co_u32 v0, vcc_lo, s10, v6
	v_add_co_ci_u32_e32 v1, vcc_lo, s11, v7, vcc_lo
	buffer_gl0_inv
	s_mov_b32 s0, 0
	global_load_b64 v[0:1], v[0:1], off
	s_waitcnt vmcnt(0)
	v_sub_co_u32 v2, vcc_lo, v0, s26
	v_subrev_co_ci_u32_e32 v3, vcc_lo, 0, v1, vcc_lo
	s_branch .LBB112_56
.LBB112_55:                             ;   in Loop: Header=BB112_56 Depth=1
	s_or_b32 exec_lo, exec_lo, s1
	v_add_co_u32 v23, s1, v23, 8
	s_delay_alu instid0(VALU_DEP_1) | instskip(SKIP_2) | instid1(SALU_CYCLE_1)
	s_xor_b32 s1, s1, -1
	v_add_nc_u32_e32 v22, 64, v22
	s_and_b32 s1, exec_lo, s1
	s_or_b32 s0, s1, s0
	s_delay_alu instid0(SALU_CYCLE_1)
	s_and_not1_b32 exec_lo, exec_lo, s0
	s_cbranch_execz .LBB112_58
.LBB112_56:                             ; =>This Inner Loop Header: Depth=1
	ds_load_b64 v[0:1], v22 offset:4096
	s_mov_b32 s1, exec_lo
	s_waitcnt lgkmcnt(0)
	v_cmpx_gt_i64_e64 s[2:3], v[0:1]
	s_cbranch_execz .LBB112_55
; %bb.57:                               ;   in Loop: Header=BB112_56 Depth=1
	ds_load_b128 v[4:7], v24
	ds_load_b128 v[8:11], v24 offset:16
	ds_load_b128 v[12:15], v24 offset:32
	;; [unrolled: 1-line block ×7, first 2 shown]
	s_waitcnt lgkmcnt(7)
	v_cmp_gt_i64_e32 vcc_lo, v[0:1], v[4:5]
	v_cndmask_b32_e64 v4, 0, 1, vcc_lo
	v_cmp_gt_i64_e32 vcc_lo, v[0:1], v[6:7]
	v_cndmask_b32_e64 v5, 0, 1, vcc_lo
	s_delay_alu instid0(VALU_DEP_3)
	v_add_co_u32 v4, vcc_lo, v2, v4
	v_add_co_ci_u32_e32 v6, vcc_lo, 0, v3, vcc_lo
	s_waitcnt lgkmcnt(6)
	v_cmp_gt_i64_e32 vcc_lo, v[0:1], v[8:9]
	v_cndmask_b32_e64 v7, 0, 1, vcc_lo
	v_add_co_u32 v4, vcc_lo, v4, v5
	v_add_co_ci_u32_e32 v5, vcc_lo, 0, v6, vcc_lo
	v_cmp_gt_i64_e32 vcc_lo, v[0:1], v[10:11]
	v_cndmask_b32_e64 v6, 0, 1, vcc_lo
	s_delay_alu instid0(VALU_DEP_4) | instskip(NEXT) | instid1(VALU_DEP_4)
	v_add_co_u32 v4, vcc_lo, v4, v7
	v_add_co_ci_u32_e32 v5, vcc_lo, 0, v5, vcc_lo
	s_waitcnt lgkmcnt(5)
	v_cmp_gt_i64_e32 vcc_lo, v[0:1], v[12:13]
	v_cndmask_b32_e64 v7, 0, 1, vcc_lo
	v_add_co_u32 v4, vcc_lo, v4, v6
	v_add_co_ci_u32_e32 v5, vcc_lo, 0, v5, vcc_lo
	v_cmp_gt_i64_e32 vcc_lo, v[0:1], v[14:15]
	v_cndmask_b32_e64 v6, 0, 1, vcc_lo
	s_delay_alu instid0(VALU_DEP_4) | instskip(NEXT) | instid1(VALU_DEP_4)
	;; [unrolled: 10-line block ×7, first 2 shown]
	v_add_co_u32 v4, vcc_lo, v4, v7
	v_add_co_ci_u32_e32 v5, vcc_lo, 0, v5, vcc_lo
	s_delay_alu instid0(VALU_DEP_2) | instskip(NEXT) | instid1(VALU_DEP_2)
	v_add_co_u32 v4, vcc_lo, v4, v6
	v_add_co_ci_u32_e32 v5, vcc_lo, 0, v5, vcc_lo
	ds_load_b64 v[6:7], v22
	v_add_co_u32 v0, vcc_lo, v0, s26
	v_lshlrev_b64 v[4:5], 3, v[4:5]
	v_add_co_ci_u32_e32 v1, vcc_lo, 0, v1, vcc_lo
	s_delay_alu instid0(VALU_DEP_2) | instskip(NEXT) | instid1(VALU_DEP_3)
	v_add_co_u32 v8, vcc_lo, s28, v4
	v_add_co_ci_u32_e32 v9, vcc_lo, s29, v5, vcc_lo
	v_add_co_u32 v4, vcc_lo, s30, v4
	v_add_co_ci_u32_e32 v5, vcc_lo, s31, v5, vcc_lo
	global_store_b64 v[8:9], v[0:1], off
	s_waitcnt lgkmcnt(0)
	global_store_b64 v[4:5], v[6:7], off
	s_branch .LBB112_55
.LBB112_58:
	s_nop 0
	s_sendmsg sendmsg(MSG_DEALLOC_VGPRS)
	s_endpgm
	.section	.rodata,"a",@progbits
	.p2align	6, 0x0
	.amdhsa_kernel _ZN9rocsparseL23csrgemm_fill_wf_per_rowILj256ELj8ELj16ELj137ElldEEvT4_S1_PKS1_S3_NS_24const_host_device_scalarIT5_EEPKT3_S3_PKS5_S9_S3_SB_S6_S9_S3_SB_S9_PS1_PS5_21rocsparse_index_base_SE_SE_SE_bbb
		.amdhsa_group_segment_fixed_size 8192
		.amdhsa_private_segment_fixed_size 0
		.amdhsa_kernarg_size 164
		.amdhsa_user_sgpr_count 15
		.amdhsa_user_sgpr_dispatch_ptr 0
		.amdhsa_user_sgpr_queue_ptr 0
		.amdhsa_user_sgpr_kernarg_segment_ptr 1
		.amdhsa_user_sgpr_dispatch_id 0
		.amdhsa_user_sgpr_private_segment_size 0
		.amdhsa_wavefront_size32 1
		.amdhsa_uses_dynamic_stack 0
		.amdhsa_enable_private_segment 0
		.amdhsa_system_sgpr_workgroup_id_x 1
		.amdhsa_system_sgpr_workgroup_id_y 0
		.amdhsa_system_sgpr_workgroup_id_z 0
		.amdhsa_system_sgpr_workgroup_info 0
		.amdhsa_system_vgpr_workitem_id 0
		.amdhsa_next_free_vgpr 41
		.amdhsa_next_free_sgpr 44
		.amdhsa_reserve_vcc 1
		.amdhsa_float_round_mode_32 0
		.amdhsa_float_round_mode_16_64 0
		.amdhsa_float_denorm_mode_32 3
		.amdhsa_float_denorm_mode_16_64 3
		.amdhsa_dx10_clamp 1
		.amdhsa_ieee_mode 1
		.amdhsa_fp16_overflow 0
		.amdhsa_workgroup_processor_mode 1
		.amdhsa_memory_ordered 1
		.amdhsa_forward_progress 0
		.amdhsa_shared_vgpr_count 0
		.amdhsa_exception_fp_ieee_invalid_op 0
		.amdhsa_exception_fp_denorm_src 0
		.amdhsa_exception_fp_ieee_div_zero 0
		.amdhsa_exception_fp_ieee_overflow 0
		.amdhsa_exception_fp_ieee_underflow 0
		.amdhsa_exception_fp_ieee_inexact 0
		.amdhsa_exception_int_div_zero 0
	.end_amdhsa_kernel
	.section	.text._ZN9rocsparseL23csrgemm_fill_wf_per_rowILj256ELj8ELj16ELj137ElldEEvT4_S1_PKS1_S3_NS_24const_host_device_scalarIT5_EEPKT3_S3_PKS5_S9_S3_SB_S6_S9_S3_SB_S9_PS1_PS5_21rocsparse_index_base_SE_SE_SE_bbb,"axG",@progbits,_ZN9rocsparseL23csrgemm_fill_wf_per_rowILj256ELj8ELj16ELj137ElldEEvT4_S1_PKS1_S3_NS_24const_host_device_scalarIT5_EEPKT3_S3_PKS5_S9_S3_SB_S6_S9_S3_SB_S9_PS1_PS5_21rocsparse_index_base_SE_SE_SE_bbb,comdat
.Lfunc_end112:
	.size	_ZN9rocsparseL23csrgemm_fill_wf_per_rowILj256ELj8ELj16ELj137ElldEEvT4_S1_PKS1_S3_NS_24const_host_device_scalarIT5_EEPKT3_S3_PKS5_S9_S3_SB_S6_S9_S3_SB_S9_PS1_PS5_21rocsparse_index_base_SE_SE_SE_bbb, .Lfunc_end112-_ZN9rocsparseL23csrgemm_fill_wf_per_rowILj256ELj8ELj16ELj137ElldEEvT4_S1_PKS1_S3_NS_24const_host_device_scalarIT5_EEPKT3_S3_PKS5_S9_S3_SB_S6_S9_S3_SB_S9_PS1_PS5_21rocsparse_index_base_SE_SE_SE_bbb
                                        ; -- End function
	.section	.AMDGPU.csdata,"",@progbits
; Kernel info:
; codeLenInByte = 2660
; NumSgprs: 46
; NumVgprs: 41
; ScratchSize: 0
; MemoryBound: 0
; FloatMode: 240
; IeeeMode: 1
; LDSByteSize: 8192 bytes/workgroup (compile time only)
; SGPRBlocks: 5
; VGPRBlocks: 5
; NumSGPRsForWavesPerEU: 46
; NumVGPRsForWavesPerEU: 41
; Occupancy: 16
; WaveLimiterHint : 1
; COMPUTE_PGM_RSRC2:SCRATCH_EN: 0
; COMPUTE_PGM_RSRC2:USER_SGPR: 15
; COMPUTE_PGM_RSRC2:TRAP_HANDLER: 0
; COMPUTE_PGM_RSRC2:TGID_X_EN: 1
; COMPUTE_PGM_RSRC2:TGID_Y_EN: 0
; COMPUTE_PGM_RSRC2:TGID_Z_EN: 0
; COMPUTE_PGM_RSRC2:TIDIG_COMP_CNT: 0
	.section	.text._ZN9rocsparseL23csrgemm_fill_wf_per_rowILj256ELj16ELj32ELj137ElldEEvT4_S1_PKS1_S3_NS_24const_host_device_scalarIT5_EEPKT3_S3_PKS5_S9_S3_SB_S6_S9_S3_SB_S9_PS1_PS5_21rocsparse_index_base_SE_SE_SE_bbb,"axG",@progbits,_ZN9rocsparseL23csrgemm_fill_wf_per_rowILj256ELj16ELj32ELj137ElldEEvT4_S1_PKS1_S3_NS_24const_host_device_scalarIT5_EEPKT3_S3_PKS5_S9_S3_SB_S6_S9_S3_SB_S9_PS1_PS5_21rocsparse_index_base_SE_SE_SE_bbb,comdat
	.globl	_ZN9rocsparseL23csrgemm_fill_wf_per_rowILj256ELj16ELj32ELj137ElldEEvT4_S1_PKS1_S3_NS_24const_host_device_scalarIT5_EEPKT3_S3_PKS5_S9_S3_SB_S6_S9_S3_SB_S9_PS1_PS5_21rocsparse_index_base_SE_SE_SE_bbb ; -- Begin function _ZN9rocsparseL23csrgemm_fill_wf_per_rowILj256ELj16ELj32ELj137ElldEEvT4_S1_PKS1_S3_NS_24const_host_device_scalarIT5_EEPKT3_S3_PKS5_S9_S3_SB_S6_S9_S3_SB_S9_PS1_PS5_21rocsparse_index_base_SE_SE_SE_bbb
	.p2align	8
	.type	_ZN9rocsparseL23csrgemm_fill_wf_per_rowILj256ELj16ELj32ELj137ElldEEvT4_S1_PKS1_S3_NS_24const_host_device_scalarIT5_EEPKT3_S3_PKS5_S9_S3_SB_S6_S9_S3_SB_S9_PS1_PS5_21rocsparse_index_base_SE_SE_SE_bbb,@function
_ZN9rocsparseL23csrgemm_fill_wf_per_rowILj256ELj16ELj32ELj137ElldEEvT4_S1_PKS1_S3_NS_24const_host_device_scalarIT5_EEPKT3_S3_PKS5_S9_S3_SB_S6_S9_S3_SB_S9_PS1_PS5_21rocsparse_index_base_SE_SE_SE_bbb: ; @_ZN9rocsparseL23csrgemm_fill_wf_per_rowILj256ELj16ELj32ELj137ElldEEvT4_S1_PKS1_S3_NS_24const_host_device_scalarIT5_EEPKT3_S3_PKS5_S9_S3_SB_S6_S9_S3_SB_S9_PS1_PS5_21rocsparse_index_base_SE_SE_SE_bbb
; %bb.0:
	s_clause 0x3
	s_load_b32 s12, s[0:1], 0xa0
	s_load_b64 s[4:5], s[0:1], 0x20
	s_load_b128 s[24:27], s[0:1], 0x90
	s_load_b64 s[2:3], s[0:1], 0x58
	s_waitcnt lgkmcnt(0)
	s_and_b32 s6, 1, s12
	s_bitcmp1_b32 s12, 16
	s_cselect_b32 s14, -1, 0
	s_cmp_eq_u32 s6, 1
	s_cselect_b32 s13, -1, 0
	s_delay_alu instid0(SALU_CYCLE_1)
	s_and_b32 s6, s13, exec_lo
	s_cselect_b32 s7, s5, 0
	s_cselect_b32 s6, s4, 0
	s_xor_b32 s8, s13, -1
	v_dual_mov_b32 v9, s7 :: v_dual_mov_b32 v8, s6
	s_or_b32 s8, s8, s14
	s_delay_alu instid0(SALU_CYCLE_1)
	s_and_b32 vcc_lo, exec_lo, s8
	s_cbranch_vccnz .LBB113_2
; %bb.1:
	v_dual_mov_b32 v1, s4 :: v_dual_mov_b32 v2, s5
	flat_load_b64 v[8:9], v[1:2]
.LBB113_2:
	s_clause 0x4
	s_load_b128 s[28:31], s[0:1], 0x80
	s_load_b256 s[4:11], s[0:1], 0x60
	s_load_b128 s[36:39], s[0:1], 0x48
	s_load_b128 s[40:43], s[0:1], 0x10
	s_load_b256 s[16:23], s[0:1], 0x28
	s_bitcmp1_b32 s12, 8
	s_cselect_b32 s12, -1, 0
	s_delay_alu instid0(SALU_CYCLE_1)
	s_and_b32 s33, s12, exec_lo
	s_cselect_b32 s35, s3, 0
	s_cselect_b32 s34, s2, 0
	s_xor_b32 s33, s12, -1
	v_dual_mov_b32 v4, s34 :: v_dual_mov_b32 v5, s35
	s_or_b32 s14, s33, s14
	s_delay_alu instid0(SALU_CYCLE_1)
	s_and_b32 vcc_lo, exec_lo, s14
	s_cbranch_vccnz .LBB113_4
; %bb.3:
	v_dual_mov_b32 v1, s2 :: v_dual_mov_b32 v2, s3
	flat_load_b64 v[4:5], v[1:2]
.LBB113_4:
	s_load_b128 s[0:3], s[0:1], 0x0
	v_and_b32_e32 v26, 15, v0
	v_lshrrev_b32_e32 v6, 4, v0
	s_mov_b32 s14, 0
	s_delay_alu instid0(VALU_DEP_2) | instskip(NEXT) | instid1(VALU_DEP_1)
	v_dual_mov_b32 v0, 0 :: v_dual_lshlrev_b32 v1, 3, v26
	v_lshl_or_b32 v22, v6, 8, v1
	s_delay_alu instid0(VALU_DEP_2) | instskip(SKIP_1) | instid1(VALU_DEP_1)
	v_mov_b32_e32 v1, v0
	v_or_b32_e32 v23, -16, v26
	v_dual_mov_b32 v7, v22 :: v_dual_mov_b32 v10, v23
	s_waitcnt lgkmcnt(0)
	v_dual_mov_b32 v2, s2 :: v_dual_mov_b32 v3, s3
.LBB113_5:                              ; =>This Inner Loop Header: Depth=1
	s_delay_alu instid0(VALU_DEP_2) | instskip(NEXT) | instid1(VALU_DEP_1)
	v_add_co_u32 v10, s33, v10, 16
	s_xor_b32 s33, s33, -1
	ds_store_2addr_stride64_b64 v7, v[0:1], v[2:3] offset1:8
	v_add_nc_u32_e32 v7, 0x80, v7
	s_and_b32 s33, exec_lo, s33
	s_delay_alu instid0(SALU_CYCLE_1) | instskip(NEXT) | instid1(SALU_CYCLE_1)
	s_or_b32 s14, s33, s14
	s_and_not1_b32 exec_lo, exec_lo, s14
	s_cbranch_execnz .LBB113_5
; %bb.6:
	s_or_b32 exec_lo, exec_lo, s14
	s_lshl_b32 s14, s15, 4
	v_mov_b32_e32 v1, 0
	v_and_or_b32 v0, 0xffffff0, s14, v6
	s_waitcnt vmcnt(0) lgkmcnt(0)
	buffer_gl0_inv
	v_cmp_gt_i64_e32 vcc_lo, s[0:1], v[0:1]
	s_and_saveexec_b32 s0, vcc_lo
	s_cbranch_execz .LBB113_58
; %bb.7:
	s_cmp_eq_u64 s[42:43], 0
	s_cbranch_scc1 .LBB113_9
; %bb.8:
	s_load_b64 s[0:1], s[40:41], 0x0
	v_lshlrev_b32_e32 v0, 3, v0
	s_waitcnt lgkmcnt(0)
	s_lshl_b64 s[0:1], s[0:1], 3
	s_delay_alu instid0(SALU_CYCLE_1)
	s_add_u32 s0, s42, s0
	s_addc_u32 s1, s43, s1
	global_load_b64 v[0:1], v0, s[0:1]
.LBB113_9:
	v_lshlrev_b32_e32 v25, 8, v6
	s_waitcnt vmcnt(0)
	v_lshlrev_b64 v[6:7], 3, v[0:1]
	s_and_not1_b32 vcc_lo, exec_lo, s13
	s_delay_alu instid0(VALU_DEP_2)
	v_or_b32_e32 v24, 0x1000, v25
	s_cbranch_vccnz .LBB113_33
; %bb.10:
	s_delay_alu instid0(VALU_DEP_2) | instskip(NEXT) | instid1(VALU_DEP_3)
	v_add_co_u32 v0, vcc_lo, s16, v6
	v_add_co_ci_u32_e32 v1, vcc_lo, s17, v7, vcc_lo
	v_sub_co_u32 v12, s0, v26, s24
	s_delay_alu instid0(VALU_DEP_1)
	v_sub_co_ci_u32_e64 v13, null, 0, 0, s0
	global_load_b128 v[0:3], v[0:1], off
	s_mov_b32 s1, 0
	s_mov_b32 s0, exec_lo
	s_waitcnt vmcnt(0)
	v_sub_co_u32 v10, vcc_lo, v2, s24
	v_subrev_co_ci_u32_e32 v11, vcc_lo, 0, v3, vcc_lo
	v_add_co_u32 v12, vcc_lo, v0, v12
	v_add_co_ci_u32_e32 v13, vcc_lo, v1, v13, vcc_lo
	s_delay_alu instid0(VALU_DEP_1)
	v_cmpx_lt_i64_e64 v[12:13], v[10:11]
	s_cbranch_execz .LBB113_32
; %bb.11:
	s_mov_b32 s13, s25
	s_branch .LBB113_13
.LBB113_12:                             ;   in Loop: Header=BB113_13 Depth=1
	s_or_b32 exec_lo, exec_lo, s14
	v_add_co_u32 v12, vcc_lo, v12, 16
	v_add_co_ci_u32_e32 v13, vcc_lo, 0, v13, vcc_lo
	s_delay_alu instid0(VALU_DEP_1) | instskip(SKIP_1) | instid1(SALU_CYCLE_1)
	v_cmp_ge_i64_e32 vcc_lo, v[12:13], v[10:11]
	s_or_b32 s1, vcc_lo, s1
	s_and_not1_b32 exec_lo, exec_lo, s1
	s_cbranch_execz .LBB113_32
.LBB113_13:                             ; =>This Loop Header: Depth=1
                                        ;     Child Loop BB113_16 Depth 2
                                        ;       Child Loop BB113_18 Depth 3
                                        ;         Child Loop BB113_24 Depth 4
                                        ;         Child Loop BB113_30 Depth 4
	v_lshlrev_b64 v[14:15], 3, v[12:13]
	s_mov_b32 s14, exec_lo
	s_delay_alu instid0(VALU_DEP_1) | instskip(NEXT) | instid1(VALU_DEP_2)
	v_add_co_u32 v0, vcc_lo, s18, v14
	v_add_co_ci_u32_e32 v1, vcc_lo, s19, v15, vcc_lo
	global_load_b64 v[0:1], v[0:1], off
	s_waitcnt vmcnt(0)
	v_sub_co_u32 v0, vcc_lo, v0, s24
	v_subrev_co_ci_u32_e32 v1, vcc_lo, 0, v1, vcc_lo
	s_delay_alu instid0(VALU_DEP_1) | instskip(NEXT) | instid1(VALU_DEP_1)
	v_lshlrev_b64 v[0:1], 3, v[0:1]
	v_add_co_u32 v0, vcc_lo, s22, v0
	s_delay_alu instid0(VALU_DEP_2)
	v_add_co_ci_u32_e32 v1, vcc_lo, s23, v1, vcc_lo
	global_load_b128 v[0:3], v[0:1], off
	s_waitcnt vmcnt(0)
	v_cmpx_lt_i64_e64 v[0:1], v[2:3]
	s_cbranch_execz .LBB113_12
; %bb.14:                               ;   in Loop: Header=BB113_13 Depth=1
	v_add_co_u32 v14, vcc_lo, s20, v14
	v_add_co_ci_u32_e32 v15, vcc_lo, s21, v15, vcc_lo
	v_sub_co_u32 v2, vcc_lo, v2, s13
	v_subrev_co_ci_u32_e32 v3, vcc_lo, 0, v3, vcc_lo
	global_load_b64 v[14:15], v[14:15], off
	v_sub_co_u32 v0, vcc_lo, v0, s13
	v_subrev_co_ci_u32_e32 v1, vcc_lo, 0, v1, vcc_lo
	s_mov_b32 s15, 0
	s_waitcnt vmcnt(0)
	v_mul_f64 v[14:15], v[8:9], v[14:15]
	s_branch .LBB113_16
.LBB113_15:                             ;   in Loop: Header=BB113_16 Depth=2
	s_or_b32 exec_lo, exec_lo, s16
	v_add_co_u32 v0, vcc_lo, v0, 1
	v_add_co_ci_u32_e32 v1, vcc_lo, 0, v1, vcc_lo
	s_delay_alu instid0(VALU_DEP_1) | instskip(SKIP_1) | instid1(SALU_CYCLE_1)
	v_cmp_ge_i64_e32 vcc_lo, v[0:1], v[2:3]
	s_or_b32 s15, vcc_lo, s15
	s_and_not1_b32 exec_lo, exec_lo, s15
	s_cbranch_execz .LBB113_12
.LBB113_16:                             ;   Parent Loop BB113_13 Depth=1
                                        ; =>  This Loop Header: Depth=2
                                        ;       Child Loop BB113_18 Depth 3
                                        ;         Child Loop BB113_24 Depth 4
                                        ;         Child Loop BB113_30 Depth 4
	v_lshlrev_b64 v[16:17], 3, v[0:1]
	s_mov_b32 s16, 0
	s_delay_alu instid0(VALU_DEP_1) | instskip(NEXT) | instid1(VALU_DEP_2)
	v_add_co_u32 v18, vcc_lo, s38, v16
	v_add_co_ci_u32_e32 v19, vcc_lo, s39, v17, vcc_lo
	v_add_co_u32 v16, vcc_lo, s36, v16
	v_add_co_ci_u32_e32 v17, vcc_lo, s37, v17, vcc_lo
	global_load_b64 v[18:19], v[18:19], off
	global_load_b64 v[20:21], v[16:17], off
	s_waitcnt vmcnt(1)
	v_mul_f64 v[16:17], v[14:15], v[18:19]
	s_waitcnt vmcnt(0)
	v_sub_co_u32 v18, vcc_lo, v20, s13
	v_subrev_co_ci_u32_e32 v19, vcc_lo, 0, v21, vcc_lo
	s_delay_alu instid0(VALU_DEP_2) | instskip(NEXT) | instid1(VALU_DEP_1)
	v_lshl_add_u32 v20, v18, 3, v18
	v_and_b32_e32 v27, 31, v20
	s_branch .LBB113_18
.LBB113_17:                             ;   in Loop: Header=BB113_18 Depth=3
	s_or_b32 exec_lo, exec_lo, s17
	s_xor_b32 s17, s25, -1
	s_delay_alu instid0(SALU_CYCLE_1) | instskip(NEXT) | instid1(SALU_CYCLE_1)
	s_and_b32 s17, exec_lo, s17
	s_or_b32 s16, s17, s16
	s_delay_alu instid0(SALU_CYCLE_1)
	s_and_not1_b32 exec_lo, exec_lo, s16
	s_cbranch_execz .LBB113_15
.LBB113_18:                             ;   Parent Loop BB113_13 Depth=1
                                        ;     Parent Loop BB113_16 Depth=2
                                        ; =>    This Loop Header: Depth=3
                                        ;         Child Loop BB113_24 Depth 4
                                        ;         Child Loop BB113_30 Depth 4
	s_delay_alu instid0(VALU_DEP_1)
	v_lshl_add_u32 v28, v27, 3, v24
	s_mov_b32 s17, exec_lo
                                        ; implicit-def: $sgpr25
	ds_load_b64 v[20:21], v28
	s_waitcnt lgkmcnt(0)
	v_cmpx_ne_u64_e64 v[20:21], v[18:19]
	s_xor_b32 s17, exec_lo, s17
	s_cbranch_execz .LBB113_28
; %bb.19:                               ;   in Loop: Header=BB113_18 Depth=3
	s_mov_b32 s33, exec_lo
                                        ; implicit-def: $sgpr25
	v_cmpx_ne_u64_e64 s[2:3], v[20:21]
	s_xor_b32 s33, exec_lo, s33
; %bb.20:                               ;   in Loop: Header=BB113_18 Depth=3
	v_add_nc_u32_e32 v20, 1, v27
	s_mov_b32 s25, -1
                                        ; implicit-def: $vgpr28
	s_delay_alu instid0(VALU_DEP_1)
	v_and_b32_e32 v27, 31, v20
; %bb.21:                               ;   in Loop: Header=BB113_18 Depth=3
	s_and_not1_saveexec_b32 s33, s33
	s_cbranch_execz .LBB113_27
; %bb.22:                               ;   in Loop: Header=BB113_18 Depth=3
	v_dual_mov_b32 v21, s3 :: v_dual_mov_b32 v20, s2
	s_mov_b32 s35, -1
	s_mov_b32 s34, exec_lo
	ds_cmpstore_rtn_b64 v[20:21], v28, v[18:19], v[20:21]
	s_waitcnt lgkmcnt(0)
	v_cmpx_eq_u64_e64 s[2:3], v[20:21]
	s_cbranch_execz .LBB113_26
; %bb.23:                               ;   in Loop: Header=BB113_18 Depth=3
	v_lshl_add_u32 v28, v27, 3, v25
	s_mov_b32 s35, 0
	ds_load_b64 v[20:21], v28
.LBB113_24:                             ;   Parent Loop BB113_13 Depth=1
                                        ;     Parent Loop BB113_16 Depth=2
                                        ;       Parent Loop BB113_18 Depth=3
                                        ; =>      This Inner Loop Header: Depth=4
	s_waitcnt lgkmcnt(0)
	v_add_f64 v[29:30], v[20:21], v[16:17]
	ds_cmpstore_rtn_b64 v[29:30], v28, v[29:30], v[20:21]
	s_waitcnt lgkmcnt(0)
	v_cmp_eq_u64_e32 vcc_lo, v[29:30], v[20:21]
	v_dual_mov_b32 v20, v29 :: v_dual_mov_b32 v21, v30
	s_or_b32 s35, vcc_lo, s35
	s_delay_alu instid0(SALU_CYCLE_1)
	s_and_not1_b32 exec_lo, exec_lo, s35
	s_cbranch_execnz .LBB113_24
; %bb.25:                               ;   in Loop: Header=BB113_18 Depth=3
	s_or_b32 exec_lo, exec_lo, s35
	s_delay_alu instid0(SALU_CYCLE_1)
	s_xor_b32 s35, exec_lo, -1
.LBB113_26:                             ;   in Loop: Header=BB113_18 Depth=3
	s_or_b32 exec_lo, exec_lo, s34
	s_delay_alu instid0(SALU_CYCLE_1) | instskip(SKIP_1) | instid1(SALU_CYCLE_1)
	s_and_not1_b32 s25, s25, exec_lo
	s_and_b32 s34, s35, exec_lo
	s_or_b32 s25, s25, s34
.LBB113_27:                             ;   in Loop: Header=BB113_18 Depth=3
	s_or_b32 exec_lo, exec_lo, s33
	s_delay_alu instid0(SALU_CYCLE_1)
	s_and_b32 s25, s25, exec_lo
.LBB113_28:                             ;   in Loop: Header=BB113_18 Depth=3
	s_and_not1_saveexec_b32 s17, s17
	s_cbranch_execz .LBB113_17
; %bb.29:                               ;   in Loop: Header=BB113_18 Depth=3
	v_lshl_add_u32 v28, v27, 3, v25
	s_mov_b32 s33, 0
	ds_load_b64 v[20:21], v28
.LBB113_30:                             ;   Parent Loop BB113_13 Depth=1
                                        ;     Parent Loop BB113_16 Depth=2
                                        ;       Parent Loop BB113_18 Depth=3
                                        ; =>      This Inner Loop Header: Depth=4
	s_waitcnt lgkmcnt(0)
	v_add_f64 v[29:30], v[20:21], v[16:17]
	ds_cmpstore_rtn_b64 v[29:30], v28, v[29:30], v[20:21]
	s_waitcnt lgkmcnt(0)
	v_cmp_eq_u64_e32 vcc_lo, v[29:30], v[20:21]
	v_dual_mov_b32 v20, v29 :: v_dual_mov_b32 v21, v30
	s_or_b32 s33, vcc_lo, s33
	s_delay_alu instid0(SALU_CYCLE_1)
	s_and_not1_b32 exec_lo, exec_lo, s33
	s_cbranch_execnz .LBB113_30
; %bb.31:                               ;   in Loop: Header=BB113_18 Depth=3
	s_or_b32 exec_lo, exec_lo, s33
	s_delay_alu instid0(SALU_CYCLE_1)
	s_and_not1_b32 s25, s25, exec_lo
	s_branch .LBB113_17
.LBB113_32:
	s_or_b32 exec_lo, exec_lo, s0
.LBB113_33:
	s_delay_alu instid0(SALU_CYCLE_1)
	s_and_not1_b32 vcc_lo, exec_lo, s12
	s_cbranch_vccnz .LBB113_54
; %bb.34:
	v_add_co_u32 v0, vcc_lo, s4, v6
	v_add_co_ci_u32_e32 v1, vcc_lo, s5, v7, vcc_lo
	v_sub_co_u32 v2, s0, v26, s27
	s_delay_alu instid0(VALU_DEP_1)
	v_sub_co_ci_u32_e64 v3, null, 0, 0, s0
	global_load_b128 v[8:11], v[0:1], off
	s_mov_b32 s0, 0
	s_mov_b32 s1, exec_lo
	s_waitcnt vmcnt(0)
	v_sub_co_u32 v0, vcc_lo, v10, s27
	v_subrev_co_ci_u32_e32 v1, vcc_lo, 0, v11, vcc_lo
	v_add_co_u32 v2, vcc_lo, v8, v2
	v_add_co_ci_u32_e32 v3, vcc_lo, v9, v3, vcc_lo
	s_delay_alu instid0(VALU_DEP_1)
	v_cmpx_lt_i64_e64 v[2:3], v[0:1]
	s_cbranch_execz .LBB113_53
; %bb.35:
	s_mov_b32 s4, s27
	s_branch .LBB113_37
.LBB113_36:                             ;   in Loop: Header=BB113_37 Depth=1
	s_or_b32 exec_lo, exec_lo, s5
	v_add_co_u32 v2, vcc_lo, v2, 16
	v_add_co_ci_u32_e32 v3, vcc_lo, 0, v3, vcc_lo
	s_delay_alu instid0(VALU_DEP_1) | instskip(SKIP_1) | instid1(SALU_CYCLE_1)
	v_cmp_ge_i64_e32 vcc_lo, v[2:3], v[0:1]
	s_or_b32 s0, vcc_lo, s0
	s_and_not1_b32 exec_lo, exec_lo, s0
	s_cbranch_execz .LBB113_53
.LBB113_37:                             ; =>This Loop Header: Depth=1
                                        ;     Child Loop BB113_39 Depth 2
                                        ;       Child Loop BB113_45 Depth 3
                                        ;       Child Loop BB113_51 Depth 3
	v_lshlrev_b64 v[8:9], 3, v[2:3]
	s_mov_b32 s5, 0
	s_delay_alu instid0(VALU_DEP_1) | instskip(NEXT) | instid1(VALU_DEP_2)
	v_add_co_u32 v10, vcc_lo, s8, v8
	v_add_co_ci_u32_e32 v11, vcc_lo, s9, v9, vcc_lo
	v_add_co_u32 v8, vcc_lo, s6, v8
	v_add_co_ci_u32_e32 v9, vcc_lo, s7, v9, vcc_lo
	global_load_b64 v[10:11], v[10:11], off
	global_load_b64 v[12:13], v[8:9], off
	s_waitcnt vmcnt(1)
	v_mul_f64 v[8:9], v[4:5], v[10:11]
	s_waitcnt vmcnt(0)
	v_sub_co_u32 v10, vcc_lo, v12, s4
	v_subrev_co_ci_u32_e32 v11, vcc_lo, 0, v13, vcc_lo
	s_delay_alu instid0(VALU_DEP_2) | instskip(NEXT) | instid1(VALU_DEP_1)
	v_lshl_add_u32 v12, v10, 3, v10
	v_and_b32_e32 v14, 31, v12
	s_branch .LBB113_39
.LBB113_38:                             ;   in Loop: Header=BB113_39 Depth=2
	s_or_b32 exec_lo, exec_lo, s12
	s_xor_b32 s12, s13, -1
	s_delay_alu instid0(SALU_CYCLE_1) | instskip(NEXT) | instid1(SALU_CYCLE_1)
	s_and_b32 s12, exec_lo, s12
	s_or_b32 s5, s12, s5
	s_delay_alu instid0(SALU_CYCLE_1)
	s_and_not1_b32 exec_lo, exec_lo, s5
	s_cbranch_execz .LBB113_36
.LBB113_39:                             ;   Parent Loop BB113_37 Depth=1
                                        ; =>  This Loop Header: Depth=2
                                        ;       Child Loop BB113_45 Depth 3
                                        ;       Child Loop BB113_51 Depth 3
	s_delay_alu instid0(VALU_DEP_1)
	v_lshl_add_u32 v15, v14, 3, v24
	s_mov_b32 s12, exec_lo
                                        ; implicit-def: $sgpr13
	ds_load_b64 v[12:13], v15
	s_waitcnt lgkmcnt(0)
	v_cmpx_ne_u64_e64 v[12:13], v[10:11]
	s_xor_b32 s12, exec_lo, s12
	s_cbranch_execz .LBB113_49
; %bb.40:                               ;   in Loop: Header=BB113_39 Depth=2
	s_mov_b32 s14, exec_lo
                                        ; implicit-def: $sgpr13
	v_cmpx_ne_u64_e64 s[2:3], v[12:13]
	s_xor_b32 s14, exec_lo, s14
; %bb.41:                               ;   in Loop: Header=BB113_39 Depth=2
	v_add_nc_u32_e32 v12, 1, v14
	s_mov_b32 s13, -1
                                        ; implicit-def: $vgpr15
	s_delay_alu instid0(VALU_DEP_1)
	v_and_b32_e32 v14, 31, v12
; %bb.42:                               ;   in Loop: Header=BB113_39 Depth=2
	s_and_not1_saveexec_b32 s14, s14
	s_cbranch_execz .LBB113_48
; %bb.43:                               ;   in Loop: Header=BB113_39 Depth=2
	v_dual_mov_b32 v13, s3 :: v_dual_mov_b32 v12, s2
	s_mov_b32 s16, -1
	s_mov_b32 s15, exec_lo
	ds_cmpstore_rtn_b64 v[12:13], v15, v[10:11], v[12:13]
	s_waitcnt lgkmcnt(0)
	v_cmpx_eq_u64_e64 s[2:3], v[12:13]
	s_cbranch_execz .LBB113_47
; %bb.44:                               ;   in Loop: Header=BB113_39 Depth=2
	v_lshl_add_u32 v15, v14, 3, v25
	s_mov_b32 s16, 0
	ds_load_b64 v[12:13], v15
.LBB113_45:                             ;   Parent Loop BB113_37 Depth=1
                                        ;     Parent Loop BB113_39 Depth=2
                                        ; =>    This Inner Loop Header: Depth=3
	s_waitcnt lgkmcnt(0)
	v_add_f64 v[16:17], v[12:13], v[8:9]
	ds_cmpstore_rtn_b64 v[16:17], v15, v[16:17], v[12:13]
	s_waitcnt lgkmcnt(0)
	v_cmp_eq_u64_e32 vcc_lo, v[16:17], v[12:13]
	v_dual_mov_b32 v12, v16 :: v_dual_mov_b32 v13, v17
	s_or_b32 s16, vcc_lo, s16
	s_delay_alu instid0(SALU_CYCLE_1)
	s_and_not1_b32 exec_lo, exec_lo, s16
	s_cbranch_execnz .LBB113_45
; %bb.46:                               ;   in Loop: Header=BB113_39 Depth=2
	s_or_b32 exec_lo, exec_lo, s16
	s_delay_alu instid0(SALU_CYCLE_1)
	s_xor_b32 s16, exec_lo, -1
.LBB113_47:                             ;   in Loop: Header=BB113_39 Depth=2
	s_or_b32 exec_lo, exec_lo, s15
	s_delay_alu instid0(SALU_CYCLE_1) | instskip(SKIP_1) | instid1(SALU_CYCLE_1)
	s_and_not1_b32 s13, s13, exec_lo
	s_and_b32 s15, s16, exec_lo
	s_or_b32 s13, s13, s15
.LBB113_48:                             ;   in Loop: Header=BB113_39 Depth=2
	s_or_b32 exec_lo, exec_lo, s14
	s_delay_alu instid0(SALU_CYCLE_1)
	s_and_b32 s13, s13, exec_lo
.LBB113_49:                             ;   in Loop: Header=BB113_39 Depth=2
	s_and_not1_saveexec_b32 s12, s12
	s_cbranch_execz .LBB113_38
; %bb.50:                               ;   in Loop: Header=BB113_39 Depth=2
	v_lshl_add_u32 v15, v14, 3, v25
	s_mov_b32 s14, 0
	ds_load_b64 v[12:13], v15
.LBB113_51:                             ;   Parent Loop BB113_37 Depth=1
                                        ;     Parent Loop BB113_39 Depth=2
                                        ; =>    This Inner Loop Header: Depth=3
	s_waitcnt lgkmcnt(0)
	v_add_f64 v[16:17], v[12:13], v[8:9]
	ds_cmpstore_rtn_b64 v[16:17], v15, v[16:17], v[12:13]
	s_waitcnt lgkmcnt(0)
	v_cmp_eq_u64_e32 vcc_lo, v[16:17], v[12:13]
	v_dual_mov_b32 v12, v16 :: v_dual_mov_b32 v13, v17
	s_or_b32 s14, vcc_lo, s14
	s_delay_alu instid0(SALU_CYCLE_1)
	s_and_not1_b32 exec_lo, exec_lo, s14
	s_cbranch_execnz .LBB113_51
; %bb.52:                               ;   in Loop: Header=BB113_39 Depth=2
	s_or_b32 exec_lo, exec_lo, s14
	s_delay_alu instid0(SALU_CYCLE_1)
	s_and_not1_b32 s13, s13, exec_lo
	s_branch .LBB113_38
.LBB113_53:
	s_or_b32 exec_lo, exec_lo, s1
.LBB113_54:
	v_add_co_u32 v0, vcc_lo, s10, v6
	v_add_co_ci_u32_e32 v1, vcc_lo, s11, v7, vcc_lo
	buffer_gl0_inv
	s_mov_b32 s0, 0
	global_load_b64 v[0:1], v[0:1], off
	s_waitcnt vmcnt(0)
	v_sub_co_u32 v2, vcc_lo, v0, s26
	v_subrev_co_ci_u32_e32 v3, vcc_lo, 0, v1, vcc_lo
	s_branch .LBB113_56
.LBB113_55:                             ;   in Loop: Header=BB113_56 Depth=1
	s_or_b32 exec_lo, exec_lo, s1
	v_add_co_u32 v23, s1, v23, 16
	s_delay_alu instid0(VALU_DEP_1) | instskip(SKIP_2) | instid1(SALU_CYCLE_1)
	s_xor_b32 s1, s1, -1
	v_add_nc_u32_e32 v22, 0x80, v22
	s_and_b32 s1, exec_lo, s1
	s_or_b32 s0, s1, s0
	s_delay_alu instid0(SALU_CYCLE_1)
	s_and_not1_b32 exec_lo, exec_lo, s0
	s_cbranch_execz .LBB113_58
.LBB113_56:                             ; =>This Inner Loop Header: Depth=1
	ds_load_b64 v[0:1], v22 offset:4096
	s_mov_b32 s1, exec_lo
	s_waitcnt lgkmcnt(0)
	v_cmpx_gt_i64_e64 s[2:3], v[0:1]
	s_cbranch_execz .LBB113_55
; %bb.57:                               ;   in Loop: Header=BB113_56 Depth=1
	ds_load_b128 v[4:7], v24
	ds_load_b128 v[8:11], v24 offset:16
	ds_load_b128 v[12:15], v24 offset:32
	;; [unrolled: 1-line block ×7, first 2 shown]
	s_waitcnt lgkmcnt(7)
	v_cmp_gt_i64_e32 vcc_lo, v[0:1], v[4:5]
	v_cndmask_b32_e64 v4, 0, 1, vcc_lo
	v_cmp_gt_i64_e32 vcc_lo, v[0:1], v[6:7]
	v_cndmask_b32_e64 v5, 0, 1, vcc_lo
	s_delay_alu instid0(VALU_DEP_3)
	v_add_co_u32 v4, vcc_lo, v2, v4
	v_add_co_ci_u32_e32 v6, vcc_lo, 0, v3, vcc_lo
	s_waitcnt lgkmcnt(6)
	v_cmp_gt_i64_e32 vcc_lo, v[0:1], v[8:9]
	v_cndmask_b32_e64 v7, 0, 1, vcc_lo
	v_add_co_u32 v4, vcc_lo, v4, v5
	v_add_co_ci_u32_e32 v5, vcc_lo, 0, v6, vcc_lo
	v_cmp_gt_i64_e32 vcc_lo, v[0:1], v[10:11]
	v_cndmask_b32_e64 v6, 0, 1, vcc_lo
	s_delay_alu instid0(VALU_DEP_4) | instskip(NEXT) | instid1(VALU_DEP_4)
	v_add_co_u32 v4, vcc_lo, v4, v7
	v_add_co_ci_u32_e32 v5, vcc_lo, 0, v5, vcc_lo
	s_waitcnt lgkmcnt(5)
	v_cmp_gt_i64_e32 vcc_lo, v[0:1], v[12:13]
	v_cndmask_b32_e64 v7, 0, 1, vcc_lo
	v_add_co_u32 v4, vcc_lo, v4, v6
	v_add_co_ci_u32_e32 v5, vcc_lo, 0, v5, vcc_lo
	v_cmp_gt_i64_e32 vcc_lo, v[0:1], v[14:15]
	v_cndmask_b32_e64 v6, 0, 1, vcc_lo
	s_delay_alu instid0(VALU_DEP_4) | instskip(NEXT) | instid1(VALU_DEP_4)
	;; [unrolled: 10-line block ×5, first 2 shown]
	v_add_co_u32 v4, vcc_lo, v4, v7
	v_add_co_ci_u32_e32 v5, vcc_lo, 0, v5, vcc_lo
	s_delay_alu instid0(VALU_DEP_2) | instskip(NEXT) | instid1(VALU_DEP_2)
	v_add_co_u32 v8, vcc_lo, v4, v6
	v_add_co_ci_u32_e32 v9, vcc_lo, 0, v5, vcc_lo
	s_waitcnt lgkmcnt(1)
	v_cmp_gt_i64_e32 vcc_lo, v[0:1], v[33:34]
	ds_load_b128 v[4:7], v24 offset:128
	v_cndmask_b32_e64 v10, 0, 1, vcc_lo
	v_cmp_gt_i64_e32 vcc_lo, v[0:1], v[35:36]
	v_cndmask_b32_e64 v11, 0, 1, vcc_lo
	s_delay_alu instid0(VALU_DEP_3) | instskip(SKIP_1) | instid1(VALU_DEP_2)
	v_add_co_u32 v8, vcc_lo, v8, v10
	v_add_co_ci_u32_e32 v9, vcc_lo, 0, v9, vcc_lo
	v_add_co_u32 v12, vcc_lo, v8, v11
	s_delay_alu instid0(VALU_DEP_2)
	v_add_co_ci_u32_e32 v13, vcc_lo, 0, v9, vcc_lo
	ds_load_b128 v[8:11], v24 offset:144
	s_waitcnt lgkmcnt(2)
	v_cmp_gt_i64_e32 vcc_lo, v[0:1], v[37:38]
	v_cndmask_b32_e64 v14, 0, 1, vcc_lo
	v_cmp_gt_i64_e32 vcc_lo, v[0:1], v[39:40]
	v_cndmask_b32_e64 v15, 0, 1, vcc_lo
	s_delay_alu instid0(VALU_DEP_3) | instskip(SKIP_1) | instid1(VALU_DEP_2)
	v_add_co_u32 v12, vcc_lo, v12, v14
	v_add_co_ci_u32_e32 v13, vcc_lo, 0, v13, vcc_lo
	v_add_co_u32 v12, vcc_lo, v12, v15
	s_delay_alu instid0(VALU_DEP_2)
	v_add_co_ci_u32_e32 v13, vcc_lo, 0, v13, vcc_lo
	s_waitcnt lgkmcnt(1)
	v_cmp_gt_i64_e32 vcc_lo, v[0:1], v[4:5]
	v_cndmask_b32_e64 v14, 0, 1, vcc_lo
	v_cmp_gt_i64_e32 vcc_lo, v[0:1], v[6:7]
	ds_load_b128 v[4:7], v24 offset:160
	v_cndmask_b32_e64 v15, 0, 1, vcc_lo
	v_add_co_u32 v12, vcc_lo, v12, v14
	v_add_co_ci_u32_e32 v13, vcc_lo, 0, v13, vcc_lo
	s_waitcnt lgkmcnt(1)
	v_cmp_gt_i64_e32 vcc_lo, v[0:1], v[8:9]
	v_cndmask_b32_e64 v8, 0, 1, vcc_lo
	v_add_co_u32 v9, vcc_lo, v12, v15
	v_add_co_ci_u32_e32 v12, vcc_lo, 0, v13, vcc_lo
	v_cmp_gt_i64_e32 vcc_lo, v[0:1], v[10:11]
	v_cndmask_b32_e64 v13, 0, 1, vcc_lo
	s_delay_alu instid0(VALU_DEP_4) | instskip(SKIP_3) | instid1(VALU_DEP_2)
	v_add_co_u32 v14, vcc_lo, v9, v8
	ds_load_b128 v[8:11], v24 offset:176
	v_add_co_ci_u32_e32 v12, vcc_lo, 0, v12, vcc_lo
	v_add_co_u32 v16, vcc_lo, v14, v13
	v_add_co_ci_u32_e32 v17, vcc_lo, 0, v12, vcc_lo
	s_waitcnt lgkmcnt(1)
	v_cmp_gt_i64_e32 vcc_lo, v[0:1], v[4:5]
	ds_load_b128 v[12:15], v24 offset:192
	v_cndmask_b32_e64 v4, 0, 1, vcc_lo
	v_cmp_gt_i64_e32 vcc_lo, v[0:1], v[6:7]
	v_cndmask_b32_e64 v5, 0, 1, vcc_lo
	s_delay_alu instid0(VALU_DEP_3) | instskip(SKIP_1) | instid1(VALU_DEP_2)
	v_add_co_u32 v4, vcc_lo, v16, v4
	v_add_co_ci_u32_e32 v6, vcc_lo, 0, v17, vcc_lo
	v_add_co_u32 v16, vcc_lo, v4, v5
	s_delay_alu instid0(VALU_DEP_2)
	v_add_co_ci_u32_e32 v17, vcc_lo, 0, v6, vcc_lo
	ds_load_b128 v[4:7], v24 offset:208
	s_waitcnt lgkmcnt(2)
	v_cmp_gt_i64_e32 vcc_lo, v[0:1], v[8:9]
	v_cndmask_b32_e64 v8, 0, 1, vcc_lo
	v_cmp_gt_i64_e32 vcc_lo, v[0:1], v[10:11]
	v_cndmask_b32_e64 v9, 0, 1, vcc_lo
	s_delay_alu instid0(VALU_DEP_3)
	v_add_co_u32 v8, vcc_lo, v16, v8
	v_add_co_ci_u32_e32 v10, vcc_lo, 0, v17, vcc_lo
	s_waitcnt lgkmcnt(1)
	v_cmp_gt_i64_e32 vcc_lo, v[0:1], v[12:13]
	v_cndmask_b32_e64 v12, 0, 1, vcc_lo
	v_add_co_u32 v13, vcc_lo, v8, v9
	v_add_co_ci_u32_e32 v16, vcc_lo, 0, v10, vcc_lo
	ds_load_b128 v[8:11], v24 offset:224
	v_add_co_u32 v17, vcc_lo, v13, v12
	v_add_co_ci_u32_e32 v16, vcc_lo, 0, v16, vcc_lo
	v_cmp_gt_i64_e32 vcc_lo, v[0:1], v[14:15]
	ds_load_b128 v[12:15], v24 offset:240
	v_cndmask_b32_e64 v18, 0, 1, vcc_lo
	s_waitcnt lgkmcnt(2)
	v_cmp_gt_i64_e32 vcc_lo, v[0:1], v[4:5]
	v_cndmask_b32_e64 v4, 0, 1, vcc_lo
	s_delay_alu instid0(VALU_DEP_3) | instskip(SKIP_3) | instid1(VALU_DEP_4)
	v_add_co_u32 v5, vcc_lo, v17, v18
	v_add_co_ci_u32_e32 v16, vcc_lo, 0, v16, vcc_lo
	v_cmp_gt_i64_e32 vcc_lo, v[0:1], v[6:7]
	v_cndmask_b32_e64 v6, 0, 1, vcc_lo
	v_add_co_u32 v4, vcc_lo, v5, v4
	s_delay_alu instid0(VALU_DEP_4)
	v_add_co_ci_u32_e32 v5, vcc_lo, 0, v16, vcc_lo
	s_waitcnt lgkmcnt(1)
	v_cmp_gt_i64_e32 vcc_lo, v[0:1], v[8:9]
	v_cndmask_b32_e64 v7, 0, 1, vcc_lo
	v_add_co_u32 v4, vcc_lo, v4, v6
	v_add_co_ci_u32_e32 v5, vcc_lo, 0, v5, vcc_lo
	v_cmp_gt_i64_e32 vcc_lo, v[0:1], v[10:11]
	v_cndmask_b32_e64 v6, 0, 1, vcc_lo
	s_delay_alu instid0(VALU_DEP_4) | instskip(NEXT) | instid1(VALU_DEP_4)
	v_add_co_u32 v4, vcc_lo, v4, v7
	v_add_co_ci_u32_e32 v5, vcc_lo, 0, v5, vcc_lo
	s_waitcnt lgkmcnt(0)
	v_cmp_gt_i64_e32 vcc_lo, v[0:1], v[12:13]
	v_cndmask_b32_e64 v7, 0, 1, vcc_lo
	v_add_co_u32 v4, vcc_lo, v4, v6
	v_add_co_ci_u32_e32 v5, vcc_lo, 0, v5, vcc_lo
	v_cmp_gt_i64_e32 vcc_lo, v[0:1], v[14:15]
	v_cndmask_b32_e64 v6, 0, 1, vcc_lo
	s_delay_alu instid0(VALU_DEP_4) | instskip(NEXT) | instid1(VALU_DEP_4)
	v_add_co_u32 v4, vcc_lo, v4, v7
	v_add_co_ci_u32_e32 v5, vcc_lo, 0, v5, vcc_lo
	s_delay_alu instid0(VALU_DEP_2) | instskip(NEXT) | instid1(VALU_DEP_2)
	v_add_co_u32 v4, vcc_lo, v4, v6
	v_add_co_ci_u32_e32 v5, vcc_lo, 0, v5, vcc_lo
	ds_load_b64 v[6:7], v22
	v_add_co_u32 v0, vcc_lo, v0, s26
	v_lshlrev_b64 v[4:5], 3, v[4:5]
	v_add_co_ci_u32_e32 v1, vcc_lo, 0, v1, vcc_lo
	s_delay_alu instid0(VALU_DEP_2) | instskip(NEXT) | instid1(VALU_DEP_3)
	v_add_co_u32 v8, vcc_lo, s28, v4
	v_add_co_ci_u32_e32 v9, vcc_lo, s29, v5, vcc_lo
	v_add_co_u32 v4, vcc_lo, s30, v4
	v_add_co_ci_u32_e32 v5, vcc_lo, s31, v5, vcc_lo
	global_store_b64 v[8:9], v[0:1], off
	s_waitcnt lgkmcnt(0)
	global_store_b64 v[4:5], v[6:7], off
	s_branch .LBB113_55
.LBB113_58:
	s_nop 0
	s_sendmsg sendmsg(MSG_DEALLOC_VGPRS)
	s_endpgm
	.section	.rodata,"a",@progbits
	.p2align	6, 0x0
	.amdhsa_kernel _ZN9rocsparseL23csrgemm_fill_wf_per_rowILj256ELj16ELj32ELj137ElldEEvT4_S1_PKS1_S3_NS_24const_host_device_scalarIT5_EEPKT3_S3_PKS5_S9_S3_SB_S6_S9_S3_SB_S9_PS1_PS5_21rocsparse_index_base_SE_SE_SE_bbb
		.amdhsa_group_segment_fixed_size 8192
		.amdhsa_private_segment_fixed_size 0
		.amdhsa_kernarg_size 164
		.amdhsa_user_sgpr_count 15
		.amdhsa_user_sgpr_dispatch_ptr 0
		.amdhsa_user_sgpr_queue_ptr 0
		.amdhsa_user_sgpr_kernarg_segment_ptr 1
		.amdhsa_user_sgpr_dispatch_id 0
		.amdhsa_user_sgpr_private_segment_size 0
		.amdhsa_wavefront_size32 1
		.amdhsa_uses_dynamic_stack 0
		.amdhsa_enable_private_segment 0
		.amdhsa_system_sgpr_workgroup_id_x 1
		.amdhsa_system_sgpr_workgroup_id_y 0
		.amdhsa_system_sgpr_workgroup_id_z 0
		.amdhsa_system_sgpr_workgroup_info 0
		.amdhsa_system_vgpr_workitem_id 0
		.amdhsa_next_free_vgpr 41
		.amdhsa_next_free_sgpr 44
		.amdhsa_reserve_vcc 1
		.amdhsa_float_round_mode_32 0
		.amdhsa_float_round_mode_16_64 0
		.amdhsa_float_denorm_mode_32 3
		.amdhsa_float_denorm_mode_16_64 3
		.amdhsa_dx10_clamp 1
		.amdhsa_ieee_mode 1
		.amdhsa_fp16_overflow 0
		.amdhsa_workgroup_processor_mode 1
		.amdhsa_memory_ordered 1
		.amdhsa_forward_progress 0
		.amdhsa_shared_vgpr_count 0
		.amdhsa_exception_fp_ieee_invalid_op 0
		.amdhsa_exception_fp_denorm_src 0
		.amdhsa_exception_fp_ieee_div_zero 0
		.amdhsa_exception_fp_ieee_overflow 0
		.amdhsa_exception_fp_ieee_underflow 0
		.amdhsa_exception_fp_ieee_inexact 0
		.amdhsa_exception_int_div_zero 0
	.end_amdhsa_kernel
	.section	.text._ZN9rocsparseL23csrgemm_fill_wf_per_rowILj256ELj16ELj32ELj137ElldEEvT4_S1_PKS1_S3_NS_24const_host_device_scalarIT5_EEPKT3_S3_PKS5_S9_S3_SB_S6_S9_S3_SB_S9_PS1_PS5_21rocsparse_index_base_SE_SE_SE_bbb,"axG",@progbits,_ZN9rocsparseL23csrgemm_fill_wf_per_rowILj256ELj16ELj32ELj137ElldEEvT4_S1_PKS1_S3_NS_24const_host_device_scalarIT5_EEPKT3_S3_PKS5_S9_S3_SB_S6_S9_S3_SB_S9_PS1_PS5_21rocsparse_index_base_SE_SE_SE_bbb,comdat
.Lfunc_end113:
	.size	_ZN9rocsparseL23csrgemm_fill_wf_per_rowILj256ELj16ELj32ELj137ElldEEvT4_S1_PKS1_S3_NS_24const_host_device_scalarIT5_EEPKT3_S3_PKS5_S9_S3_SB_S6_S9_S3_SB_S9_PS1_PS5_21rocsparse_index_base_SE_SE_SE_bbb, .Lfunc_end113-_ZN9rocsparseL23csrgemm_fill_wf_per_rowILj256ELj16ELj32ELj137ElldEEvT4_S1_PKS1_S3_NS_24const_host_device_scalarIT5_EEPKT3_S3_PKS5_S9_S3_SB_S6_S9_S3_SB_S9_PS1_PS5_21rocsparse_index_base_SE_SE_SE_bbb
                                        ; -- End function
	.section	.AMDGPU.csdata,"",@progbits
; Kernel info:
; codeLenInByte = 3192
; NumSgprs: 46
; NumVgprs: 41
; ScratchSize: 0
; MemoryBound: 0
; FloatMode: 240
; IeeeMode: 1
; LDSByteSize: 8192 bytes/workgroup (compile time only)
; SGPRBlocks: 5
; VGPRBlocks: 5
; NumSGPRsForWavesPerEU: 46
; NumVGPRsForWavesPerEU: 41
; Occupancy: 16
; WaveLimiterHint : 1
; COMPUTE_PGM_RSRC2:SCRATCH_EN: 0
; COMPUTE_PGM_RSRC2:USER_SGPR: 15
; COMPUTE_PGM_RSRC2:TRAP_HANDLER: 0
; COMPUTE_PGM_RSRC2:TGID_X_EN: 1
; COMPUTE_PGM_RSRC2:TGID_Y_EN: 0
; COMPUTE_PGM_RSRC2:TGID_Z_EN: 0
; COMPUTE_PGM_RSRC2:TIDIG_COMP_CNT: 0
	.section	.text._ZN9rocsparseL26csrgemm_fill_block_per_rowILj128ELj16ELj256ELj137ELj32ElldEEvT5_PKS1_S3_NS_24const_host_device_scalarIT6_EEPKT4_S3_PKS5_S9_S3_SB_S6_S9_S3_SB_S9_PS1_PS5_21rocsparse_index_base_SE_SE_SE_bbb,"axG",@progbits,_ZN9rocsparseL26csrgemm_fill_block_per_rowILj128ELj16ELj256ELj137ELj32ElldEEvT5_PKS1_S3_NS_24const_host_device_scalarIT6_EEPKT4_S3_PKS5_S9_S3_SB_S6_S9_S3_SB_S9_PS1_PS5_21rocsparse_index_base_SE_SE_SE_bbb,comdat
	.globl	_ZN9rocsparseL26csrgemm_fill_block_per_rowILj128ELj16ELj256ELj137ELj32ElldEEvT5_PKS1_S3_NS_24const_host_device_scalarIT6_EEPKT4_S3_PKS5_S9_S3_SB_S6_S9_S3_SB_S9_PS1_PS5_21rocsparse_index_base_SE_SE_SE_bbb ; -- Begin function _ZN9rocsparseL26csrgemm_fill_block_per_rowILj128ELj16ELj256ELj137ELj32ElldEEvT5_PKS1_S3_NS_24const_host_device_scalarIT6_EEPKT4_S3_PKS5_S9_S3_SB_S6_S9_S3_SB_S9_PS1_PS5_21rocsparse_index_base_SE_SE_SE_bbb
	.p2align	8
	.type	_ZN9rocsparseL26csrgemm_fill_block_per_rowILj128ELj16ELj256ELj137ELj32ElldEEvT5_PKS1_S3_NS_24const_host_device_scalarIT6_EEPKT4_S3_PKS5_S9_S3_SB_S6_S9_S3_SB_S9_PS1_PS5_21rocsparse_index_base_SE_SE_SE_bbb,@function
_ZN9rocsparseL26csrgemm_fill_block_per_rowILj128ELj16ELj256ELj137ELj32ElldEEvT5_PKS1_S3_NS_24const_host_device_scalarIT6_EEPKT4_S3_PKS5_S9_S3_SB_S6_S9_S3_SB_S9_PS1_PS5_21rocsparse_index_base_SE_SE_SE_bbb: ; @_ZN9rocsparseL26csrgemm_fill_block_per_rowILj128ELj16ELj256ELj137ELj32ElldEEvT5_PKS1_S3_NS_24const_host_device_scalarIT6_EEPKT4_S3_PKS5_S9_S3_SB_S6_S9_S3_SB_S9_PS1_PS5_21rocsparse_index_base_SE_SE_SE_bbb
; %bb.0:
	s_clause 0x2
	s_load_b32 s3, s[0:1], 0x98
	s_load_b64 s[6:7], s[0:1], 0x18
	s_load_b64 s[4:5], s[0:1], 0x50
	s_mov_b32 s2, s15
	s_waitcnt lgkmcnt(0)
	s_and_b32 s9, 1, s3
	s_bitcmp1_b32 s3, 16
	s_cselect_b32 s8, -1, 0
	s_cmp_eq_u32 s9, 1
	s_cselect_b32 s40, -1, 0
	s_delay_alu instid0(SALU_CYCLE_1)
	s_and_b32 s9, s40, exec_lo
	s_cselect_b32 s11, s7, 0
	s_cselect_b32 s10, s6, 0
	s_xor_b32 s9, s40, -1
	v_dual_mov_b32 v3, s10 :: v_dual_mov_b32 v4, s11
	s_or_b32 s9, s9, s8
	s_delay_alu instid0(SALU_CYCLE_1)
	s_and_b32 vcc_lo, exec_lo, s9
	s_cbranch_vccnz .LBB114_2
; %bb.1:
	v_dual_mov_b32 v1, s6 :: v_dual_mov_b32 v2, s7
	flat_load_b64 v[3:4], v[1:2]
.LBB114_2:
	s_load_b128 s[20:23], s[0:1], 0x88
	s_bitcmp1_b32 s3, 8
	s_cselect_b32 s33, -1, 0
	s_delay_alu instid0(SALU_CYCLE_1)
	s_and_b32 s3, s33, exec_lo
	s_cselect_b32 s7, s5, 0
	s_cselect_b32 s6, s4, 0
	s_xor_b32 s3, s33, -1
	v_dual_mov_b32 v1, s6 :: v_dual_mov_b32 v2, s7
	s_or_b32 s3, s3, s8
	s_delay_alu instid0(SALU_CYCLE_1)
	s_and_b32 vcc_lo, exec_lo, s3
	s_cbranch_vccnz .LBB114_4
; %bb.3:
	v_dual_mov_b32 v1, s4 :: v_dual_mov_b32 v2, s5
	flat_load_b64 v[1:2], v[1:2]
.LBB114_4:
	s_clause 0x5
	s_load_b128 s[24:27], s[0:1], 0x78
	s_load_b256 s[4:11], s[0:1], 0x58
	s_load_b128 s[36:39], s[0:1], 0x40
	s_load_b128 s[28:31], s[0:1], 0x0
	s_load_b64 s[34:35], s[0:1], 0x10
	s_load_b256 s[12:19], s[0:1], 0x20
	v_cmp_gt_u32_e64 s0, 0x100, v0
	v_or_b32_e32 v19, 0xffffff80, v0
	v_lshl_add_u32 v20, v0, 3, 0
	s_delay_alu instid0(VALU_DEP_3)
	s_and_saveexec_b32 s1, s0
	s_cbranch_execz .LBB114_7
; %bb.5:
	v_mov_b32_e32 v5, 0
	s_waitcnt lgkmcnt(0)
	v_mov_b32_e32 v7, s28
	v_or_b32_e32 v9, 0xffffff80, v0
	v_lshl_add_u32 v10, v0, 3, 0
	v_mov_b32_e32 v8, s29
	v_mov_b32_e32 v6, v5
	s_mov_b32 s3, 0
.LBB114_6:                              ; =>This Inner Loop Header: Depth=1
	v_add_co_u32 v9, s41, 0x80, v9
	s_delay_alu instid0(VALU_DEP_1) | instskip(SKIP_3) | instid1(SALU_CYCLE_1)
	s_xor_b32 s41, s41, -1
	ds_store_2addr_stride64_b64 v10, v[7:8], v[5:6] offset1:4
	v_add_nc_u32_e32 v10, 0x400, v10
	s_and_b32 s41, exec_lo, s41
	s_or_b32 s3, s41, s3
	s_delay_alu instid0(SALU_CYCLE_1)
	s_and_not1_b32 exec_lo, exec_lo, s3
	s_cbranch_execnz .LBB114_6
.LBB114_7:
	s_or_b32 exec_lo, exec_lo, s1
	s_waitcnt vmcnt(0) lgkmcnt(0)
	s_barrier
	buffer_gl0_inv
	s_load_b64 s[30:31], s[30:31], 0x0
	s_mov_b32 s3, 0
	s_waitcnt lgkmcnt(0)
	s_lshl_b64 s[30:31], s[30:31], 3
	s_delay_alu instid0(SALU_CYCLE_1) | instskip(SKIP_2) | instid1(SALU_CYCLE_1)
	s_add_u32 s1, s34, s30
	s_addc_u32 s30, s35, s31
	s_lshl_b64 s[2:3], s[2:3], 3
	s_add_u32 s2, s1, s2
	s_addc_u32 s3, s30, s3
	s_and_b32 vcc_lo, exec_lo, s40
	s_load_b64 s[30:31], s[2:3], 0x0
	s_cbranch_vccz .LBB114_31
; %bb.8:
	s_waitcnt lgkmcnt(0)
	s_lshl_b64 s[2:3], s[30:31], 3
	v_lshrrev_b32_e32 v5, 4, v0
	s_add_u32 s2, s12, s2
	s_addc_u32 s3, s13, s3
	s_load_b128 s[40:43], s[2:3], 0x0
	s_delay_alu instid0(VALU_DEP_1) | instskip(NEXT) | instid1(VALU_DEP_1)
	v_sub_co_u32 v5, s1, v5, s20
	v_sub_co_ci_u32_e64 v6, null, 0, 0, s1
	s_mov_b32 s1, exec_lo
	s_waitcnt lgkmcnt(0)
	s_delay_alu instid0(VALU_DEP_2) | instskip(NEXT) | instid1(VALU_DEP_2)
	v_add_co_u32 v5, vcc_lo, s40, v5
	v_add_co_ci_u32_e32 v6, vcc_lo, s41, v6, vcc_lo
	s_sub_u32 s2, s42, s20
	s_subb_u32 s3, s43, 0
	s_delay_alu instid0(VALU_DEP_1) | instid1(SALU_CYCLE_1)
	v_cmpx_gt_i64_e64 s[2:3], v[5:6]
	s_cbranch_execz .LBB114_30
; %bb.9:
	v_and_b32_e32 v7, 15, v0
	s_mov_b32 s13, s21
	s_delay_alu instid0(VALU_DEP_1) | instskip(NEXT) | instid1(VALU_DEP_1)
	v_sub_co_u32 v21, s12, v7, s21
	v_sub_co_ci_u32_e64 v22, null, 0, 0, s12
	s_mov_b32 s12, 0
	s_branch .LBB114_11
.LBB114_10:                             ;   in Loop: Header=BB114_11 Depth=1
	s_or_b32 exec_lo, exec_lo, s21
	v_add_co_u32 v5, vcc_lo, v5, 8
	v_add_co_ci_u32_e32 v6, vcc_lo, 0, v6, vcc_lo
	s_delay_alu instid0(VALU_DEP_1) | instskip(SKIP_1) | instid1(SALU_CYCLE_1)
	v_cmp_le_i64_e32 vcc_lo, s[2:3], v[5:6]
	s_or_b32 s12, vcc_lo, s12
	s_and_not1_b32 exec_lo, exec_lo, s12
	s_cbranch_execz .LBB114_30
.LBB114_11:                             ; =>This Loop Header: Depth=1
                                        ;     Child Loop BB114_14 Depth 2
                                        ;       Child Loop BB114_16 Depth 3
                                        ;         Child Loop BB114_22 Depth 4
                                        ;         Child Loop BB114_28 Depth 4
	v_lshlrev_b64 v[11:12], 3, v[5:6]
	s_mov_b32 s21, exec_lo
	s_delay_alu instid0(VALU_DEP_1) | instskip(NEXT) | instid1(VALU_DEP_2)
	v_add_co_u32 v7, vcc_lo, s14, v11
	v_add_co_ci_u32_e32 v8, vcc_lo, s15, v12, vcc_lo
	global_load_b64 v[7:8], v[7:8], off
	s_waitcnt vmcnt(0)
	v_sub_co_u32 v7, vcc_lo, v7, s20
	v_subrev_co_ci_u32_e32 v8, vcc_lo, 0, v8, vcc_lo
	s_delay_alu instid0(VALU_DEP_1) | instskip(NEXT) | instid1(VALU_DEP_1)
	v_lshlrev_b64 v[7:8], 3, v[7:8]
	v_add_co_u32 v7, vcc_lo, s18, v7
	s_delay_alu instid0(VALU_DEP_2)
	v_add_co_ci_u32_e32 v8, vcc_lo, s19, v8, vcc_lo
	global_load_b128 v[13:16], v[7:8], off
	s_waitcnt vmcnt(0)
	v_sub_co_u32 v7, vcc_lo, v15, s13
	v_subrev_co_ci_u32_e32 v8, vcc_lo, 0, v16, vcc_lo
	v_add_co_u32 v9, vcc_lo, v13, v21
	v_add_co_ci_u32_e32 v10, vcc_lo, v14, v22, vcc_lo
	s_delay_alu instid0(VALU_DEP_1)
	v_cmpx_lt_i64_e64 v[9:10], v[7:8]
	s_cbranch_execz .LBB114_10
; %bb.12:                               ;   in Loop: Header=BB114_11 Depth=1
	v_add_co_u32 v11, vcc_lo, s16, v11
	v_add_co_ci_u32_e32 v12, vcc_lo, s17, v12, vcc_lo
	s_mov_b32 s34, 0
	global_load_b64 v[11:12], v[11:12], off
	s_waitcnt vmcnt(0)
	v_mul_f64 v[11:12], v[3:4], v[11:12]
	s_branch .LBB114_14
.LBB114_13:                             ;   in Loop: Header=BB114_14 Depth=2
	s_or_b32 exec_lo, exec_lo, s35
	v_add_co_u32 v9, vcc_lo, v9, 16
	v_add_co_ci_u32_e32 v10, vcc_lo, 0, v10, vcc_lo
	s_delay_alu instid0(VALU_DEP_1) | instskip(SKIP_1) | instid1(SALU_CYCLE_1)
	v_cmp_ge_i64_e32 vcc_lo, v[9:10], v[7:8]
	s_or_b32 s34, vcc_lo, s34
	s_and_not1_b32 exec_lo, exec_lo, s34
	s_cbranch_execz .LBB114_10
.LBB114_14:                             ;   Parent Loop BB114_11 Depth=1
                                        ; =>  This Loop Header: Depth=2
                                        ;       Child Loop BB114_16 Depth 3
                                        ;         Child Loop BB114_22 Depth 4
                                        ;         Child Loop BB114_28 Depth 4
	v_lshlrev_b64 v[13:14], 3, v[9:10]
	s_mov_b32 s35, 0
	s_delay_alu instid0(VALU_DEP_1) | instskip(NEXT) | instid1(VALU_DEP_2)
	v_add_co_u32 v15, vcc_lo, s38, v13
	v_add_co_ci_u32_e32 v16, vcc_lo, s39, v14, vcc_lo
	v_add_co_u32 v13, vcc_lo, s36, v13
	v_add_co_ci_u32_e32 v14, vcc_lo, s37, v14, vcc_lo
	global_load_b64 v[15:16], v[15:16], off
	global_load_b64 v[17:18], v[13:14], off
	s_waitcnt vmcnt(1)
	v_mul_f64 v[13:14], v[11:12], v[15:16]
	s_waitcnt vmcnt(0)
	v_sub_co_u32 v15, vcc_lo, v17, s13
	v_subrev_co_ci_u32_e32 v16, vcc_lo, 0, v18, vcc_lo
	s_delay_alu instid0(VALU_DEP_2) | instskip(NEXT) | instid1(VALU_DEP_1)
	v_mul_lo_u32 v17, 0x89, v15
	v_and_b32_e32 v23, 0xff, v17
	s_branch .LBB114_16
.LBB114_15:                             ;   in Loop: Header=BB114_16 Depth=3
	s_or_b32 exec_lo, exec_lo, s40
	s_xor_b32 s40, s41, -1
	s_delay_alu instid0(SALU_CYCLE_1) | instskip(NEXT) | instid1(SALU_CYCLE_1)
	s_and_b32 s40, exec_lo, s40
	s_or_b32 s35, s40, s35
	s_delay_alu instid0(SALU_CYCLE_1)
	s_and_not1_b32 exec_lo, exec_lo, s35
	s_cbranch_execz .LBB114_13
.LBB114_16:                             ;   Parent Loop BB114_11 Depth=1
                                        ;     Parent Loop BB114_14 Depth=2
                                        ; =>    This Loop Header: Depth=3
                                        ;         Child Loop BB114_22 Depth 4
                                        ;         Child Loop BB114_28 Depth 4
	s_delay_alu instid0(VALU_DEP_1)
	v_lshl_add_u32 v24, v23, 3, 0
	s_mov_b32 s40, exec_lo
                                        ; implicit-def: $sgpr41
	ds_load_b64 v[17:18], v24
	s_waitcnt lgkmcnt(0)
	v_cmpx_ne_u64_e64 v[17:18], v[15:16]
	s_xor_b32 s40, exec_lo, s40
	s_cbranch_execz .LBB114_26
; %bb.17:                               ;   in Loop: Header=BB114_16 Depth=3
	s_mov_b32 s42, exec_lo
                                        ; implicit-def: $sgpr41
	v_cmpx_ne_u64_e64 s[28:29], v[17:18]
	s_xor_b32 s42, exec_lo, s42
; %bb.18:                               ;   in Loop: Header=BB114_16 Depth=3
	v_add_nc_u32_e32 v17, 1, v23
	s_mov_b32 s41, -1
                                        ; implicit-def: $vgpr24
	s_delay_alu instid0(VALU_DEP_1)
	v_and_b32_e32 v23, 0xff, v17
; %bb.19:                               ;   in Loop: Header=BB114_16 Depth=3
	s_and_not1_saveexec_b32 s42, s42
	s_cbranch_execz .LBB114_25
; %bb.20:                               ;   in Loop: Header=BB114_16 Depth=3
	v_dual_mov_b32 v17, s28 :: v_dual_mov_b32 v18, s29
	s_mov_b32 s44, -1
	s_mov_b32 s43, exec_lo
	ds_cmpstore_rtn_b64 v[17:18], v24, v[15:16], v[17:18]
	s_waitcnt lgkmcnt(0)
	v_cmpx_eq_u64_e64 s[28:29], v[17:18]
	s_cbranch_execz .LBB114_24
; %bb.21:                               ;   in Loop: Header=BB114_16 Depth=3
	ds_load_b64 v[17:18], v24 offset:2048
	s_mov_b32 s44, 0
.LBB114_22:                             ;   Parent Loop BB114_11 Depth=1
                                        ;     Parent Loop BB114_14 Depth=2
                                        ;       Parent Loop BB114_16 Depth=3
                                        ; =>      This Inner Loop Header: Depth=4
	s_waitcnt lgkmcnt(0)
	v_add_f64 v[25:26], v[17:18], v[13:14]
	ds_cmpstore_rtn_b64 v[25:26], v24, v[25:26], v[17:18] offset:2048
	s_waitcnt lgkmcnt(0)
	v_cmp_eq_u64_e32 vcc_lo, v[25:26], v[17:18]
	v_dual_mov_b32 v17, v25 :: v_dual_mov_b32 v18, v26
	s_or_b32 s44, vcc_lo, s44
	s_delay_alu instid0(SALU_CYCLE_1)
	s_and_not1_b32 exec_lo, exec_lo, s44
	s_cbranch_execnz .LBB114_22
; %bb.23:                               ;   in Loop: Header=BB114_16 Depth=3
	s_or_b32 exec_lo, exec_lo, s44
	s_delay_alu instid0(SALU_CYCLE_1)
	s_xor_b32 s44, exec_lo, -1
.LBB114_24:                             ;   in Loop: Header=BB114_16 Depth=3
	s_or_b32 exec_lo, exec_lo, s43
	s_delay_alu instid0(SALU_CYCLE_1) | instskip(SKIP_1) | instid1(SALU_CYCLE_1)
	s_and_not1_b32 s41, s41, exec_lo
	s_and_b32 s43, s44, exec_lo
	s_or_b32 s41, s41, s43
.LBB114_25:                             ;   in Loop: Header=BB114_16 Depth=3
	s_or_b32 exec_lo, exec_lo, s42
	s_delay_alu instid0(SALU_CYCLE_1)
	s_and_b32 s41, s41, exec_lo
                                        ; implicit-def: $vgpr24
.LBB114_26:                             ;   in Loop: Header=BB114_16 Depth=3
	s_and_not1_saveexec_b32 s40, s40
	s_cbranch_execz .LBB114_15
; %bb.27:                               ;   in Loop: Header=BB114_16 Depth=3
	ds_load_b64 v[17:18], v24 offset:2048
	s_mov_b32 s42, 0
.LBB114_28:                             ;   Parent Loop BB114_11 Depth=1
                                        ;     Parent Loop BB114_14 Depth=2
                                        ;       Parent Loop BB114_16 Depth=3
                                        ; =>      This Inner Loop Header: Depth=4
	s_waitcnt lgkmcnt(0)
	v_add_f64 v[25:26], v[17:18], v[13:14]
	ds_cmpstore_rtn_b64 v[25:26], v24, v[25:26], v[17:18] offset:2048
	s_waitcnt lgkmcnt(0)
	v_cmp_eq_u64_e32 vcc_lo, v[25:26], v[17:18]
	v_dual_mov_b32 v17, v25 :: v_dual_mov_b32 v18, v26
	s_or_b32 s42, vcc_lo, s42
	s_delay_alu instid0(SALU_CYCLE_1)
	s_and_not1_b32 exec_lo, exec_lo, s42
	s_cbranch_execnz .LBB114_28
; %bb.29:                               ;   in Loop: Header=BB114_16 Depth=3
	s_or_b32 exec_lo, exec_lo, s42
	s_delay_alu instid0(SALU_CYCLE_1)
	s_and_not1_b32 s41, s41, exec_lo
	s_branch .LBB114_15
.LBB114_30:
	s_or_b32 exec_lo, exec_lo, s1
.LBB114_31:
	s_delay_alu instid0(SALU_CYCLE_1)
	s_and_not1_b32 vcc_lo, exec_lo, s33
	s_cbranch_vccnz .LBB114_52
; %bb.32:
	s_waitcnt lgkmcnt(0)
	s_lshl_b64 s[2:3], s[30:31], 3
	v_sub_co_u32 v3, s1, v0, s23
	s_add_u32 s2, s4, s2
	s_addc_u32 s3, s5, s3
	v_sub_co_ci_u32_e64 v4, null, 0, 0, s1
	s_load_b128 s[12:15], s[2:3], 0x0
	s_mov_b32 s1, 0
	s_mov_b32 s4, exec_lo
	s_waitcnt lgkmcnt(0)
	v_add_co_u32 v3, vcc_lo, s12, v3
	v_add_co_ci_u32_e32 v4, vcc_lo, s13, v4, vcc_lo
	s_sub_u32 s2, s14, s23
	s_subb_u32 s3, s15, 0
	s_delay_alu instid0(VALU_DEP_1) | instid1(SALU_CYCLE_1)
	v_cmpx_gt_i64_e64 s[2:3], v[3:4]
	s_cbranch_execz .LBB114_51
; %bb.33:
	s_mov_b32 s5, s23
	s_branch .LBB114_35
.LBB114_34:                             ;   in Loop: Header=BB114_35 Depth=1
	s_or_b32 exec_lo, exec_lo, s12
	v_add_co_u32 v3, vcc_lo, 0x80, v3
	v_add_co_ci_u32_e32 v4, vcc_lo, 0, v4, vcc_lo
	s_delay_alu instid0(VALU_DEP_1) | instskip(SKIP_1) | instid1(SALU_CYCLE_1)
	v_cmp_le_i64_e32 vcc_lo, s[2:3], v[3:4]
	s_or_b32 s1, vcc_lo, s1
	s_and_not1_b32 exec_lo, exec_lo, s1
	s_cbranch_execz .LBB114_51
.LBB114_35:                             ; =>This Loop Header: Depth=1
                                        ;     Child Loop BB114_37 Depth 2
                                        ;       Child Loop BB114_43 Depth 3
                                        ;       Child Loop BB114_49 Depth 3
	v_lshlrev_b64 v[5:6], 3, v[3:4]
	s_mov_b32 s12, 0
	s_delay_alu instid0(VALU_DEP_1) | instskip(NEXT) | instid1(VALU_DEP_2)
	v_add_co_u32 v7, vcc_lo, s8, v5
	v_add_co_ci_u32_e32 v8, vcc_lo, s9, v6, vcc_lo
	v_add_co_u32 v5, vcc_lo, s6, v5
	v_add_co_ci_u32_e32 v6, vcc_lo, s7, v6, vcc_lo
	global_load_b64 v[7:8], v[7:8], off
	global_load_b64 v[9:10], v[5:6], off
	s_waitcnt vmcnt(1)
	v_mul_f64 v[5:6], v[1:2], v[7:8]
	s_waitcnt vmcnt(0)
	v_sub_co_u32 v7, vcc_lo, v9, s5
	v_subrev_co_ci_u32_e32 v8, vcc_lo, 0, v10, vcc_lo
	s_delay_alu instid0(VALU_DEP_2) | instskip(NEXT) | instid1(VALU_DEP_1)
	v_mul_lo_u32 v9, 0x89, v7
	v_and_b32_e32 v11, 0xff, v9
	s_branch .LBB114_37
.LBB114_36:                             ;   in Loop: Header=BB114_37 Depth=2
	s_or_b32 exec_lo, exec_lo, s13
	s_xor_b32 s13, s14, -1
	s_delay_alu instid0(SALU_CYCLE_1) | instskip(NEXT) | instid1(SALU_CYCLE_1)
	s_and_b32 s13, exec_lo, s13
	s_or_b32 s12, s13, s12
	s_delay_alu instid0(SALU_CYCLE_1)
	s_and_not1_b32 exec_lo, exec_lo, s12
	s_cbranch_execz .LBB114_34
.LBB114_37:                             ;   Parent Loop BB114_35 Depth=1
                                        ; =>  This Loop Header: Depth=2
                                        ;       Child Loop BB114_43 Depth 3
                                        ;       Child Loop BB114_49 Depth 3
	s_delay_alu instid0(VALU_DEP_1)
	v_lshl_add_u32 v12, v11, 3, 0
	s_mov_b32 s13, exec_lo
                                        ; implicit-def: $sgpr14
	ds_load_b64 v[9:10], v12
	s_waitcnt lgkmcnt(0)
	v_cmpx_ne_u64_e64 v[9:10], v[7:8]
	s_xor_b32 s13, exec_lo, s13
	s_cbranch_execz .LBB114_47
; %bb.38:                               ;   in Loop: Header=BB114_37 Depth=2
	s_mov_b32 s15, exec_lo
                                        ; implicit-def: $sgpr14
	v_cmpx_ne_u64_e64 s[28:29], v[9:10]
	s_xor_b32 s15, exec_lo, s15
; %bb.39:                               ;   in Loop: Header=BB114_37 Depth=2
	v_add_nc_u32_e32 v9, 1, v11
	s_mov_b32 s14, -1
                                        ; implicit-def: $vgpr12
	s_delay_alu instid0(VALU_DEP_1)
	v_and_b32_e32 v11, 0xff, v9
; %bb.40:                               ;   in Loop: Header=BB114_37 Depth=2
	s_and_not1_saveexec_b32 s15, s15
	s_cbranch_execz .LBB114_46
; %bb.41:                               ;   in Loop: Header=BB114_37 Depth=2
	v_dual_mov_b32 v9, s28 :: v_dual_mov_b32 v10, s29
	s_mov_b32 s17, -1
	s_mov_b32 s16, exec_lo
	ds_cmpstore_rtn_b64 v[9:10], v12, v[7:8], v[9:10]
	s_waitcnt lgkmcnt(0)
	v_cmpx_eq_u64_e64 s[28:29], v[9:10]
	s_cbranch_execz .LBB114_45
; %bb.42:                               ;   in Loop: Header=BB114_37 Depth=2
	ds_load_b64 v[9:10], v12 offset:2048
	s_mov_b32 s17, 0
.LBB114_43:                             ;   Parent Loop BB114_35 Depth=1
                                        ;     Parent Loop BB114_37 Depth=2
                                        ; =>    This Inner Loop Header: Depth=3
	s_waitcnt lgkmcnt(0)
	v_add_f64 v[13:14], v[9:10], v[5:6]
	ds_cmpstore_rtn_b64 v[13:14], v12, v[13:14], v[9:10] offset:2048
	s_waitcnt lgkmcnt(0)
	v_cmp_eq_u64_e32 vcc_lo, v[13:14], v[9:10]
	v_dual_mov_b32 v9, v13 :: v_dual_mov_b32 v10, v14
	s_or_b32 s17, vcc_lo, s17
	s_delay_alu instid0(SALU_CYCLE_1)
	s_and_not1_b32 exec_lo, exec_lo, s17
	s_cbranch_execnz .LBB114_43
; %bb.44:                               ;   in Loop: Header=BB114_37 Depth=2
	s_or_b32 exec_lo, exec_lo, s17
	s_delay_alu instid0(SALU_CYCLE_1)
	s_xor_b32 s17, exec_lo, -1
.LBB114_45:                             ;   in Loop: Header=BB114_37 Depth=2
	s_or_b32 exec_lo, exec_lo, s16
	s_delay_alu instid0(SALU_CYCLE_1) | instskip(SKIP_1) | instid1(SALU_CYCLE_1)
	s_and_not1_b32 s14, s14, exec_lo
	s_and_b32 s16, s17, exec_lo
	s_or_b32 s14, s14, s16
.LBB114_46:                             ;   in Loop: Header=BB114_37 Depth=2
	s_or_b32 exec_lo, exec_lo, s15
	s_delay_alu instid0(SALU_CYCLE_1)
	s_and_b32 s14, s14, exec_lo
                                        ; implicit-def: $vgpr12
.LBB114_47:                             ;   in Loop: Header=BB114_37 Depth=2
	s_and_not1_saveexec_b32 s13, s13
	s_cbranch_execz .LBB114_36
; %bb.48:                               ;   in Loop: Header=BB114_37 Depth=2
	ds_load_b64 v[9:10], v12 offset:2048
	s_mov_b32 s15, 0
.LBB114_49:                             ;   Parent Loop BB114_35 Depth=1
                                        ;     Parent Loop BB114_37 Depth=2
                                        ; =>    This Inner Loop Header: Depth=3
	s_waitcnt lgkmcnt(0)
	v_add_f64 v[13:14], v[9:10], v[5:6]
	ds_cmpstore_rtn_b64 v[13:14], v12, v[13:14], v[9:10] offset:2048
	s_waitcnt lgkmcnt(0)
	v_cmp_eq_u64_e32 vcc_lo, v[13:14], v[9:10]
	v_dual_mov_b32 v9, v13 :: v_dual_mov_b32 v10, v14
	s_or_b32 s15, vcc_lo, s15
	s_delay_alu instid0(SALU_CYCLE_1)
	s_and_not1_b32 exec_lo, exec_lo, s15
	s_cbranch_execnz .LBB114_49
; %bb.50:                               ;   in Loop: Header=BB114_37 Depth=2
	s_or_b32 exec_lo, exec_lo, s15
	s_delay_alu instid0(SALU_CYCLE_1)
	s_and_not1_b32 s14, s14, exec_lo
	s_branch .LBB114_36
.LBB114_51:
	s_or_b32 exec_lo, exec_lo, s4
.LBB114_52:
	s_waitcnt lgkmcnt(0)
	s_barrier
	buffer_gl0_inv
	s_and_saveexec_b32 s4, s0
	s_cbranch_execz .LBB114_65
; %bb.53:
	v_mbcnt_lo_u32_b32 v1, -1, 0
	v_lshrrev_b32_e32 v2, 2, v0
	v_cmp_eq_u32_e32 vcc_lo, 0x7f, v0
	v_cmp_lt_u32_e64 s0, 31, v0
	v_cmp_lt_u32_e64 s1, 63, v0
	v_xor_b32_e32 v1, 63, v1
	v_and_b32_e32 v2, 24, v2
	v_cmp_lt_u32_e64 s2, 0x5f, v0
	s_mov_b32 s5, 0
	v_mov_b32_e32 v9, 0
	v_lshrrev_b64 v[5:6], v1, -1
	v_mov_b32_e32 v6, 0
	v_dual_mov_b32 v7, 0 :: v_dual_add_nc_u32 v12, 0, v2
	s_branch .LBB114_55
.LBB114_54:                             ;   in Loop: Header=BB114_55 Depth=1
	s_or_b32 exec_lo, exec_lo, s3
	s_waitcnt lgkmcnt(0)
	s_barrier
	buffer_gl0_inv
	ds_load_b64 v[1:2], v9 offset:4120
	v_add_co_u32 v19, s3, 0x80, v19
	s_delay_alu instid0(VALU_DEP_1) | instskip(SKIP_3) | instid1(VALU_DEP_1)
	s_xor_b32 s6, s3, -1
	v_add_nc_u32_e32 v20, 0x400, v20
	s_waitcnt lgkmcnt(0)
	v_add_co_u32 v6, s3, v1, v6
	v_add_co_ci_u32_e64 v7, s3, v2, v7, s3
	s_and_b32 s3, exec_lo, s6
	s_delay_alu instid0(SALU_CYCLE_1) | instskip(NEXT) | instid1(SALU_CYCLE_1)
	s_or_b32 s5, s3, s5
	s_and_not1_b32 exec_lo, exec_lo, s5
	s_cbranch_execz .LBB114_65
.LBB114_55:                             ; =>This Inner Loop Header: Depth=1
	ds_load_2addr_stride64_b64 v[1:4], v20 offset1:4
	s_waitcnt lgkmcnt(0)
	s_barrier
	buffer_gl0_inv
	v_cmp_gt_i64_e64 s3, s[28:29], v[1:2]
	s_delay_alu instid0(VALU_DEP_1) | instskip(SKIP_1) | instid1(SALU_CYCLE_1)
	v_and_b32_e32 v10, s3, v5
	s_bcnt1_i32_b32 s6, s3
	v_mov_b32_e32 v8, s6
	s_delay_alu instid0(VALU_DEP_2)
	v_bcnt_u32_b32 v10, v10, 0
	ds_store_b64 v12, v[8:9] offset:4096
	s_waitcnt lgkmcnt(0)
	s_barrier
	buffer_gl0_inv
	s_and_saveexec_b32 s6, s0
	s_cbranch_execnz .LBB114_60
; %bb.56:                               ;   in Loop: Header=BB114_55 Depth=1
	s_or_b32 exec_lo, exec_lo, s6
	s_and_saveexec_b32 s6, s1
	s_cbranch_execnz .LBB114_61
.LBB114_57:                             ;   in Loop: Header=BB114_55 Depth=1
	s_or_b32 exec_lo, exec_lo, s6
	s_and_saveexec_b32 s6, s2
	s_cbranch_execnz .LBB114_62
.LBB114_58:                             ;   in Loop: Header=BB114_55 Depth=1
	s_or_b32 exec_lo, exec_lo, s6
	v_ashrrev_i32_e32 v11, 31, v10
	s_and_saveexec_b32 s6, s3
	s_cbranch_execnz .LBB114_63
.LBB114_59:                             ;   in Loop: Header=BB114_55 Depth=1
	s_or_b32 exec_lo, exec_lo, s6
	s_and_saveexec_b32 s3, vcc_lo
	s_cbranch_execz .LBB114_54
	s_branch .LBB114_64
.LBB114_60:                             ;   in Loop: Header=BB114_55 Depth=1
	ds_load_b32 v8, v9 offset:4096
	s_waitcnt lgkmcnt(0)
	v_add_nc_u32_e32 v10, v8, v10
	s_or_b32 exec_lo, exec_lo, s6
	s_and_saveexec_b32 s6, s1
	s_cbranch_execz .LBB114_57
.LBB114_61:                             ;   in Loop: Header=BB114_55 Depth=1
	ds_load_b32 v8, v9 offset:4104
	s_waitcnt lgkmcnt(0)
	v_add_nc_u32_e32 v10, v10, v8
	s_or_b32 exec_lo, exec_lo, s6
	s_and_saveexec_b32 s6, s2
	s_cbranch_execz .LBB114_58
.LBB114_62:                             ;   in Loop: Header=BB114_55 Depth=1
	ds_load_b32 v8, v9 offset:4112
	s_waitcnt lgkmcnt(0)
	v_add_nc_u32_e32 v10, v10, v8
	s_or_b32 exec_lo, exec_lo, s6
	s_delay_alu instid0(VALU_DEP_1)
	v_ashrrev_i32_e32 v11, 31, v10
	s_and_saveexec_b32 s6, s3
	s_cbranch_execz .LBB114_59
.LBB114_63:                             ;   in Loop: Header=BB114_55 Depth=1
	v_add3_u32 v8, v6, -1, v10
	s_delay_alu instid0(VALU_DEP_1)
	v_lshl_add_u32 v8, v8, 3, 0
	ds_store_2addr_stride64_b64 v8, v[1:2], v[3:4] offset1:4
	s_or_b32 exec_lo, exec_lo, s6
	s_and_saveexec_b32 s3, vcc_lo
	s_cbranch_execz .LBB114_54
.LBB114_64:                             ;   in Loop: Header=BB114_55 Depth=1
	ds_store_b64 v9, v[10:11] offset:4120
	s_branch .LBB114_54
.LBB114_65:
	s_or_b32 exec_lo, exec_lo, s4
	s_lshl_b64 s[0:1], s[30:31], 3
	v_mov_b32_e32 v1, 0
	s_add_u32 s0, s10, s0
	s_addc_u32 s1, s11, s1
	s_mov_b32 s6, exec_lo
	s_load_b128 s[0:3], s[0:1], 0x0
	s_waitcnt lgkmcnt(0)
	s_sub_u32 s4, s2, s0
	s_subb_u32 s5, s3, s1
	s_delay_alu instid0(SALU_CYCLE_1)
	v_cmpx_gt_i64_e64 s[4:5], v[0:1]
	s_cbranch_execz .LBB114_75
; %bb.66:
	s_sub_u32 s8, s0, s22
	s_subb_u32 s9, s1, 0
	s_and_b32 s6, s4, 7
	s_sub_u32 s0, s0, s2
	s_subb_u32 s1, s1, s3
	s_mov_b32 s7, 0
	v_cmp_lt_u64_e64 s12, s[0:1], -7
	s_and_b32 s2, s4, -8
	s_cmp_lg_u64 s[6:7], 0
	s_mov_b32 s3, s5
	s_cselect_b32 s13, -1, 0
	s_mov_b32 s14, s7
	s_branch .LBB114_68
.LBB114_67:                             ;   in Loop: Header=BB114_68 Depth=1
	s_waitcnt lgkmcnt(0)
	v_add_co_u32 v2, vcc_lo, v2, s22
	v_lshlrev_b64 v[6:7], 3, v[6:7]
	v_add_co_ci_u32_e32 v3, vcc_lo, 0, v3, vcc_lo
	v_add_co_u32 v0, vcc_lo, 0x80, v0
	v_add_co_ci_u32_e32 v1, vcc_lo, 0, v1, vcc_lo
	s_delay_alu instid0(VALU_DEP_4) | instskip(SKIP_1) | instid1(VALU_DEP_3)
	v_add_co_u32 v8, vcc_lo, s24, v6
	v_add_co_ci_u32_e32 v9, vcc_lo, s25, v7, vcc_lo
	v_cmp_le_i64_e32 vcc_lo, s[4:5], v[0:1]
	v_add_co_u32 v6, s0, s26, v6
	s_delay_alu instid0(VALU_DEP_1) | instskip(SKIP_3) | instid1(SALU_CYCLE_1)
	v_add_co_ci_u32_e64 v7, s0, s27, v7, s0
	global_store_b64 v[8:9], v[2:3], off
	global_store_b64 v[6:7], v[4:5], off
	s_or_b32 s14, vcc_lo, s14
	s_and_not1_b32 exec_lo, exec_lo, s14
	s_cbranch_execz .LBB114_75
.LBB114_68:                             ; =>This Loop Header: Depth=1
                                        ;     Child Loop BB114_70 Depth 2
                                        ;     Child Loop BB114_74 Depth 2
	v_lshl_add_u32 v2, v0, 3, 0
	v_dual_mov_b32 v6, s8 :: v_dual_mov_b32 v7, s9
	s_and_not1_b32 vcc_lo, exec_lo, s12
	s_mov_b64 s[0:1], 0
	ds_load_2addr_stride64_b64 v[2:5], v2 offset1:4
	s_cbranch_vccnz .LBB114_72
; %bb.69:                               ;   in Loop: Header=BB114_68 Depth=1
	v_dual_mov_b32 v6, s8 :: v_dual_mov_b32 v7, s9
	s_mov_b64 s[10:11], 0
	s_mov_b32 s1, 0
.LBB114_70:                             ;   Parent Loop BB114_68 Depth=1
                                        ; =>  This Inner Loop Header: Depth=2
	s_delay_alu instid0(SALU_CYCLE_1)
	v_mov_b32_e32 v20, s1
	s_add_u32 s10, s10, 8
	s_addc_u32 s11, s11, 0
	s_add_i32 s1, s1, 64
	s_cmp_eq_u64 s[2:3], s[10:11]
	ds_load_2addr_b64 v[8:11], v20 offset1:1
	ds_load_2addr_b64 v[12:15], v20 offset0:2 offset1:3
	ds_load_2addr_b64 v[16:19], v20 offset0:4 offset1:5
	;; [unrolled: 1-line block ×3, first 2 shown]
	s_waitcnt lgkmcnt(3)
	v_cmp_gt_i64_e32 vcc_lo, v[2:3], v[8:9]
	v_cndmask_b32_e64 v8, 0, 1, vcc_lo
	v_cmp_gt_i64_e32 vcc_lo, v[2:3], v[10:11]
	v_cndmask_b32_e64 v9, 0, 1, vcc_lo
	s_waitcnt lgkmcnt(2)
	v_cmp_gt_i64_e32 vcc_lo, v[2:3], v[12:13]
	v_cndmask_b32_e64 v10, 0, 1, vcc_lo
	v_cmp_gt_i64_e32 vcc_lo, v[2:3], v[14:15]
	v_cndmask_b32_e64 v11, 0, 1, vcc_lo
	s_waitcnt lgkmcnt(1)
	v_cmp_gt_i64_e32 vcc_lo, v[2:3], v[16:17]
	v_cndmask_b32_e64 v12, 0, 1, vcc_lo
	v_add_co_u32 v6, vcc_lo, v6, v8
	v_add_co_ci_u32_e32 v7, vcc_lo, 0, v7, vcc_lo
	v_cmp_gt_i64_e32 vcc_lo, v[2:3], v[18:19]
	s_delay_alu instid0(VALU_DEP_3) | instskip(NEXT) | instid1(VALU_DEP_1)
	v_add_co_u32 v6, s0, v6, v9
	v_add_co_ci_u32_e64 v7, s0, 0, v7, s0
	v_cndmask_b32_e64 v8, 0, 1, vcc_lo
	s_delay_alu instid0(VALU_DEP_3) | instskip(NEXT) | instid1(VALU_DEP_3)
	v_add_co_u32 v6, vcc_lo, v6, v10
	v_add_co_ci_u32_e32 v7, vcc_lo, 0, v7, vcc_lo
	s_waitcnt lgkmcnt(0)
	v_cmp_gt_i64_e32 vcc_lo, v[2:3], v[20:21]
	s_delay_alu instid0(VALU_DEP_3) | instskip(NEXT) | instid1(VALU_DEP_1)
	v_add_co_u32 v6, s0, v6, v11
	v_add_co_ci_u32_e64 v7, s0, 0, v7, s0
	v_cndmask_b32_e64 v9, 0, 1, vcc_lo
	s_delay_alu instid0(VALU_DEP_3) | instskip(NEXT) | instid1(VALU_DEP_3)
	v_add_co_u32 v6, vcc_lo, v6, v12
	v_add_co_ci_u32_e32 v7, vcc_lo, 0, v7, vcc_lo
	v_cmp_gt_i64_e32 vcc_lo, v[2:3], v[22:23]
	s_delay_alu instid0(VALU_DEP_3) | instskip(NEXT) | instid1(VALU_DEP_1)
	v_add_co_u32 v6, s0, v6, v8
	v_add_co_ci_u32_e64 v7, s0, 0, v7, s0
	v_cndmask_b32_e64 v8, 0, 1, vcc_lo
	s_delay_alu instid0(VALU_DEP_3) | instskip(NEXT) | instid1(VALU_DEP_3)
	v_add_co_u32 v6, vcc_lo, v6, v9
	v_add_co_ci_u32_e32 v7, vcc_lo, 0, v7, vcc_lo
	s_delay_alu instid0(VALU_DEP_2) | instskip(NEXT) | instid1(VALU_DEP_2)
	v_add_co_u32 v6, vcc_lo, v6, v8
	v_add_co_ci_u32_e32 v7, vcc_lo, 0, v7, vcc_lo
	s_cbranch_scc0 .LBB114_70
; %bb.71:                               ;   in Loop: Header=BB114_68 Depth=1
	s_mov_b64 s[0:1], s[2:3]
.LBB114_72:                             ;   in Loop: Header=BB114_68 Depth=1
	s_and_not1_b32 vcc_lo, exec_lo, s13
	s_cbranch_vccnz .LBB114_67
; %bb.73:                               ;   in Loop: Header=BB114_68 Depth=1
	s_lshl_b32 s0, s0, 3
	s_delay_alu instid0(SALU_CYCLE_1)
	s_add_i32 s10, s0, 0
	s_mov_b64 s[0:1], s[6:7]
.LBB114_74:                             ;   Parent Loop BB114_68 Depth=1
                                        ; =>  This Inner Loop Header: Depth=2
	v_mov_b32_e32 v8, s10
	s_add_i32 s10, s10, 8
	s_add_u32 s0, s0, -1
	s_addc_u32 s1, s1, -1
	s_delay_alu instid0(SALU_CYCLE_1) | instskip(SKIP_4) | instid1(VALU_DEP_1)
	s_cmp_lg_u64 s[0:1], 0
	ds_load_b64 v[8:9], v8
	s_waitcnt lgkmcnt(0)
	v_cmp_gt_i64_e32 vcc_lo, v[2:3], v[8:9]
	v_cndmask_b32_e64 v8, 0, 1, vcc_lo
	v_add_co_u32 v6, vcc_lo, v6, v8
	v_add_co_ci_u32_e32 v7, vcc_lo, 0, v7, vcc_lo
	s_cbranch_scc1 .LBB114_74
	s_branch .LBB114_67
.LBB114_75:
	s_nop 0
	s_sendmsg sendmsg(MSG_DEALLOC_VGPRS)
	s_endpgm
	.section	.rodata,"a",@progbits
	.p2align	6, 0x0
	.amdhsa_kernel _ZN9rocsparseL26csrgemm_fill_block_per_rowILj128ELj16ELj256ELj137ELj32ElldEEvT5_PKS1_S3_NS_24const_host_device_scalarIT6_EEPKT4_S3_PKS5_S9_S3_SB_S6_S9_S3_SB_S9_PS1_PS5_21rocsparse_index_base_SE_SE_SE_bbb
		.amdhsa_group_segment_fixed_size 0
		.amdhsa_private_segment_fixed_size 0
		.amdhsa_kernarg_size 156
		.amdhsa_user_sgpr_count 15
		.amdhsa_user_sgpr_dispatch_ptr 0
		.amdhsa_user_sgpr_queue_ptr 0
		.amdhsa_user_sgpr_kernarg_segment_ptr 1
		.amdhsa_user_sgpr_dispatch_id 0
		.amdhsa_user_sgpr_private_segment_size 0
		.amdhsa_wavefront_size32 1
		.amdhsa_uses_dynamic_stack 0
		.amdhsa_enable_private_segment 0
		.amdhsa_system_sgpr_workgroup_id_x 1
		.amdhsa_system_sgpr_workgroup_id_y 0
		.amdhsa_system_sgpr_workgroup_id_z 0
		.amdhsa_system_sgpr_workgroup_info 0
		.amdhsa_system_vgpr_workitem_id 0
		.amdhsa_next_free_vgpr 27
		.amdhsa_next_free_sgpr 45
		.amdhsa_reserve_vcc 1
		.amdhsa_float_round_mode_32 0
		.amdhsa_float_round_mode_16_64 0
		.amdhsa_float_denorm_mode_32 3
		.amdhsa_float_denorm_mode_16_64 3
		.amdhsa_dx10_clamp 1
		.amdhsa_ieee_mode 1
		.amdhsa_fp16_overflow 0
		.amdhsa_workgroup_processor_mode 1
		.amdhsa_memory_ordered 1
		.amdhsa_forward_progress 0
		.amdhsa_shared_vgpr_count 0
		.amdhsa_exception_fp_ieee_invalid_op 0
		.amdhsa_exception_fp_denorm_src 0
		.amdhsa_exception_fp_ieee_div_zero 0
		.amdhsa_exception_fp_ieee_overflow 0
		.amdhsa_exception_fp_ieee_underflow 0
		.amdhsa_exception_fp_ieee_inexact 0
		.amdhsa_exception_int_div_zero 0
	.end_amdhsa_kernel
	.section	.text._ZN9rocsparseL26csrgemm_fill_block_per_rowILj128ELj16ELj256ELj137ELj32ElldEEvT5_PKS1_S3_NS_24const_host_device_scalarIT6_EEPKT4_S3_PKS5_S9_S3_SB_S6_S9_S3_SB_S9_PS1_PS5_21rocsparse_index_base_SE_SE_SE_bbb,"axG",@progbits,_ZN9rocsparseL26csrgemm_fill_block_per_rowILj128ELj16ELj256ELj137ELj32ElldEEvT5_PKS1_S3_NS_24const_host_device_scalarIT6_EEPKT4_S3_PKS5_S9_S3_SB_S6_S9_S3_SB_S9_PS1_PS5_21rocsparse_index_base_SE_SE_SE_bbb,comdat
.Lfunc_end114:
	.size	_ZN9rocsparseL26csrgemm_fill_block_per_rowILj128ELj16ELj256ELj137ELj32ElldEEvT5_PKS1_S3_NS_24const_host_device_scalarIT6_EEPKT4_S3_PKS5_S9_S3_SB_S6_S9_S3_SB_S9_PS1_PS5_21rocsparse_index_base_SE_SE_SE_bbb, .Lfunc_end114-_ZN9rocsparseL26csrgemm_fill_block_per_rowILj128ELj16ELj256ELj137ELj32ElldEEvT5_PKS1_S3_NS_24const_host_device_scalarIT6_EEPKT4_S3_PKS5_S9_S3_SB_S6_S9_S3_SB_S9_PS1_PS5_21rocsparse_index_base_SE_SE_SE_bbb
                                        ; -- End function
	.section	.AMDGPU.csdata,"",@progbits
; Kernel info:
; codeLenInByte = 3120
; NumSgprs: 47
; NumVgprs: 27
; ScratchSize: 0
; MemoryBound: 0
; FloatMode: 240
; IeeeMode: 1
; LDSByteSize: 0 bytes/workgroup (compile time only)
; SGPRBlocks: 5
; VGPRBlocks: 3
; NumSGPRsForWavesPerEU: 47
; NumVGPRsForWavesPerEU: 27
; Occupancy: 16
; WaveLimiterHint : 1
; COMPUTE_PGM_RSRC2:SCRATCH_EN: 0
; COMPUTE_PGM_RSRC2:USER_SGPR: 15
; COMPUTE_PGM_RSRC2:TRAP_HANDLER: 0
; COMPUTE_PGM_RSRC2:TGID_X_EN: 1
; COMPUTE_PGM_RSRC2:TGID_Y_EN: 0
; COMPUTE_PGM_RSRC2:TGID_Z_EN: 0
; COMPUTE_PGM_RSRC2:TIDIG_COMP_CNT: 0
	.section	.text._ZN9rocsparseL26csrgemm_fill_block_per_rowILj128ELj16ELj256ELj137ELj64ElldEEvT5_PKS1_S3_NS_24const_host_device_scalarIT6_EEPKT4_S3_PKS5_S9_S3_SB_S6_S9_S3_SB_S9_PS1_PS5_21rocsparse_index_base_SE_SE_SE_bbb,"axG",@progbits,_ZN9rocsparseL26csrgemm_fill_block_per_rowILj128ELj16ELj256ELj137ELj64ElldEEvT5_PKS1_S3_NS_24const_host_device_scalarIT6_EEPKT4_S3_PKS5_S9_S3_SB_S6_S9_S3_SB_S9_PS1_PS5_21rocsparse_index_base_SE_SE_SE_bbb,comdat
	.globl	_ZN9rocsparseL26csrgemm_fill_block_per_rowILj128ELj16ELj256ELj137ELj64ElldEEvT5_PKS1_S3_NS_24const_host_device_scalarIT6_EEPKT4_S3_PKS5_S9_S3_SB_S6_S9_S3_SB_S9_PS1_PS5_21rocsparse_index_base_SE_SE_SE_bbb ; -- Begin function _ZN9rocsparseL26csrgemm_fill_block_per_rowILj128ELj16ELj256ELj137ELj64ElldEEvT5_PKS1_S3_NS_24const_host_device_scalarIT6_EEPKT4_S3_PKS5_S9_S3_SB_S6_S9_S3_SB_S9_PS1_PS5_21rocsparse_index_base_SE_SE_SE_bbb
	.p2align	8
	.type	_ZN9rocsparseL26csrgemm_fill_block_per_rowILj128ELj16ELj256ELj137ELj64ElldEEvT5_PKS1_S3_NS_24const_host_device_scalarIT6_EEPKT4_S3_PKS5_S9_S3_SB_S6_S9_S3_SB_S9_PS1_PS5_21rocsparse_index_base_SE_SE_SE_bbb,@function
_ZN9rocsparseL26csrgemm_fill_block_per_rowILj128ELj16ELj256ELj137ELj64ElldEEvT5_PKS1_S3_NS_24const_host_device_scalarIT6_EEPKT4_S3_PKS5_S9_S3_SB_S6_S9_S3_SB_S9_PS1_PS5_21rocsparse_index_base_SE_SE_SE_bbb: ; @_ZN9rocsparseL26csrgemm_fill_block_per_rowILj128ELj16ELj256ELj137ELj64ElldEEvT5_PKS1_S3_NS_24const_host_device_scalarIT6_EEPKT4_S3_PKS5_S9_S3_SB_S6_S9_S3_SB_S9_PS1_PS5_21rocsparse_index_base_SE_SE_SE_bbb
; %bb.0:
	s_clause 0x2
	s_load_b32 s3, s[0:1], 0x98
	s_load_b64 s[6:7], s[0:1], 0x18
	s_load_b64 s[4:5], s[0:1], 0x50
	s_mov_b32 s2, s15
	s_waitcnt lgkmcnt(0)
	s_and_b32 s9, 1, s3
	s_bitcmp1_b32 s3, 16
	s_cselect_b32 s8, -1, 0
	s_cmp_eq_u32 s9, 1
	s_cselect_b32 s40, -1, 0
	s_delay_alu instid0(SALU_CYCLE_1)
	s_and_b32 s9, s40, exec_lo
	s_cselect_b32 s11, s7, 0
	s_cselect_b32 s10, s6, 0
	s_xor_b32 s9, s40, -1
	v_dual_mov_b32 v3, s10 :: v_dual_mov_b32 v4, s11
	s_or_b32 s9, s9, s8
	s_delay_alu instid0(SALU_CYCLE_1)
	s_and_b32 vcc_lo, exec_lo, s9
	s_cbranch_vccnz .LBB115_2
; %bb.1:
	v_dual_mov_b32 v1, s6 :: v_dual_mov_b32 v2, s7
	flat_load_b64 v[3:4], v[1:2]
.LBB115_2:
	s_load_b128 s[20:23], s[0:1], 0x88
	s_bitcmp1_b32 s3, 8
	s_cselect_b32 s33, -1, 0
	s_delay_alu instid0(SALU_CYCLE_1)
	s_and_b32 s3, s33, exec_lo
	s_cselect_b32 s7, s5, 0
	s_cselect_b32 s6, s4, 0
	s_xor_b32 s3, s33, -1
	v_dual_mov_b32 v1, s6 :: v_dual_mov_b32 v2, s7
	s_or_b32 s3, s3, s8
	s_delay_alu instid0(SALU_CYCLE_1)
	s_and_b32 vcc_lo, exec_lo, s3
	s_cbranch_vccnz .LBB115_4
; %bb.3:
	v_dual_mov_b32 v1, s4 :: v_dual_mov_b32 v2, s5
	flat_load_b64 v[1:2], v[1:2]
.LBB115_4:
	s_clause 0x5
	s_load_b128 s[24:27], s[0:1], 0x78
	s_load_b256 s[4:11], s[0:1], 0x58
	s_load_b128 s[36:39], s[0:1], 0x40
	s_load_b128 s[28:31], s[0:1], 0x0
	s_load_b64 s[34:35], s[0:1], 0x10
	s_load_b256 s[12:19], s[0:1], 0x20
	v_cmp_gt_u32_e64 s0, 0x100, v0
	v_or_b32_e32 v19, 0xffffff80, v0
	v_lshl_add_u32 v20, v0, 3, 0
	s_delay_alu instid0(VALU_DEP_3)
	s_and_saveexec_b32 s1, s0
	s_cbranch_execz .LBB115_7
; %bb.5:
	v_mov_b32_e32 v5, 0
	s_waitcnt lgkmcnt(0)
	v_mov_b32_e32 v7, s28
	v_or_b32_e32 v9, 0xffffff80, v0
	v_lshl_add_u32 v10, v0, 3, 0
	v_mov_b32_e32 v8, s29
	v_mov_b32_e32 v6, v5
	s_mov_b32 s3, 0
.LBB115_6:                              ; =>This Inner Loop Header: Depth=1
	v_add_co_u32 v9, s41, 0x80, v9
	s_delay_alu instid0(VALU_DEP_1) | instskip(SKIP_3) | instid1(SALU_CYCLE_1)
	s_xor_b32 s41, s41, -1
	ds_store_2addr_stride64_b64 v10, v[7:8], v[5:6] offset1:4
	v_add_nc_u32_e32 v10, 0x400, v10
	s_and_b32 s41, exec_lo, s41
	s_or_b32 s3, s41, s3
	s_delay_alu instid0(SALU_CYCLE_1)
	s_and_not1_b32 exec_lo, exec_lo, s3
	s_cbranch_execnz .LBB115_6
.LBB115_7:
	s_or_b32 exec_lo, exec_lo, s1
	s_waitcnt vmcnt(0) lgkmcnt(0)
	s_barrier
	buffer_gl0_inv
	s_load_b64 s[30:31], s[30:31], 0x0
	s_mov_b32 s3, 0
	s_waitcnt lgkmcnt(0)
	s_lshl_b64 s[30:31], s[30:31], 3
	s_delay_alu instid0(SALU_CYCLE_1) | instskip(SKIP_2) | instid1(SALU_CYCLE_1)
	s_add_u32 s1, s34, s30
	s_addc_u32 s30, s35, s31
	s_lshl_b64 s[2:3], s[2:3], 3
	s_add_u32 s2, s1, s2
	s_addc_u32 s3, s30, s3
	s_and_b32 vcc_lo, exec_lo, s40
	s_load_b64 s[30:31], s[2:3], 0x0
	s_cbranch_vccz .LBB115_31
; %bb.8:
	s_waitcnt lgkmcnt(0)
	s_lshl_b64 s[2:3], s[30:31], 3
	v_lshrrev_b32_e32 v5, 4, v0
	s_add_u32 s2, s12, s2
	s_addc_u32 s3, s13, s3
	s_load_b128 s[40:43], s[2:3], 0x0
	s_delay_alu instid0(VALU_DEP_1) | instskip(NEXT) | instid1(VALU_DEP_1)
	v_sub_co_u32 v5, s1, v5, s20
	v_sub_co_ci_u32_e64 v6, null, 0, 0, s1
	s_mov_b32 s1, exec_lo
	s_waitcnt lgkmcnt(0)
	s_delay_alu instid0(VALU_DEP_2) | instskip(NEXT) | instid1(VALU_DEP_2)
	v_add_co_u32 v5, vcc_lo, s40, v5
	v_add_co_ci_u32_e32 v6, vcc_lo, s41, v6, vcc_lo
	s_sub_u32 s2, s42, s20
	s_subb_u32 s3, s43, 0
	s_delay_alu instid0(VALU_DEP_1) | instid1(SALU_CYCLE_1)
	v_cmpx_gt_i64_e64 s[2:3], v[5:6]
	s_cbranch_execz .LBB115_30
; %bb.9:
	v_and_b32_e32 v7, 15, v0
	s_mov_b32 s13, s21
	s_delay_alu instid0(VALU_DEP_1) | instskip(NEXT) | instid1(VALU_DEP_1)
	v_sub_co_u32 v21, s12, v7, s21
	v_sub_co_ci_u32_e64 v22, null, 0, 0, s12
	s_mov_b32 s12, 0
	s_branch .LBB115_11
.LBB115_10:                             ;   in Loop: Header=BB115_11 Depth=1
	s_or_b32 exec_lo, exec_lo, s21
	v_add_co_u32 v5, vcc_lo, v5, 8
	v_add_co_ci_u32_e32 v6, vcc_lo, 0, v6, vcc_lo
	s_delay_alu instid0(VALU_DEP_1) | instskip(SKIP_1) | instid1(SALU_CYCLE_1)
	v_cmp_le_i64_e32 vcc_lo, s[2:3], v[5:6]
	s_or_b32 s12, vcc_lo, s12
	s_and_not1_b32 exec_lo, exec_lo, s12
	s_cbranch_execz .LBB115_30
.LBB115_11:                             ; =>This Loop Header: Depth=1
                                        ;     Child Loop BB115_14 Depth 2
                                        ;       Child Loop BB115_16 Depth 3
                                        ;         Child Loop BB115_22 Depth 4
                                        ;         Child Loop BB115_28 Depth 4
	v_lshlrev_b64 v[11:12], 3, v[5:6]
	s_mov_b32 s21, exec_lo
	s_delay_alu instid0(VALU_DEP_1) | instskip(NEXT) | instid1(VALU_DEP_2)
	v_add_co_u32 v7, vcc_lo, s14, v11
	v_add_co_ci_u32_e32 v8, vcc_lo, s15, v12, vcc_lo
	global_load_b64 v[7:8], v[7:8], off
	s_waitcnt vmcnt(0)
	v_sub_co_u32 v7, vcc_lo, v7, s20
	v_subrev_co_ci_u32_e32 v8, vcc_lo, 0, v8, vcc_lo
	s_delay_alu instid0(VALU_DEP_1) | instskip(NEXT) | instid1(VALU_DEP_1)
	v_lshlrev_b64 v[7:8], 3, v[7:8]
	v_add_co_u32 v7, vcc_lo, s18, v7
	s_delay_alu instid0(VALU_DEP_2)
	v_add_co_ci_u32_e32 v8, vcc_lo, s19, v8, vcc_lo
	global_load_b128 v[13:16], v[7:8], off
	s_waitcnt vmcnt(0)
	v_sub_co_u32 v7, vcc_lo, v15, s13
	v_subrev_co_ci_u32_e32 v8, vcc_lo, 0, v16, vcc_lo
	v_add_co_u32 v9, vcc_lo, v13, v21
	v_add_co_ci_u32_e32 v10, vcc_lo, v14, v22, vcc_lo
	s_delay_alu instid0(VALU_DEP_1)
	v_cmpx_lt_i64_e64 v[9:10], v[7:8]
	s_cbranch_execz .LBB115_10
; %bb.12:                               ;   in Loop: Header=BB115_11 Depth=1
	v_add_co_u32 v11, vcc_lo, s16, v11
	v_add_co_ci_u32_e32 v12, vcc_lo, s17, v12, vcc_lo
	s_mov_b32 s34, 0
	global_load_b64 v[11:12], v[11:12], off
	s_waitcnt vmcnt(0)
	v_mul_f64 v[11:12], v[3:4], v[11:12]
	s_branch .LBB115_14
.LBB115_13:                             ;   in Loop: Header=BB115_14 Depth=2
	s_or_b32 exec_lo, exec_lo, s35
	v_add_co_u32 v9, vcc_lo, v9, 16
	v_add_co_ci_u32_e32 v10, vcc_lo, 0, v10, vcc_lo
	s_delay_alu instid0(VALU_DEP_1) | instskip(SKIP_1) | instid1(SALU_CYCLE_1)
	v_cmp_ge_i64_e32 vcc_lo, v[9:10], v[7:8]
	s_or_b32 s34, vcc_lo, s34
	s_and_not1_b32 exec_lo, exec_lo, s34
	s_cbranch_execz .LBB115_10
.LBB115_14:                             ;   Parent Loop BB115_11 Depth=1
                                        ; =>  This Loop Header: Depth=2
                                        ;       Child Loop BB115_16 Depth 3
                                        ;         Child Loop BB115_22 Depth 4
                                        ;         Child Loop BB115_28 Depth 4
	v_lshlrev_b64 v[13:14], 3, v[9:10]
	s_mov_b32 s35, 0
	s_delay_alu instid0(VALU_DEP_1) | instskip(NEXT) | instid1(VALU_DEP_2)
	v_add_co_u32 v15, vcc_lo, s38, v13
	v_add_co_ci_u32_e32 v16, vcc_lo, s39, v14, vcc_lo
	v_add_co_u32 v13, vcc_lo, s36, v13
	v_add_co_ci_u32_e32 v14, vcc_lo, s37, v14, vcc_lo
	global_load_b64 v[15:16], v[15:16], off
	global_load_b64 v[17:18], v[13:14], off
	s_waitcnt vmcnt(1)
	v_mul_f64 v[13:14], v[11:12], v[15:16]
	s_waitcnt vmcnt(0)
	v_sub_co_u32 v15, vcc_lo, v17, s13
	v_subrev_co_ci_u32_e32 v16, vcc_lo, 0, v18, vcc_lo
	s_delay_alu instid0(VALU_DEP_2) | instskip(NEXT) | instid1(VALU_DEP_1)
	v_mul_lo_u32 v17, 0x89, v15
	v_and_b32_e32 v23, 0xff, v17
	s_branch .LBB115_16
.LBB115_15:                             ;   in Loop: Header=BB115_16 Depth=3
	s_or_b32 exec_lo, exec_lo, s40
	s_xor_b32 s40, s41, -1
	s_delay_alu instid0(SALU_CYCLE_1) | instskip(NEXT) | instid1(SALU_CYCLE_1)
	s_and_b32 s40, exec_lo, s40
	s_or_b32 s35, s40, s35
	s_delay_alu instid0(SALU_CYCLE_1)
	s_and_not1_b32 exec_lo, exec_lo, s35
	s_cbranch_execz .LBB115_13
.LBB115_16:                             ;   Parent Loop BB115_11 Depth=1
                                        ;     Parent Loop BB115_14 Depth=2
                                        ; =>    This Loop Header: Depth=3
                                        ;         Child Loop BB115_22 Depth 4
                                        ;         Child Loop BB115_28 Depth 4
	s_delay_alu instid0(VALU_DEP_1)
	v_lshl_add_u32 v24, v23, 3, 0
	s_mov_b32 s40, exec_lo
                                        ; implicit-def: $sgpr41
	ds_load_b64 v[17:18], v24
	s_waitcnt lgkmcnt(0)
	v_cmpx_ne_u64_e64 v[17:18], v[15:16]
	s_xor_b32 s40, exec_lo, s40
	s_cbranch_execz .LBB115_26
; %bb.17:                               ;   in Loop: Header=BB115_16 Depth=3
	s_mov_b32 s42, exec_lo
                                        ; implicit-def: $sgpr41
	v_cmpx_ne_u64_e64 s[28:29], v[17:18]
	s_xor_b32 s42, exec_lo, s42
; %bb.18:                               ;   in Loop: Header=BB115_16 Depth=3
	v_add_nc_u32_e32 v17, 1, v23
	s_mov_b32 s41, -1
                                        ; implicit-def: $vgpr24
	s_delay_alu instid0(VALU_DEP_1)
	v_and_b32_e32 v23, 0xff, v17
; %bb.19:                               ;   in Loop: Header=BB115_16 Depth=3
	s_and_not1_saveexec_b32 s42, s42
	s_cbranch_execz .LBB115_25
; %bb.20:                               ;   in Loop: Header=BB115_16 Depth=3
	v_dual_mov_b32 v17, s28 :: v_dual_mov_b32 v18, s29
	s_mov_b32 s44, -1
	s_mov_b32 s43, exec_lo
	ds_cmpstore_rtn_b64 v[17:18], v24, v[15:16], v[17:18]
	s_waitcnt lgkmcnt(0)
	v_cmpx_eq_u64_e64 s[28:29], v[17:18]
	s_cbranch_execz .LBB115_24
; %bb.21:                               ;   in Loop: Header=BB115_16 Depth=3
	ds_load_b64 v[17:18], v24 offset:2048
	s_mov_b32 s44, 0
.LBB115_22:                             ;   Parent Loop BB115_11 Depth=1
                                        ;     Parent Loop BB115_14 Depth=2
                                        ;       Parent Loop BB115_16 Depth=3
                                        ; =>      This Inner Loop Header: Depth=4
	s_waitcnt lgkmcnt(0)
	v_add_f64 v[25:26], v[17:18], v[13:14]
	ds_cmpstore_rtn_b64 v[25:26], v24, v[25:26], v[17:18] offset:2048
	s_waitcnt lgkmcnt(0)
	v_cmp_eq_u64_e32 vcc_lo, v[25:26], v[17:18]
	v_dual_mov_b32 v17, v25 :: v_dual_mov_b32 v18, v26
	s_or_b32 s44, vcc_lo, s44
	s_delay_alu instid0(SALU_CYCLE_1)
	s_and_not1_b32 exec_lo, exec_lo, s44
	s_cbranch_execnz .LBB115_22
; %bb.23:                               ;   in Loop: Header=BB115_16 Depth=3
	s_or_b32 exec_lo, exec_lo, s44
	s_delay_alu instid0(SALU_CYCLE_1)
	s_xor_b32 s44, exec_lo, -1
.LBB115_24:                             ;   in Loop: Header=BB115_16 Depth=3
	s_or_b32 exec_lo, exec_lo, s43
	s_delay_alu instid0(SALU_CYCLE_1) | instskip(SKIP_1) | instid1(SALU_CYCLE_1)
	s_and_not1_b32 s41, s41, exec_lo
	s_and_b32 s43, s44, exec_lo
	s_or_b32 s41, s41, s43
.LBB115_25:                             ;   in Loop: Header=BB115_16 Depth=3
	s_or_b32 exec_lo, exec_lo, s42
	s_delay_alu instid0(SALU_CYCLE_1)
	s_and_b32 s41, s41, exec_lo
                                        ; implicit-def: $vgpr24
.LBB115_26:                             ;   in Loop: Header=BB115_16 Depth=3
	s_and_not1_saveexec_b32 s40, s40
	s_cbranch_execz .LBB115_15
; %bb.27:                               ;   in Loop: Header=BB115_16 Depth=3
	ds_load_b64 v[17:18], v24 offset:2048
	s_mov_b32 s42, 0
.LBB115_28:                             ;   Parent Loop BB115_11 Depth=1
                                        ;     Parent Loop BB115_14 Depth=2
                                        ;       Parent Loop BB115_16 Depth=3
                                        ; =>      This Inner Loop Header: Depth=4
	s_waitcnt lgkmcnt(0)
	v_add_f64 v[25:26], v[17:18], v[13:14]
	ds_cmpstore_rtn_b64 v[25:26], v24, v[25:26], v[17:18] offset:2048
	s_waitcnt lgkmcnt(0)
	v_cmp_eq_u64_e32 vcc_lo, v[25:26], v[17:18]
	v_dual_mov_b32 v17, v25 :: v_dual_mov_b32 v18, v26
	s_or_b32 s42, vcc_lo, s42
	s_delay_alu instid0(SALU_CYCLE_1)
	s_and_not1_b32 exec_lo, exec_lo, s42
	s_cbranch_execnz .LBB115_28
; %bb.29:                               ;   in Loop: Header=BB115_16 Depth=3
	s_or_b32 exec_lo, exec_lo, s42
	s_delay_alu instid0(SALU_CYCLE_1)
	s_and_not1_b32 s41, s41, exec_lo
	s_branch .LBB115_15
.LBB115_30:
	s_or_b32 exec_lo, exec_lo, s1
.LBB115_31:
	s_delay_alu instid0(SALU_CYCLE_1)
	s_and_not1_b32 vcc_lo, exec_lo, s33
	s_cbranch_vccnz .LBB115_52
; %bb.32:
	s_waitcnt lgkmcnt(0)
	s_lshl_b64 s[2:3], s[30:31], 3
	v_sub_co_u32 v3, s1, v0, s23
	s_add_u32 s2, s4, s2
	s_addc_u32 s3, s5, s3
	v_sub_co_ci_u32_e64 v4, null, 0, 0, s1
	s_load_b128 s[12:15], s[2:3], 0x0
	s_mov_b32 s1, 0
	s_mov_b32 s4, exec_lo
	s_waitcnt lgkmcnt(0)
	v_add_co_u32 v3, vcc_lo, s12, v3
	v_add_co_ci_u32_e32 v4, vcc_lo, s13, v4, vcc_lo
	s_sub_u32 s2, s14, s23
	s_subb_u32 s3, s15, 0
	s_delay_alu instid0(VALU_DEP_1) | instid1(SALU_CYCLE_1)
	v_cmpx_gt_i64_e64 s[2:3], v[3:4]
	s_cbranch_execz .LBB115_51
; %bb.33:
	s_mov_b32 s5, s23
	s_branch .LBB115_35
.LBB115_34:                             ;   in Loop: Header=BB115_35 Depth=1
	s_or_b32 exec_lo, exec_lo, s12
	v_add_co_u32 v3, vcc_lo, 0x80, v3
	v_add_co_ci_u32_e32 v4, vcc_lo, 0, v4, vcc_lo
	s_delay_alu instid0(VALU_DEP_1) | instskip(SKIP_1) | instid1(SALU_CYCLE_1)
	v_cmp_le_i64_e32 vcc_lo, s[2:3], v[3:4]
	s_or_b32 s1, vcc_lo, s1
	s_and_not1_b32 exec_lo, exec_lo, s1
	s_cbranch_execz .LBB115_51
.LBB115_35:                             ; =>This Loop Header: Depth=1
                                        ;     Child Loop BB115_37 Depth 2
                                        ;       Child Loop BB115_43 Depth 3
                                        ;       Child Loop BB115_49 Depth 3
	v_lshlrev_b64 v[5:6], 3, v[3:4]
	s_mov_b32 s12, 0
	s_delay_alu instid0(VALU_DEP_1) | instskip(NEXT) | instid1(VALU_DEP_2)
	v_add_co_u32 v7, vcc_lo, s8, v5
	v_add_co_ci_u32_e32 v8, vcc_lo, s9, v6, vcc_lo
	v_add_co_u32 v5, vcc_lo, s6, v5
	v_add_co_ci_u32_e32 v6, vcc_lo, s7, v6, vcc_lo
	global_load_b64 v[7:8], v[7:8], off
	global_load_b64 v[9:10], v[5:6], off
	s_waitcnt vmcnt(1)
	v_mul_f64 v[5:6], v[1:2], v[7:8]
	s_waitcnt vmcnt(0)
	v_sub_co_u32 v7, vcc_lo, v9, s5
	v_subrev_co_ci_u32_e32 v8, vcc_lo, 0, v10, vcc_lo
	s_delay_alu instid0(VALU_DEP_2) | instskip(NEXT) | instid1(VALU_DEP_1)
	v_mul_lo_u32 v9, 0x89, v7
	v_and_b32_e32 v11, 0xff, v9
	s_branch .LBB115_37
.LBB115_36:                             ;   in Loop: Header=BB115_37 Depth=2
	s_or_b32 exec_lo, exec_lo, s13
	s_xor_b32 s13, s14, -1
	s_delay_alu instid0(SALU_CYCLE_1) | instskip(NEXT) | instid1(SALU_CYCLE_1)
	s_and_b32 s13, exec_lo, s13
	s_or_b32 s12, s13, s12
	s_delay_alu instid0(SALU_CYCLE_1)
	s_and_not1_b32 exec_lo, exec_lo, s12
	s_cbranch_execz .LBB115_34
.LBB115_37:                             ;   Parent Loop BB115_35 Depth=1
                                        ; =>  This Loop Header: Depth=2
                                        ;       Child Loop BB115_43 Depth 3
                                        ;       Child Loop BB115_49 Depth 3
	s_delay_alu instid0(VALU_DEP_1)
	v_lshl_add_u32 v12, v11, 3, 0
	s_mov_b32 s13, exec_lo
                                        ; implicit-def: $sgpr14
	ds_load_b64 v[9:10], v12
	s_waitcnt lgkmcnt(0)
	v_cmpx_ne_u64_e64 v[9:10], v[7:8]
	s_xor_b32 s13, exec_lo, s13
	s_cbranch_execz .LBB115_47
; %bb.38:                               ;   in Loop: Header=BB115_37 Depth=2
	s_mov_b32 s15, exec_lo
                                        ; implicit-def: $sgpr14
	v_cmpx_ne_u64_e64 s[28:29], v[9:10]
	s_xor_b32 s15, exec_lo, s15
; %bb.39:                               ;   in Loop: Header=BB115_37 Depth=2
	v_add_nc_u32_e32 v9, 1, v11
	s_mov_b32 s14, -1
                                        ; implicit-def: $vgpr12
	s_delay_alu instid0(VALU_DEP_1)
	v_and_b32_e32 v11, 0xff, v9
; %bb.40:                               ;   in Loop: Header=BB115_37 Depth=2
	s_and_not1_saveexec_b32 s15, s15
	s_cbranch_execz .LBB115_46
; %bb.41:                               ;   in Loop: Header=BB115_37 Depth=2
	v_dual_mov_b32 v9, s28 :: v_dual_mov_b32 v10, s29
	s_mov_b32 s17, -1
	s_mov_b32 s16, exec_lo
	ds_cmpstore_rtn_b64 v[9:10], v12, v[7:8], v[9:10]
	s_waitcnt lgkmcnt(0)
	v_cmpx_eq_u64_e64 s[28:29], v[9:10]
	s_cbranch_execz .LBB115_45
; %bb.42:                               ;   in Loop: Header=BB115_37 Depth=2
	ds_load_b64 v[9:10], v12 offset:2048
	s_mov_b32 s17, 0
.LBB115_43:                             ;   Parent Loop BB115_35 Depth=1
                                        ;     Parent Loop BB115_37 Depth=2
                                        ; =>    This Inner Loop Header: Depth=3
	s_waitcnt lgkmcnt(0)
	v_add_f64 v[13:14], v[9:10], v[5:6]
	ds_cmpstore_rtn_b64 v[13:14], v12, v[13:14], v[9:10] offset:2048
	s_waitcnt lgkmcnt(0)
	v_cmp_eq_u64_e32 vcc_lo, v[13:14], v[9:10]
	v_dual_mov_b32 v9, v13 :: v_dual_mov_b32 v10, v14
	s_or_b32 s17, vcc_lo, s17
	s_delay_alu instid0(SALU_CYCLE_1)
	s_and_not1_b32 exec_lo, exec_lo, s17
	s_cbranch_execnz .LBB115_43
; %bb.44:                               ;   in Loop: Header=BB115_37 Depth=2
	s_or_b32 exec_lo, exec_lo, s17
	s_delay_alu instid0(SALU_CYCLE_1)
	s_xor_b32 s17, exec_lo, -1
.LBB115_45:                             ;   in Loop: Header=BB115_37 Depth=2
	s_or_b32 exec_lo, exec_lo, s16
	s_delay_alu instid0(SALU_CYCLE_1) | instskip(SKIP_1) | instid1(SALU_CYCLE_1)
	s_and_not1_b32 s14, s14, exec_lo
	s_and_b32 s16, s17, exec_lo
	s_or_b32 s14, s14, s16
.LBB115_46:                             ;   in Loop: Header=BB115_37 Depth=2
	s_or_b32 exec_lo, exec_lo, s15
	s_delay_alu instid0(SALU_CYCLE_1)
	s_and_b32 s14, s14, exec_lo
                                        ; implicit-def: $vgpr12
.LBB115_47:                             ;   in Loop: Header=BB115_37 Depth=2
	s_and_not1_saveexec_b32 s13, s13
	s_cbranch_execz .LBB115_36
; %bb.48:                               ;   in Loop: Header=BB115_37 Depth=2
	ds_load_b64 v[9:10], v12 offset:2048
	s_mov_b32 s15, 0
.LBB115_49:                             ;   Parent Loop BB115_35 Depth=1
                                        ;     Parent Loop BB115_37 Depth=2
                                        ; =>    This Inner Loop Header: Depth=3
	s_waitcnt lgkmcnt(0)
	v_add_f64 v[13:14], v[9:10], v[5:6]
	ds_cmpstore_rtn_b64 v[13:14], v12, v[13:14], v[9:10] offset:2048
	s_waitcnt lgkmcnt(0)
	v_cmp_eq_u64_e32 vcc_lo, v[13:14], v[9:10]
	v_dual_mov_b32 v9, v13 :: v_dual_mov_b32 v10, v14
	s_or_b32 s15, vcc_lo, s15
	s_delay_alu instid0(SALU_CYCLE_1)
	s_and_not1_b32 exec_lo, exec_lo, s15
	s_cbranch_execnz .LBB115_49
; %bb.50:                               ;   in Loop: Header=BB115_37 Depth=2
	s_or_b32 exec_lo, exec_lo, s15
	s_delay_alu instid0(SALU_CYCLE_1)
	s_and_not1_b32 s14, s14, exec_lo
	s_branch .LBB115_36
.LBB115_51:
	s_or_b32 exec_lo, exec_lo, s4
.LBB115_52:
	s_waitcnt lgkmcnt(0)
	s_barrier
	buffer_gl0_inv
	s_and_saveexec_b32 s3, s0
	s_cbranch_execz .LBB115_61
; %bb.53:
	v_mbcnt_lo_u32_b32 v1, -1, 0
	v_lshrrev_b32_e32 v2, 3, v0
	v_cmp_lt_u32_e32 vcc_lo, 63, v0
	v_cmp_eq_u32_e64 s0, 0x7f, v0
	s_mov_b32 s4, 0
	v_xor_b32_e32 v1, 63, v1
	v_dual_mov_b32 v9, 0 :: v_dual_and_b32 v2, 8, v2
	s_delay_alu instid0(VALU_DEP_2) | instskip(SKIP_1) | instid1(VALU_DEP_3)
	v_lshrrev_b64 v[5:6], v1, -1
	v_mov_b32_e32 v6, 0
	v_dual_mov_b32 v7, 0 :: v_dual_add_nc_u32 v12, 0, v2
	s_branch .LBB115_55
.LBB115_54:                             ;   in Loop: Header=BB115_55 Depth=1
	s_or_b32 exec_lo, exec_lo, s1
	s_waitcnt lgkmcnt(0)
	s_barrier
	buffer_gl0_inv
	ds_load_b64 v[1:2], v9 offset:4104
	v_add_co_u32 v19, s1, 0x80, v19
	s_delay_alu instid0(VALU_DEP_1) | instskip(SKIP_3) | instid1(VALU_DEP_1)
	s_xor_b32 s2, s1, -1
	v_add_nc_u32_e32 v20, 0x400, v20
	s_waitcnt lgkmcnt(0)
	v_add_co_u32 v6, s1, v1, v6
	v_add_co_ci_u32_e64 v7, s1, v2, v7, s1
	s_and_b32 s1, exec_lo, s2
	s_delay_alu instid0(SALU_CYCLE_1) | instskip(NEXT) | instid1(SALU_CYCLE_1)
	s_or_b32 s4, s1, s4
	s_and_not1_b32 exec_lo, exec_lo, s4
	s_cbranch_execz .LBB115_61
.LBB115_55:                             ; =>This Inner Loop Header: Depth=1
	ds_load_2addr_stride64_b64 v[1:4], v20 offset1:4
	s_waitcnt lgkmcnt(0)
	s_barrier
	buffer_gl0_inv
	v_cmp_gt_i64_e64 s1, s[28:29], v[1:2]
	s_delay_alu instid0(VALU_DEP_1) | instskip(SKIP_1) | instid1(SALU_CYCLE_1)
	v_and_b32_e32 v10, s1, v5
	s_bcnt1_i32_b32 s2, s1
	v_mov_b32_e32 v8, s2
	s_delay_alu instid0(VALU_DEP_2)
	v_bcnt_u32_b32 v10, v10, 0
	ds_store_b64 v12, v[8:9] offset:4096
	s_waitcnt lgkmcnt(0)
	s_barrier
	buffer_gl0_inv
	s_and_saveexec_b32 s5, vcc_lo
	s_cbranch_execnz .LBB115_58
; %bb.56:                               ;   in Loop: Header=BB115_55 Depth=1
	s_or_b32 exec_lo, exec_lo, s5
	s_and_saveexec_b32 s2, s1
	s_cbranch_execnz .LBB115_59
.LBB115_57:                             ;   in Loop: Header=BB115_55 Depth=1
	s_or_b32 exec_lo, exec_lo, s2
	s_and_saveexec_b32 s1, s0
	s_cbranch_execz .LBB115_54
	s_branch .LBB115_60
.LBB115_58:                             ;   in Loop: Header=BB115_55 Depth=1
	ds_load_b64 v[13:14], v9 offset:4096
	s_waitcnt lgkmcnt(0)
	v_add_co_u32 v10, s2, v13, v10
	s_or_b32 exec_lo, exec_lo, s5
	s_and_saveexec_b32 s2, s1
	s_cbranch_execz .LBB115_57
.LBB115_59:                             ;   in Loop: Header=BB115_55 Depth=1
	s_delay_alu instid0(VALU_DEP_1) | instskip(NEXT) | instid1(VALU_DEP_1)
	v_add3_u32 v8, v6, -1, v10
	v_lshl_add_u32 v8, v8, 3, 0
	ds_store_2addr_stride64_b64 v8, v[1:2], v[3:4] offset1:4
	s_or_b32 exec_lo, exec_lo, s2
	s_and_saveexec_b32 s1, s0
	s_cbranch_execz .LBB115_54
.LBB115_60:                             ;   in Loop: Header=BB115_55 Depth=1
	v_ashrrev_i32_e32 v11, 31, v10
	ds_store_b64 v9, v[10:11] offset:4104
	s_branch .LBB115_54
.LBB115_61:
	s_or_b32 exec_lo, exec_lo, s3
	s_lshl_b64 s[0:1], s[30:31], 3
	v_mov_b32_e32 v1, 0
	s_add_u32 s0, s10, s0
	s_addc_u32 s1, s11, s1
	s_mov_b32 s6, exec_lo
	s_load_b128 s[0:3], s[0:1], 0x0
	s_waitcnt lgkmcnt(0)
	s_sub_u32 s4, s2, s0
	s_subb_u32 s5, s3, s1
	s_delay_alu instid0(SALU_CYCLE_1)
	v_cmpx_gt_i64_e64 s[4:5], v[0:1]
	s_cbranch_execz .LBB115_71
; %bb.62:
	s_sub_u32 s8, s0, s22
	s_subb_u32 s9, s1, 0
	s_and_b32 s6, s4, 7
	s_sub_u32 s0, s0, s2
	s_subb_u32 s1, s1, s3
	s_mov_b32 s7, 0
	v_cmp_lt_u64_e64 s12, s[0:1], -7
	s_and_b32 s2, s4, -8
	s_cmp_lg_u64 s[6:7], 0
	s_mov_b32 s3, s5
	s_cselect_b32 s13, -1, 0
	s_mov_b32 s14, s7
	s_branch .LBB115_64
.LBB115_63:                             ;   in Loop: Header=BB115_64 Depth=1
	s_waitcnt lgkmcnt(0)
	v_add_co_u32 v2, vcc_lo, v2, s22
	v_lshlrev_b64 v[6:7], 3, v[6:7]
	v_add_co_ci_u32_e32 v3, vcc_lo, 0, v3, vcc_lo
	v_add_co_u32 v0, vcc_lo, 0x80, v0
	v_add_co_ci_u32_e32 v1, vcc_lo, 0, v1, vcc_lo
	s_delay_alu instid0(VALU_DEP_4) | instskip(SKIP_1) | instid1(VALU_DEP_3)
	v_add_co_u32 v8, vcc_lo, s24, v6
	v_add_co_ci_u32_e32 v9, vcc_lo, s25, v7, vcc_lo
	v_cmp_le_i64_e32 vcc_lo, s[4:5], v[0:1]
	v_add_co_u32 v6, s0, s26, v6
	s_delay_alu instid0(VALU_DEP_1) | instskip(SKIP_3) | instid1(SALU_CYCLE_1)
	v_add_co_ci_u32_e64 v7, s0, s27, v7, s0
	global_store_b64 v[8:9], v[2:3], off
	global_store_b64 v[6:7], v[4:5], off
	s_or_b32 s14, vcc_lo, s14
	s_and_not1_b32 exec_lo, exec_lo, s14
	s_cbranch_execz .LBB115_71
.LBB115_64:                             ; =>This Loop Header: Depth=1
                                        ;     Child Loop BB115_66 Depth 2
                                        ;     Child Loop BB115_70 Depth 2
	v_lshl_add_u32 v2, v0, 3, 0
	v_dual_mov_b32 v6, s8 :: v_dual_mov_b32 v7, s9
	s_and_not1_b32 vcc_lo, exec_lo, s12
	s_mov_b64 s[0:1], 0
	ds_load_2addr_stride64_b64 v[2:5], v2 offset1:4
	s_cbranch_vccnz .LBB115_68
; %bb.65:                               ;   in Loop: Header=BB115_64 Depth=1
	v_dual_mov_b32 v6, s8 :: v_dual_mov_b32 v7, s9
	s_mov_b64 s[10:11], 0
	s_mov_b32 s1, 0
.LBB115_66:                             ;   Parent Loop BB115_64 Depth=1
                                        ; =>  This Inner Loop Header: Depth=2
	s_delay_alu instid0(SALU_CYCLE_1)
	v_mov_b32_e32 v20, s1
	s_add_u32 s10, s10, 8
	s_addc_u32 s11, s11, 0
	s_add_i32 s1, s1, 64
	s_cmp_eq_u64 s[2:3], s[10:11]
	ds_load_2addr_b64 v[8:11], v20 offset1:1
	ds_load_2addr_b64 v[12:15], v20 offset0:2 offset1:3
	ds_load_2addr_b64 v[16:19], v20 offset0:4 offset1:5
	;; [unrolled: 1-line block ×3, first 2 shown]
	s_waitcnt lgkmcnt(3)
	v_cmp_gt_i64_e32 vcc_lo, v[2:3], v[8:9]
	v_cndmask_b32_e64 v8, 0, 1, vcc_lo
	v_cmp_gt_i64_e32 vcc_lo, v[2:3], v[10:11]
	v_cndmask_b32_e64 v9, 0, 1, vcc_lo
	s_waitcnt lgkmcnt(2)
	v_cmp_gt_i64_e32 vcc_lo, v[2:3], v[12:13]
	v_cndmask_b32_e64 v10, 0, 1, vcc_lo
	v_cmp_gt_i64_e32 vcc_lo, v[2:3], v[14:15]
	v_cndmask_b32_e64 v11, 0, 1, vcc_lo
	s_waitcnt lgkmcnt(1)
	v_cmp_gt_i64_e32 vcc_lo, v[2:3], v[16:17]
	v_cndmask_b32_e64 v12, 0, 1, vcc_lo
	v_add_co_u32 v6, vcc_lo, v6, v8
	v_add_co_ci_u32_e32 v7, vcc_lo, 0, v7, vcc_lo
	v_cmp_gt_i64_e32 vcc_lo, v[2:3], v[18:19]
	s_delay_alu instid0(VALU_DEP_3) | instskip(NEXT) | instid1(VALU_DEP_1)
	v_add_co_u32 v6, s0, v6, v9
	v_add_co_ci_u32_e64 v7, s0, 0, v7, s0
	v_cndmask_b32_e64 v8, 0, 1, vcc_lo
	s_delay_alu instid0(VALU_DEP_3) | instskip(NEXT) | instid1(VALU_DEP_3)
	v_add_co_u32 v6, vcc_lo, v6, v10
	v_add_co_ci_u32_e32 v7, vcc_lo, 0, v7, vcc_lo
	s_waitcnt lgkmcnt(0)
	v_cmp_gt_i64_e32 vcc_lo, v[2:3], v[20:21]
	s_delay_alu instid0(VALU_DEP_3) | instskip(NEXT) | instid1(VALU_DEP_1)
	v_add_co_u32 v6, s0, v6, v11
	v_add_co_ci_u32_e64 v7, s0, 0, v7, s0
	v_cndmask_b32_e64 v9, 0, 1, vcc_lo
	s_delay_alu instid0(VALU_DEP_3) | instskip(NEXT) | instid1(VALU_DEP_3)
	v_add_co_u32 v6, vcc_lo, v6, v12
	v_add_co_ci_u32_e32 v7, vcc_lo, 0, v7, vcc_lo
	v_cmp_gt_i64_e32 vcc_lo, v[2:3], v[22:23]
	s_delay_alu instid0(VALU_DEP_3) | instskip(NEXT) | instid1(VALU_DEP_1)
	v_add_co_u32 v6, s0, v6, v8
	v_add_co_ci_u32_e64 v7, s0, 0, v7, s0
	v_cndmask_b32_e64 v8, 0, 1, vcc_lo
	s_delay_alu instid0(VALU_DEP_3) | instskip(NEXT) | instid1(VALU_DEP_3)
	v_add_co_u32 v6, vcc_lo, v6, v9
	v_add_co_ci_u32_e32 v7, vcc_lo, 0, v7, vcc_lo
	s_delay_alu instid0(VALU_DEP_2) | instskip(NEXT) | instid1(VALU_DEP_2)
	v_add_co_u32 v6, vcc_lo, v6, v8
	v_add_co_ci_u32_e32 v7, vcc_lo, 0, v7, vcc_lo
	s_cbranch_scc0 .LBB115_66
; %bb.67:                               ;   in Loop: Header=BB115_64 Depth=1
	s_mov_b64 s[0:1], s[2:3]
.LBB115_68:                             ;   in Loop: Header=BB115_64 Depth=1
	s_and_not1_b32 vcc_lo, exec_lo, s13
	s_cbranch_vccnz .LBB115_63
; %bb.69:                               ;   in Loop: Header=BB115_64 Depth=1
	s_lshl_b32 s0, s0, 3
	s_delay_alu instid0(SALU_CYCLE_1)
	s_add_i32 s10, s0, 0
	s_mov_b64 s[0:1], s[6:7]
.LBB115_70:                             ;   Parent Loop BB115_64 Depth=1
                                        ; =>  This Inner Loop Header: Depth=2
	v_mov_b32_e32 v8, s10
	s_add_i32 s10, s10, 8
	s_add_u32 s0, s0, -1
	s_addc_u32 s1, s1, -1
	s_delay_alu instid0(SALU_CYCLE_1) | instskip(SKIP_4) | instid1(VALU_DEP_1)
	s_cmp_lg_u64 s[0:1], 0
	ds_load_b64 v[8:9], v8
	s_waitcnt lgkmcnt(0)
	v_cmp_gt_i64_e32 vcc_lo, v[2:3], v[8:9]
	v_cndmask_b32_e64 v8, 0, 1, vcc_lo
	v_add_co_u32 v6, vcc_lo, v6, v8
	v_add_co_ci_u32_e32 v7, vcc_lo, 0, v7, vcc_lo
	s_cbranch_scc1 .LBB115_70
	s_branch .LBB115_63
.LBB115_71:
	s_nop 0
	s_sendmsg sendmsg(MSG_DEALLOC_VGPRS)
	s_endpgm
	.section	.rodata,"a",@progbits
	.p2align	6, 0x0
	.amdhsa_kernel _ZN9rocsparseL26csrgemm_fill_block_per_rowILj128ELj16ELj256ELj137ELj64ElldEEvT5_PKS1_S3_NS_24const_host_device_scalarIT6_EEPKT4_S3_PKS5_S9_S3_SB_S6_S9_S3_SB_S9_PS1_PS5_21rocsparse_index_base_SE_SE_SE_bbb
		.amdhsa_group_segment_fixed_size 0
		.amdhsa_private_segment_fixed_size 0
		.amdhsa_kernarg_size 156
		.amdhsa_user_sgpr_count 15
		.amdhsa_user_sgpr_dispatch_ptr 0
		.amdhsa_user_sgpr_queue_ptr 0
		.amdhsa_user_sgpr_kernarg_segment_ptr 1
		.amdhsa_user_sgpr_dispatch_id 0
		.amdhsa_user_sgpr_private_segment_size 0
		.amdhsa_wavefront_size32 1
		.amdhsa_uses_dynamic_stack 0
		.amdhsa_enable_private_segment 0
		.amdhsa_system_sgpr_workgroup_id_x 1
		.amdhsa_system_sgpr_workgroup_id_y 0
		.amdhsa_system_sgpr_workgroup_id_z 0
		.amdhsa_system_sgpr_workgroup_info 0
		.amdhsa_system_vgpr_workitem_id 0
		.amdhsa_next_free_vgpr 27
		.amdhsa_next_free_sgpr 45
		.amdhsa_reserve_vcc 1
		.amdhsa_float_round_mode_32 0
		.amdhsa_float_round_mode_16_64 0
		.amdhsa_float_denorm_mode_32 3
		.amdhsa_float_denorm_mode_16_64 3
		.amdhsa_dx10_clamp 1
		.amdhsa_ieee_mode 1
		.amdhsa_fp16_overflow 0
		.amdhsa_workgroup_processor_mode 1
		.amdhsa_memory_ordered 1
		.amdhsa_forward_progress 0
		.amdhsa_shared_vgpr_count 0
		.amdhsa_exception_fp_ieee_invalid_op 0
		.amdhsa_exception_fp_denorm_src 0
		.amdhsa_exception_fp_ieee_div_zero 0
		.amdhsa_exception_fp_ieee_overflow 0
		.amdhsa_exception_fp_ieee_underflow 0
		.amdhsa_exception_fp_ieee_inexact 0
		.amdhsa_exception_int_div_zero 0
	.end_amdhsa_kernel
	.section	.text._ZN9rocsparseL26csrgemm_fill_block_per_rowILj128ELj16ELj256ELj137ELj64ElldEEvT5_PKS1_S3_NS_24const_host_device_scalarIT6_EEPKT4_S3_PKS5_S9_S3_SB_S6_S9_S3_SB_S9_PS1_PS5_21rocsparse_index_base_SE_SE_SE_bbb,"axG",@progbits,_ZN9rocsparseL26csrgemm_fill_block_per_rowILj128ELj16ELj256ELj137ELj64ElldEEvT5_PKS1_S3_NS_24const_host_device_scalarIT6_EEPKT4_S3_PKS5_S9_S3_SB_S6_S9_S3_SB_S9_PS1_PS5_21rocsparse_index_base_SE_SE_SE_bbb,comdat
.Lfunc_end115:
	.size	_ZN9rocsparseL26csrgemm_fill_block_per_rowILj128ELj16ELj256ELj137ELj64ElldEEvT5_PKS1_S3_NS_24const_host_device_scalarIT6_EEPKT4_S3_PKS5_S9_S3_SB_S6_S9_S3_SB_S9_PS1_PS5_21rocsparse_index_base_SE_SE_SE_bbb, .Lfunc_end115-_ZN9rocsparseL26csrgemm_fill_block_per_rowILj128ELj16ELj256ELj137ELj64ElldEEvT5_PKS1_S3_NS_24const_host_device_scalarIT6_EEPKT4_S3_PKS5_S9_S3_SB_S6_S9_S3_SB_S9_PS1_PS5_21rocsparse_index_base_SE_SE_SE_bbb
                                        ; -- End function
	.section	.AMDGPU.csdata,"",@progbits
; Kernel info:
; codeLenInByte = 3020
; NumSgprs: 47
; NumVgprs: 27
; ScratchSize: 0
; MemoryBound: 0
; FloatMode: 240
; IeeeMode: 1
; LDSByteSize: 0 bytes/workgroup (compile time only)
; SGPRBlocks: 5
; VGPRBlocks: 3
; NumSGPRsForWavesPerEU: 47
; NumVGPRsForWavesPerEU: 27
; Occupancy: 16
; WaveLimiterHint : 1
; COMPUTE_PGM_RSRC2:SCRATCH_EN: 0
; COMPUTE_PGM_RSRC2:USER_SGPR: 15
; COMPUTE_PGM_RSRC2:TRAP_HANDLER: 0
; COMPUTE_PGM_RSRC2:TGID_X_EN: 1
; COMPUTE_PGM_RSRC2:TGID_Y_EN: 0
; COMPUTE_PGM_RSRC2:TGID_Z_EN: 0
; COMPUTE_PGM_RSRC2:TIDIG_COMP_CNT: 0
	.section	.text._ZN9rocsparseL26csrgemm_fill_block_per_rowILj256ELj32ELj512ELj137ELj32ElldEEvT5_PKS1_S3_NS_24const_host_device_scalarIT6_EEPKT4_S3_PKS5_S9_S3_SB_S6_S9_S3_SB_S9_PS1_PS5_21rocsparse_index_base_SE_SE_SE_bbb,"axG",@progbits,_ZN9rocsparseL26csrgemm_fill_block_per_rowILj256ELj32ELj512ELj137ELj32ElldEEvT5_PKS1_S3_NS_24const_host_device_scalarIT6_EEPKT4_S3_PKS5_S9_S3_SB_S6_S9_S3_SB_S9_PS1_PS5_21rocsparse_index_base_SE_SE_SE_bbb,comdat
	.globl	_ZN9rocsparseL26csrgemm_fill_block_per_rowILj256ELj32ELj512ELj137ELj32ElldEEvT5_PKS1_S3_NS_24const_host_device_scalarIT6_EEPKT4_S3_PKS5_S9_S3_SB_S6_S9_S3_SB_S9_PS1_PS5_21rocsparse_index_base_SE_SE_SE_bbb ; -- Begin function _ZN9rocsparseL26csrgemm_fill_block_per_rowILj256ELj32ELj512ELj137ELj32ElldEEvT5_PKS1_S3_NS_24const_host_device_scalarIT6_EEPKT4_S3_PKS5_S9_S3_SB_S6_S9_S3_SB_S9_PS1_PS5_21rocsparse_index_base_SE_SE_SE_bbb
	.p2align	8
	.type	_ZN9rocsparseL26csrgemm_fill_block_per_rowILj256ELj32ELj512ELj137ELj32ElldEEvT5_PKS1_S3_NS_24const_host_device_scalarIT6_EEPKT4_S3_PKS5_S9_S3_SB_S6_S9_S3_SB_S9_PS1_PS5_21rocsparse_index_base_SE_SE_SE_bbb,@function
_ZN9rocsparseL26csrgemm_fill_block_per_rowILj256ELj32ELj512ELj137ELj32ElldEEvT5_PKS1_S3_NS_24const_host_device_scalarIT6_EEPKT4_S3_PKS5_S9_S3_SB_S6_S9_S3_SB_S9_PS1_PS5_21rocsparse_index_base_SE_SE_SE_bbb: ; @_ZN9rocsparseL26csrgemm_fill_block_per_rowILj256ELj32ELj512ELj137ELj32ElldEEvT5_PKS1_S3_NS_24const_host_device_scalarIT6_EEPKT4_S3_PKS5_S9_S3_SB_S6_S9_S3_SB_S9_PS1_PS5_21rocsparse_index_base_SE_SE_SE_bbb
; %bb.0:
	s_clause 0x2
	s_load_b32 s3, s[0:1], 0x98
	s_load_b64 s[6:7], s[0:1], 0x18
	s_load_b64 s[4:5], s[0:1], 0x50
	s_mov_b32 s2, s15
	s_waitcnt lgkmcnt(0)
	s_and_b32 s9, 1, s3
	s_bitcmp1_b32 s3, 16
	s_cselect_b32 s8, -1, 0
	s_cmp_eq_u32 s9, 1
	s_cselect_b32 s40, -1, 0
	s_delay_alu instid0(SALU_CYCLE_1)
	s_and_b32 s9, s40, exec_lo
	s_cselect_b32 s11, s7, 0
	s_cselect_b32 s10, s6, 0
	s_xor_b32 s9, s40, -1
	v_dual_mov_b32 v3, s10 :: v_dual_mov_b32 v4, s11
	s_or_b32 s9, s9, s8
	s_delay_alu instid0(SALU_CYCLE_1)
	s_and_b32 vcc_lo, exec_lo, s9
	s_cbranch_vccnz .LBB116_2
; %bb.1:
	v_dual_mov_b32 v1, s6 :: v_dual_mov_b32 v2, s7
	flat_load_b64 v[3:4], v[1:2]
.LBB116_2:
	s_load_b128 s[20:23], s[0:1], 0x88
	s_bitcmp1_b32 s3, 8
	s_cselect_b32 s33, -1, 0
	s_delay_alu instid0(SALU_CYCLE_1)
	s_and_b32 s3, s33, exec_lo
	s_cselect_b32 s7, s5, 0
	s_cselect_b32 s6, s4, 0
	s_xor_b32 s3, s33, -1
	v_dual_mov_b32 v1, s6 :: v_dual_mov_b32 v2, s7
	s_or_b32 s3, s3, s8
	s_delay_alu instid0(SALU_CYCLE_1)
	s_and_b32 vcc_lo, exec_lo, s3
	s_cbranch_vccnz .LBB116_4
; %bb.3:
	v_dual_mov_b32 v1, s4 :: v_dual_mov_b32 v2, s5
	flat_load_b64 v[1:2], v[1:2]
.LBB116_4:
	s_clause 0x5
	s_load_b128 s[24:27], s[0:1], 0x78
	s_load_b256 s[4:11], s[0:1], 0x58
	s_load_b128 s[36:39], s[0:1], 0x40
	s_load_b128 s[28:31], s[0:1], 0x0
	s_load_b64 s[34:35], s[0:1], 0x10
	s_load_b256 s[12:19], s[0:1], 0x20
	v_cmp_gt_u32_e64 s0, 0x200, v0
	v_or_b32_e32 v19, 0xffffff00, v0
	v_lshl_add_u32 v20, v0, 3, 0
	s_delay_alu instid0(VALU_DEP_3)
	s_and_saveexec_b32 s1, s0
	s_cbranch_execz .LBB116_7
; %bb.5:
	v_mov_b32_e32 v5, 0
	s_waitcnt lgkmcnt(0)
	v_mov_b32_e32 v7, s28
	v_or_b32_e32 v9, 0xffffff00, v0
	v_lshl_add_u32 v10, v0, 3, 0
	v_mov_b32_e32 v8, s29
	v_mov_b32_e32 v6, v5
	s_mov_b32 s3, 0
.LBB116_6:                              ; =>This Inner Loop Header: Depth=1
	v_add_co_u32 v9, s41, 0x100, v9
	s_delay_alu instid0(VALU_DEP_1) | instskip(SKIP_3) | instid1(SALU_CYCLE_1)
	s_xor_b32 s41, s41, -1
	ds_store_2addr_stride64_b64 v10, v[7:8], v[5:6] offset1:8
	v_add_nc_u32_e32 v10, 0x800, v10
	s_and_b32 s41, exec_lo, s41
	s_or_b32 s3, s41, s3
	s_delay_alu instid0(SALU_CYCLE_1)
	s_and_not1_b32 exec_lo, exec_lo, s3
	s_cbranch_execnz .LBB116_6
.LBB116_7:
	s_or_b32 exec_lo, exec_lo, s1
	s_waitcnt vmcnt(0) lgkmcnt(0)
	s_barrier
	buffer_gl0_inv
	s_load_b64 s[30:31], s[30:31], 0x0
	s_mov_b32 s3, 0
	v_lshrrev_b32_e32 v21, 5, v0
	s_waitcnt lgkmcnt(0)
	s_lshl_b64 s[30:31], s[30:31], 3
	s_delay_alu instid0(SALU_CYCLE_1) | instskip(SKIP_2) | instid1(SALU_CYCLE_1)
	s_add_u32 s1, s34, s30
	s_addc_u32 s30, s35, s31
	s_lshl_b64 s[2:3], s[2:3], 3
	s_add_u32 s2, s1, s2
	s_addc_u32 s3, s30, s3
	s_and_b32 vcc_lo, exec_lo, s40
	s_load_b64 s[30:31], s[2:3], 0x0
	s_cbranch_vccz .LBB116_31
; %bb.8:
	s_waitcnt lgkmcnt(0)
	s_lshl_b64 s[2:3], s[30:31], 3
	v_sub_co_u32 v5, s1, v21, s20
	s_add_u32 s2, s12, s2
	s_addc_u32 s3, s13, s3
	v_sub_co_ci_u32_e64 v6, null, 0, 0, s1
	s_load_b128 s[40:43], s[2:3], 0x0
	s_mov_b32 s1, exec_lo
	s_waitcnt lgkmcnt(0)
	v_add_co_u32 v5, vcc_lo, s40, v5
	v_add_co_ci_u32_e32 v6, vcc_lo, s41, v6, vcc_lo
	s_sub_u32 s2, s42, s20
	s_subb_u32 s3, s43, 0
	s_delay_alu instid0(VALU_DEP_1) | instid1(SALU_CYCLE_1)
	v_cmpx_gt_i64_e64 s[2:3], v[5:6]
	s_cbranch_execz .LBB116_30
; %bb.9:
	v_and_b32_e32 v7, 31, v0
	s_mov_b32 s13, s21
	s_delay_alu instid0(VALU_DEP_1) | instskip(NEXT) | instid1(VALU_DEP_1)
	v_sub_co_u32 v22, s12, v7, s21
	v_sub_co_ci_u32_e64 v23, null, 0, 0, s12
	s_mov_b32 s12, 0
	s_branch .LBB116_11
.LBB116_10:                             ;   in Loop: Header=BB116_11 Depth=1
	s_or_b32 exec_lo, exec_lo, s21
	v_add_co_u32 v5, vcc_lo, v5, 8
	v_add_co_ci_u32_e32 v6, vcc_lo, 0, v6, vcc_lo
	s_delay_alu instid0(VALU_DEP_1) | instskip(SKIP_1) | instid1(SALU_CYCLE_1)
	v_cmp_le_i64_e32 vcc_lo, s[2:3], v[5:6]
	s_or_b32 s12, vcc_lo, s12
	s_and_not1_b32 exec_lo, exec_lo, s12
	s_cbranch_execz .LBB116_30
.LBB116_11:                             ; =>This Loop Header: Depth=1
                                        ;     Child Loop BB116_14 Depth 2
                                        ;       Child Loop BB116_16 Depth 3
                                        ;         Child Loop BB116_22 Depth 4
                                        ;         Child Loop BB116_28 Depth 4
	v_lshlrev_b64 v[11:12], 3, v[5:6]
	s_mov_b32 s21, exec_lo
	s_delay_alu instid0(VALU_DEP_1) | instskip(NEXT) | instid1(VALU_DEP_2)
	v_add_co_u32 v7, vcc_lo, s14, v11
	v_add_co_ci_u32_e32 v8, vcc_lo, s15, v12, vcc_lo
	global_load_b64 v[7:8], v[7:8], off
	s_waitcnt vmcnt(0)
	v_sub_co_u32 v7, vcc_lo, v7, s20
	v_subrev_co_ci_u32_e32 v8, vcc_lo, 0, v8, vcc_lo
	s_delay_alu instid0(VALU_DEP_1) | instskip(NEXT) | instid1(VALU_DEP_1)
	v_lshlrev_b64 v[7:8], 3, v[7:8]
	v_add_co_u32 v7, vcc_lo, s18, v7
	s_delay_alu instid0(VALU_DEP_2)
	v_add_co_ci_u32_e32 v8, vcc_lo, s19, v8, vcc_lo
	global_load_b128 v[13:16], v[7:8], off
	s_waitcnt vmcnt(0)
	v_sub_co_u32 v7, vcc_lo, v15, s13
	v_subrev_co_ci_u32_e32 v8, vcc_lo, 0, v16, vcc_lo
	v_add_co_u32 v9, vcc_lo, v13, v22
	v_add_co_ci_u32_e32 v10, vcc_lo, v14, v23, vcc_lo
	s_delay_alu instid0(VALU_DEP_1)
	v_cmpx_lt_i64_e64 v[9:10], v[7:8]
	s_cbranch_execz .LBB116_10
; %bb.12:                               ;   in Loop: Header=BB116_11 Depth=1
	v_add_co_u32 v11, vcc_lo, s16, v11
	v_add_co_ci_u32_e32 v12, vcc_lo, s17, v12, vcc_lo
	s_mov_b32 s34, 0
	global_load_b64 v[11:12], v[11:12], off
	s_waitcnt vmcnt(0)
	v_mul_f64 v[11:12], v[3:4], v[11:12]
	s_branch .LBB116_14
.LBB116_13:                             ;   in Loop: Header=BB116_14 Depth=2
	s_or_b32 exec_lo, exec_lo, s35
	v_add_co_u32 v9, vcc_lo, v9, 32
	v_add_co_ci_u32_e32 v10, vcc_lo, 0, v10, vcc_lo
	s_delay_alu instid0(VALU_DEP_1) | instskip(SKIP_1) | instid1(SALU_CYCLE_1)
	v_cmp_ge_i64_e32 vcc_lo, v[9:10], v[7:8]
	s_or_b32 s34, vcc_lo, s34
	s_and_not1_b32 exec_lo, exec_lo, s34
	s_cbranch_execz .LBB116_10
.LBB116_14:                             ;   Parent Loop BB116_11 Depth=1
                                        ; =>  This Loop Header: Depth=2
                                        ;       Child Loop BB116_16 Depth 3
                                        ;         Child Loop BB116_22 Depth 4
                                        ;         Child Loop BB116_28 Depth 4
	v_lshlrev_b64 v[13:14], 3, v[9:10]
	s_mov_b32 s35, 0
	s_delay_alu instid0(VALU_DEP_1) | instskip(NEXT) | instid1(VALU_DEP_2)
	v_add_co_u32 v15, vcc_lo, s38, v13
	v_add_co_ci_u32_e32 v16, vcc_lo, s39, v14, vcc_lo
	v_add_co_u32 v13, vcc_lo, s36, v13
	v_add_co_ci_u32_e32 v14, vcc_lo, s37, v14, vcc_lo
	global_load_b64 v[15:16], v[15:16], off
	global_load_b64 v[17:18], v[13:14], off
	s_waitcnt vmcnt(1)
	v_mul_f64 v[13:14], v[11:12], v[15:16]
	s_waitcnt vmcnt(0)
	v_sub_co_u32 v15, vcc_lo, v17, s13
	v_subrev_co_ci_u32_e32 v16, vcc_lo, 0, v18, vcc_lo
	s_delay_alu instid0(VALU_DEP_2) | instskip(NEXT) | instid1(VALU_DEP_1)
	v_mul_lo_u32 v17, 0x89, v15
	v_and_b32_e32 v24, 0x1ff, v17
	s_branch .LBB116_16
.LBB116_15:                             ;   in Loop: Header=BB116_16 Depth=3
	s_or_b32 exec_lo, exec_lo, s40
	s_xor_b32 s40, s41, -1
	s_delay_alu instid0(SALU_CYCLE_1) | instskip(NEXT) | instid1(SALU_CYCLE_1)
	s_and_b32 s40, exec_lo, s40
	s_or_b32 s35, s40, s35
	s_delay_alu instid0(SALU_CYCLE_1)
	s_and_not1_b32 exec_lo, exec_lo, s35
	s_cbranch_execz .LBB116_13
.LBB116_16:                             ;   Parent Loop BB116_11 Depth=1
                                        ;     Parent Loop BB116_14 Depth=2
                                        ; =>    This Loop Header: Depth=3
                                        ;         Child Loop BB116_22 Depth 4
                                        ;         Child Loop BB116_28 Depth 4
	s_delay_alu instid0(VALU_DEP_1)
	v_lshl_add_u32 v25, v24, 3, 0
	s_mov_b32 s40, exec_lo
                                        ; implicit-def: $sgpr41
	ds_load_b64 v[17:18], v25
	s_waitcnt lgkmcnt(0)
	v_cmpx_ne_u64_e64 v[17:18], v[15:16]
	s_xor_b32 s40, exec_lo, s40
	s_cbranch_execz .LBB116_26
; %bb.17:                               ;   in Loop: Header=BB116_16 Depth=3
	s_mov_b32 s42, exec_lo
                                        ; implicit-def: $sgpr41
	v_cmpx_ne_u64_e64 s[28:29], v[17:18]
	s_xor_b32 s42, exec_lo, s42
; %bb.18:                               ;   in Loop: Header=BB116_16 Depth=3
	v_add_nc_u32_e32 v17, 1, v24
	s_mov_b32 s41, -1
                                        ; implicit-def: $vgpr25
	s_delay_alu instid0(VALU_DEP_1)
	v_and_b32_e32 v24, 0x1ff, v17
; %bb.19:                               ;   in Loop: Header=BB116_16 Depth=3
	s_and_not1_saveexec_b32 s42, s42
	s_cbranch_execz .LBB116_25
; %bb.20:                               ;   in Loop: Header=BB116_16 Depth=3
	v_dual_mov_b32 v17, s28 :: v_dual_mov_b32 v18, s29
	s_mov_b32 s44, -1
	s_mov_b32 s43, exec_lo
	ds_cmpstore_rtn_b64 v[17:18], v25, v[15:16], v[17:18]
	s_waitcnt lgkmcnt(0)
	v_cmpx_eq_u64_e64 s[28:29], v[17:18]
	s_cbranch_execz .LBB116_24
; %bb.21:                               ;   in Loop: Header=BB116_16 Depth=3
	ds_load_b64 v[17:18], v25 offset:4096
	s_mov_b32 s44, 0
.LBB116_22:                             ;   Parent Loop BB116_11 Depth=1
                                        ;     Parent Loop BB116_14 Depth=2
                                        ;       Parent Loop BB116_16 Depth=3
                                        ; =>      This Inner Loop Header: Depth=4
	s_waitcnt lgkmcnt(0)
	v_add_f64 v[26:27], v[17:18], v[13:14]
	ds_cmpstore_rtn_b64 v[26:27], v25, v[26:27], v[17:18] offset:4096
	s_waitcnt lgkmcnt(0)
	v_cmp_eq_u64_e32 vcc_lo, v[26:27], v[17:18]
	v_dual_mov_b32 v17, v26 :: v_dual_mov_b32 v18, v27
	s_or_b32 s44, vcc_lo, s44
	s_delay_alu instid0(SALU_CYCLE_1)
	s_and_not1_b32 exec_lo, exec_lo, s44
	s_cbranch_execnz .LBB116_22
; %bb.23:                               ;   in Loop: Header=BB116_16 Depth=3
	s_or_b32 exec_lo, exec_lo, s44
	s_delay_alu instid0(SALU_CYCLE_1)
	s_xor_b32 s44, exec_lo, -1
.LBB116_24:                             ;   in Loop: Header=BB116_16 Depth=3
	s_or_b32 exec_lo, exec_lo, s43
	s_delay_alu instid0(SALU_CYCLE_1) | instskip(SKIP_1) | instid1(SALU_CYCLE_1)
	s_and_not1_b32 s41, s41, exec_lo
	s_and_b32 s43, s44, exec_lo
	s_or_b32 s41, s41, s43
.LBB116_25:                             ;   in Loop: Header=BB116_16 Depth=3
	s_or_b32 exec_lo, exec_lo, s42
	s_delay_alu instid0(SALU_CYCLE_1)
	s_and_b32 s41, s41, exec_lo
                                        ; implicit-def: $vgpr25
.LBB116_26:                             ;   in Loop: Header=BB116_16 Depth=3
	s_and_not1_saveexec_b32 s40, s40
	s_cbranch_execz .LBB116_15
; %bb.27:                               ;   in Loop: Header=BB116_16 Depth=3
	ds_load_b64 v[17:18], v25 offset:4096
	s_mov_b32 s42, 0
.LBB116_28:                             ;   Parent Loop BB116_11 Depth=1
                                        ;     Parent Loop BB116_14 Depth=2
                                        ;       Parent Loop BB116_16 Depth=3
                                        ; =>      This Inner Loop Header: Depth=4
	s_waitcnt lgkmcnt(0)
	v_add_f64 v[26:27], v[17:18], v[13:14]
	ds_cmpstore_rtn_b64 v[26:27], v25, v[26:27], v[17:18] offset:4096
	s_waitcnt lgkmcnt(0)
	v_cmp_eq_u64_e32 vcc_lo, v[26:27], v[17:18]
	v_dual_mov_b32 v17, v26 :: v_dual_mov_b32 v18, v27
	s_or_b32 s42, vcc_lo, s42
	s_delay_alu instid0(SALU_CYCLE_1)
	s_and_not1_b32 exec_lo, exec_lo, s42
	s_cbranch_execnz .LBB116_28
; %bb.29:                               ;   in Loop: Header=BB116_16 Depth=3
	s_or_b32 exec_lo, exec_lo, s42
	s_delay_alu instid0(SALU_CYCLE_1)
	s_and_not1_b32 s41, s41, exec_lo
	s_branch .LBB116_15
.LBB116_30:
	s_or_b32 exec_lo, exec_lo, s1
.LBB116_31:
	s_delay_alu instid0(SALU_CYCLE_1)
	s_and_not1_b32 vcc_lo, exec_lo, s33
	s_cbranch_vccnz .LBB116_52
; %bb.32:
	s_waitcnt lgkmcnt(0)
	s_lshl_b64 s[2:3], s[30:31], 3
	v_sub_co_u32 v3, s1, v0, s23
	s_add_u32 s2, s4, s2
	s_addc_u32 s3, s5, s3
	v_sub_co_ci_u32_e64 v4, null, 0, 0, s1
	s_load_b128 s[12:15], s[2:3], 0x0
	s_mov_b32 s1, 0
	s_mov_b32 s4, exec_lo
	s_waitcnt lgkmcnt(0)
	v_add_co_u32 v3, vcc_lo, s12, v3
	v_add_co_ci_u32_e32 v4, vcc_lo, s13, v4, vcc_lo
	s_sub_u32 s2, s14, s23
	s_subb_u32 s3, s15, 0
	s_delay_alu instid0(VALU_DEP_1) | instid1(SALU_CYCLE_1)
	v_cmpx_gt_i64_e64 s[2:3], v[3:4]
	s_cbranch_execz .LBB116_51
; %bb.33:
	s_mov_b32 s5, s23
	s_branch .LBB116_35
.LBB116_34:                             ;   in Loop: Header=BB116_35 Depth=1
	s_or_b32 exec_lo, exec_lo, s12
	v_add_co_u32 v3, vcc_lo, 0x100, v3
	v_add_co_ci_u32_e32 v4, vcc_lo, 0, v4, vcc_lo
	s_delay_alu instid0(VALU_DEP_1) | instskip(SKIP_1) | instid1(SALU_CYCLE_1)
	v_cmp_le_i64_e32 vcc_lo, s[2:3], v[3:4]
	s_or_b32 s1, vcc_lo, s1
	s_and_not1_b32 exec_lo, exec_lo, s1
	s_cbranch_execz .LBB116_51
.LBB116_35:                             ; =>This Loop Header: Depth=1
                                        ;     Child Loop BB116_37 Depth 2
                                        ;       Child Loop BB116_43 Depth 3
                                        ;       Child Loop BB116_49 Depth 3
	v_lshlrev_b64 v[5:6], 3, v[3:4]
	s_mov_b32 s12, 0
	s_delay_alu instid0(VALU_DEP_1) | instskip(NEXT) | instid1(VALU_DEP_2)
	v_add_co_u32 v7, vcc_lo, s8, v5
	v_add_co_ci_u32_e32 v8, vcc_lo, s9, v6, vcc_lo
	v_add_co_u32 v5, vcc_lo, s6, v5
	v_add_co_ci_u32_e32 v6, vcc_lo, s7, v6, vcc_lo
	global_load_b64 v[7:8], v[7:8], off
	global_load_b64 v[9:10], v[5:6], off
	s_waitcnt vmcnt(1)
	v_mul_f64 v[5:6], v[1:2], v[7:8]
	s_waitcnt vmcnt(0)
	v_sub_co_u32 v7, vcc_lo, v9, s5
	v_subrev_co_ci_u32_e32 v8, vcc_lo, 0, v10, vcc_lo
	s_delay_alu instid0(VALU_DEP_2) | instskip(NEXT) | instid1(VALU_DEP_1)
	v_mul_lo_u32 v9, 0x89, v7
	v_and_b32_e32 v11, 0x1ff, v9
	s_branch .LBB116_37
.LBB116_36:                             ;   in Loop: Header=BB116_37 Depth=2
	s_or_b32 exec_lo, exec_lo, s13
	s_xor_b32 s13, s14, -1
	s_delay_alu instid0(SALU_CYCLE_1) | instskip(NEXT) | instid1(SALU_CYCLE_1)
	s_and_b32 s13, exec_lo, s13
	s_or_b32 s12, s13, s12
	s_delay_alu instid0(SALU_CYCLE_1)
	s_and_not1_b32 exec_lo, exec_lo, s12
	s_cbranch_execz .LBB116_34
.LBB116_37:                             ;   Parent Loop BB116_35 Depth=1
                                        ; =>  This Loop Header: Depth=2
                                        ;       Child Loop BB116_43 Depth 3
                                        ;       Child Loop BB116_49 Depth 3
	s_delay_alu instid0(VALU_DEP_1)
	v_lshl_add_u32 v12, v11, 3, 0
	s_mov_b32 s13, exec_lo
                                        ; implicit-def: $sgpr14
	ds_load_b64 v[9:10], v12
	s_waitcnt lgkmcnt(0)
	v_cmpx_ne_u64_e64 v[9:10], v[7:8]
	s_xor_b32 s13, exec_lo, s13
	s_cbranch_execz .LBB116_47
; %bb.38:                               ;   in Loop: Header=BB116_37 Depth=2
	s_mov_b32 s15, exec_lo
                                        ; implicit-def: $sgpr14
	v_cmpx_ne_u64_e64 s[28:29], v[9:10]
	s_xor_b32 s15, exec_lo, s15
; %bb.39:                               ;   in Loop: Header=BB116_37 Depth=2
	v_add_nc_u32_e32 v9, 1, v11
	s_mov_b32 s14, -1
                                        ; implicit-def: $vgpr12
	s_delay_alu instid0(VALU_DEP_1)
	v_and_b32_e32 v11, 0x1ff, v9
; %bb.40:                               ;   in Loop: Header=BB116_37 Depth=2
	s_and_not1_saveexec_b32 s15, s15
	s_cbranch_execz .LBB116_46
; %bb.41:                               ;   in Loop: Header=BB116_37 Depth=2
	v_dual_mov_b32 v9, s28 :: v_dual_mov_b32 v10, s29
	s_mov_b32 s17, -1
	s_mov_b32 s16, exec_lo
	ds_cmpstore_rtn_b64 v[9:10], v12, v[7:8], v[9:10]
	s_waitcnt lgkmcnt(0)
	v_cmpx_eq_u64_e64 s[28:29], v[9:10]
	s_cbranch_execz .LBB116_45
; %bb.42:                               ;   in Loop: Header=BB116_37 Depth=2
	ds_load_b64 v[9:10], v12 offset:4096
	s_mov_b32 s17, 0
.LBB116_43:                             ;   Parent Loop BB116_35 Depth=1
                                        ;     Parent Loop BB116_37 Depth=2
                                        ; =>    This Inner Loop Header: Depth=3
	s_waitcnt lgkmcnt(0)
	v_add_f64 v[13:14], v[9:10], v[5:6]
	ds_cmpstore_rtn_b64 v[13:14], v12, v[13:14], v[9:10] offset:4096
	s_waitcnt lgkmcnt(0)
	v_cmp_eq_u64_e32 vcc_lo, v[13:14], v[9:10]
	v_dual_mov_b32 v9, v13 :: v_dual_mov_b32 v10, v14
	s_or_b32 s17, vcc_lo, s17
	s_delay_alu instid0(SALU_CYCLE_1)
	s_and_not1_b32 exec_lo, exec_lo, s17
	s_cbranch_execnz .LBB116_43
; %bb.44:                               ;   in Loop: Header=BB116_37 Depth=2
	s_or_b32 exec_lo, exec_lo, s17
	s_delay_alu instid0(SALU_CYCLE_1)
	s_xor_b32 s17, exec_lo, -1
.LBB116_45:                             ;   in Loop: Header=BB116_37 Depth=2
	s_or_b32 exec_lo, exec_lo, s16
	s_delay_alu instid0(SALU_CYCLE_1) | instskip(SKIP_1) | instid1(SALU_CYCLE_1)
	s_and_not1_b32 s14, s14, exec_lo
	s_and_b32 s16, s17, exec_lo
	s_or_b32 s14, s14, s16
.LBB116_46:                             ;   in Loop: Header=BB116_37 Depth=2
	s_or_b32 exec_lo, exec_lo, s15
	s_delay_alu instid0(SALU_CYCLE_1)
	s_and_b32 s14, s14, exec_lo
                                        ; implicit-def: $vgpr12
.LBB116_47:                             ;   in Loop: Header=BB116_37 Depth=2
	s_and_not1_saveexec_b32 s13, s13
	s_cbranch_execz .LBB116_36
; %bb.48:                               ;   in Loop: Header=BB116_37 Depth=2
	ds_load_b64 v[9:10], v12 offset:4096
	s_mov_b32 s15, 0
.LBB116_49:                             ;   Parent Loop BB116_35 Depth=1
                                        ;     Parent Loop BB116_37 Depth=2
                                        ; =>    This Inner Loop Header: Depth=3
	s_waitcnt lgkmcnt(0)
	v_add_f64 v[13:14], v[9:10], v[5:6]
	ds_cmpstore_rtn_b64 v[13:14], v12, v[13:14], v[9:10] offset:4096
	s_waitcnt lgkmcnt(0)
	v_cmp_eq_u64_e32 vcc_lo, v[13:14], v[9:10]
	v_dual_mov_b32 v9, v13 :: v_dual_mov_b32 v10, v14
	s_or_b32 s15, vcc_lo, s15
	s_delay_alu instid0(SALU_CYCLE_1)
	s_and_not1_b32 exec_lo, exec_lo, s15
	s_cbranch_execnz .LBB116_49
; %bb.50:                               ;   in Loop: Header=BB116_37 Depth=2
	s_or_b32 exec_lo, exec_lo, s15
	s_delay_alu instid0(SALU_CYCLE_1)
	s_and_not1_b32 s14, s14, exec_lo
	s_branch .LBB116_36
.LBB116_51:
	s_or_b32 exec_lo, exec_lo, s4
.LBB116_52:
	s_waitcnt lgkmcnt(0)
	s_barrier
	buffer_gl0_inv
	s_and_saveexec_b32 s8, s0
	s_cbranch_execz .LBB116_73
; %bb.53:
	v_mbcnt_lo_u32_b32 v1, -1, 0
	v_lshl_add_u32 v12, v21, 3, 0
	v_cmp_eq_u32_e32 vcc_lo, 0xff, v0
	v_cmp_lt_u32_e64 s0, 31, v0
	v_cmp_lt_u32_e64 s1, 63, v0
	v_xor_b32_e32 v1, 63, v1
	v_cmp_lt_u32_e64 s2, 0x5f, v0
	v_cmp_lt_u32_e64 s3, 0x7f, v0
	v_cmp_lt_u32_e64 s4, 0x9f, v0
	v_cmp_lt_u32_e64 s5, 0xbf, v0
	v_lshrrev_b64 v[5:6], v1, -1
	v_dual_mov_b32 v6, 0 :: v_dual_mov_b32 v9, 0
	v_cmp_lt_u32_e64 s6, 0xdf, v0
	v_mov_b32_e32 v7, 0
	s_mov_b32 s9, 0
	s_branch .LBB116_55
.LBB116_54:                             ;   in Loop: Header=BB116_55 Depth=1
	s_or_b32 exec_lo, exec_lo, s7
	s_waitcnt lgkmcnt(0)
	s_barrier
	buffer_gl0_inv
	ds_load_b64 v[1:2], v9 offset:8248
	v_add_co_u32 v19, s7, 0x100, v19
	s_delay_alu instid0(VALU_DEP_1) | instskip(SKIP_3) | instid1(VALU_DEP_1)
	s_xor_b32 s12, s7, -1
	v_add_nc_u32_e32 v20, 0x800, v20
	s_waitcnt lgkmcnt(0)
	v_add_co_u32 v6, s7, v1, v6
	v_add_co_ci_u32_e64 v7, s7, v2, v7, s7
	s_and_b32 s7, exec_lo, s12
	s_delay_alu instid0(SALU_CYCLE_1) | instskip(NEXT) | instid1(SALU_CYCLE_1)
	s_or_b32 s9, s7, s9
	s_and_not1_b32 exec_lo, exec_lo, s9
	s_cbranch_execz .LBB116_73
.LBB116_55:                             ; =>This Inner Loop Header: Depth=1
	ds_load_2addr_stride64_b64 v[1:4], v20 offset1:8
	s_waitcnt lgkmcnt(0)
	s_barrier
	buffer_gl0_inv
	v_cmp_gt_i64_e64 s7, s[28:29], v[1:2]
	s_delay_alu instid0(VALU_DEP_1) | instskip(SKIP_1) | instid1(SALU_CYCLE_1)
	v_and_b32_e32 v10, s7, v5
	s_bcnt1_i32_b32 s12, s7
	v_mov_b32_e32 v8, s12
	s_delay_alu instid0(VALU_DEP_2)
	v_bcnt_u32_b32 v10, v10, 0
	ds_store_b64 v12, v[8:9] offset:8192
	s_waitcnt lgkmcnt(0)
	s_barrier
	buffer_gl0_inv
	s_and_saveexec_b32 s12, s0
	s_cbranch_execnz .LBB116_64
; %bb.56:                               ;   in Loop: Header=BB116_55 Depth=1
	s_or_b32 exec_lo, exec_lo, s12
	s_and_saveexec_b32 s12, s1
	s_cbranch_execnz .LBB116_65
.LBB116_57:                             ;   in Loop: Header=BB116_55 Depth=1
	s_or_b32 exec_lo, exec_lo, s12
	s_and_saveexec_b32 s12, s2
	s_cbranch_execnz .LBB116_66
.LBB116_58:                             ;   in Loop: Header=BB116_55 Depth=1
	s_or_b32 exec_lo, exec_lo, s12
	s_and_saveexec_b32 s12, s3
	s_cbranch_execnz .LBB116_67
.LBB116_59:                             ;   in Loop: Header=BB116_55 Depth=1
	s_or_b32 exec_lo, exec_lo, s12
	s_and_saveexec_b32 s12, s4
	s_cbranch_execnz .LBB116_68
.LBB116_60:                             ;   in Loop: Header=BB116_55 Depth=1
	s_or_b32 exec_lo, exec_lo, s12
	s_and_saveexec_b32 s12, s5
	s_cbranch_execnz .LBB116_69
.LBB116_61:                             ;   in Loop: Header=BB116_55 Depth=1
	s_or_b32 exec_lo, exec_lo, s12
	s_and_saveexec_b32 s12, s6
	s_cbranch_execnz .LBB116_70
.LBB116_62:                             ;   in Loop: Header=BB116_55 Depth=1
	s_or_b32 exec_lo, exec_lo, s12
	v_ashrrev_i32_e32 v11, 31, v10
	s_and_saveexec_b32 s12, s7
	s_cbranch_execnz .LBB116_71
.LBB116_63:                             ;   in Loop: Header=BB116_55 Depth=1
	s_or_b32 exec_lo, exec_lo, s12
	s_and_saveexec_b32 s7, vcc_lo
	s_cbranch_execz .LBB116_54
	s_branch .LBB116_72
.LBB116_64:                             ;   in Loop: Header=BB116_55 Depth=1
	ds_load_b32 v8, v9 offset:8192
	s_waitcnt lgkmcnt(0)
	v_add_nc_u32_e32 v10, v8, v10
	s_or_b32 exec_lo, exec_lo, s12
	s_and_saveexec_b32 s12, s1
	s_cbranch_execz .LBB116_57
.LBB116_65:                             ;   in Loop: Header=BB116_55 Depth=1
	ds_load_b32 v8, v9 offset:8200
	s_waitcnt lgkmcnt(0)
	v_add_nc_u32_e32 v10, v10, v8
	s_or_b32 exec_lo, exec_lo, s12
	s_and_saveexec_b32 s12, s2
	s_cbranch_execz .LBB116_58
.LBB116_66:                             ;   in Loop: Header=BB116_55 Depth=1
	ds_load_b32 v8, v9 offset:8208
	s_waitcnt lgkmcnt(0)
	v_add_nc_u32_e32 v10, v10, v8
	s_or_b32 exec_lo, exec_lo, s12
	s_and_saveexec_b32 s12, s3
	s_cbranch_execz .LBB116_59
.LBB116_67:                             ;   in Loop: Header=BB116_55 Depth=1
	ds_load_b32 v8, v9 offset:8216
	s_waitcnt lgkmcnt(0)
	v_add_nc_u32_e32 v10, v10, v8
	s_or_b32 exec_lo, exec_lo, s12
	s_and_saveexec_b32 s12, s4
	s_cbranch_execz .LBB116_60
.LBB116_68:                             ;   in Loop: Header=BB116_55 Depth=1
	ds_load_b32 v8, v9 offset:8224
	s_waitcnt lgkmcnt(0)
	v_add_nc_u32_e32 v10, v10, v8
	s_or_b32 exec_lo, exec_lo, s12
	s_and_saveexec_b32 s12, s5
	s_cbranch_execz .LBB116_61
.LBB116_69:                             ;   in Loop: Header=BB116_55 Depth=1
	ds_load_b32 v8, v9 offset:8232
	s_waitcnt lgkmcnt(0)
	v_add_nc_u32_e32 v10, v10, v8
	s_or_b32 exec_lo, exec_lo, s12
	s_and_saveexec_b32 s12, s6
	s_cbranch_execz .LBB116_62
.LBB116_70:                             ;   in Loop: Header=BB116_55 Depth=1
	ds_load_b32 v8, v9 offset:8240
	s_waitcnt lgkmcnt(0)
	v_add_nc_u32_e32 v10, v10, v8
	s_or_b32 exec_lo, exec_lo, s12
	s_delay_alu instid0(VALU_DEP_1)
	v_ashrrev_i32_e32 v11, 31, v10
	s_and_saveexec_b32 s12, s7
	s_cbranch_execz .LBB116_63
.LBB116_71:                             ;   in Loop: Header=BB116_55 Depth=1
	v_add3_u32 v8, v6, -1, v10
	s_delay_alu instid0(VALU_DEP_1)
	v_lshl_add_u32 v8, v8, 3, 0
	ds_store_2addr_stride64_b64 v8, v[1:2], v[3:4] offset1:8
	s_or_b32 exec_lo, exec_lo, s12
	s_and_saveexec_b32 s7, vcc_lo
	s_cbranch_execz .LBB116_54
.LBB116_72:                             ;   in Loop: Header=BB116_55 Depth=1
	ds_store_b64 v9, v[10:11] offset:8248
	s_branch .LBB116_54
.LBB116_73:
	s_or_b32 exec_lo, exec_lo, s8
	s_lshl_b64 s[0:1], s[30:31], 3
	v_mov_b32_e32 v1, 0
	s_add_u32 s0, s10, s0
	s_addc_u32 s1, s11, s1
	s_mov_b32 s6, exec_lo
	s_load_b128 s[0:3], s[0:1], 0x0
	s_waitcnt lgkmcnt(0)
	s_sub_u32 s4, s2, s0
	s_subb_u32 s5, s3, s1
	s_delay_alu instid0(SALU_CYCLE_1)
	v_cmpx_gt_i64_e64 s[4:5], v[0:1]
	s_cbranch_execz .LBB116_83
; %bb.74:
	s_sub_u32 s8, s0, s22
	s_subb_u32 s9, s1, 0
	s_and_b32 s6, s4, 7
	s_sub_u32 s0, s0, s2
	s_subb_u32 s1, s1, s3
	s_mov_b32 s7, 0
	v_cmp_lt_u64_e64 s12, s[0:1], -7
	s_and_b32 s2, s4, -8
	s_cmp_lg_u64 s[6:7], 0
	s_mov_b32 s3, s5
	s_cselect_b32 s13, -1, 0
	s_mov_b32 s14, s7
	s_branch .LBB116_76
.LBB116_75:                             ;   in Loop: Header=BB116_76 Depth=1
	s_waitcnt lgkmcnt(0)
	v_add_co_u32 v2, vcc_lo, v2, s22
	v_lshlrev_b64 v[6:7], 3, v[6:7]
	v_add_co_ci_u32_e32 v3, vcc_lo, 0, v3, vcc_lo
	v_add_co_u32 v0, vcc_lo, 0x100, v0
	v_add_co_ci_u32_e32 v1, vcc_lo, 0, v1, vcc_lo
	s_delay_alu instid0(VALU_DEP_4) | instskip(SKIP_1) | instid1(VALU_DEP_3)
	v_add_co_u32 v8, vcc_lo, s24, v6
	v_add_co_ci_u32_e32 v9, vcc_lo, s25, v7, vcc_lo
	v_cmp_le_i64_e32 vcc_lo, s[4:5], v[0:1]
	v_add_co_u32 v6, s0, s26, v6
	s_delay_alu instid0(VALU_DEP_1) | instskip(SKIP_3) | instid1(SALU_CYCLE_1)
	v_add_co_ci_u32_e64 v7, s0, s27, v7, s0
	global_store_b64 v[8:9], v[2:3], off
	global_store_b64 v[6:7], v[4:5], off
	s_or_b32 s14, vcc_lo, s14
	s_and_not1_b32 exec_lo, exec_lo, s14
	s_cbranch_execz .LBB116_83
.LBB116_76:                             ; =>This Loop Header: Depth=1
                                        ;     Child Loop BB116_78 Depth 2
                                        ;     Child Loop BB116_82 Depth 2
	v_lshl_add_u32 v2, v0, 3, 0
	v_dual_mov_b32 v6, s8 :: v_dual_mov_b32 v7, s9
	s_and_not1_b32 vcc_lo, exec_lo, s12
	s_mov_b64 s[0:1], 0
	ds_load_2addr_stride64_b64 v[2:5], v2 offset1:8
	s_cbranch_vccnz .LBB116_80
; %bb.77:                               ;   in Loop: Header=BB116_76 Depth=1
	v_dual_mov_b32 v6, s8 :: v_dual_mov_b32 v7, s9
	s_mov_b64 s[10:11], 0
	s_mov_b32 s1, 0
.LBB116_78:                             ;   Parent Loop BB116_76 Depth=1
                                        ; =>  This Inner Loop Header: Depth=2
	s_delay_alu instid0(SALU_CYCLE_1)
	v_mov_b32_e32 v20, s1
	s_add_u32 s10, s10, 8
	s_addc_u32 s11, s11, 0
	s_add_i32 s1, s1, 64
	s_cmp_eq_u64 s[2:3], s[10:11]
	ds_load_2addr_b64 v[8:11], v20 offset1:1
	ds_load_2addr_b64 v[12:15], v20 offset0:2 offset1:3
	ds_load_2addr_b64 v[16:19], v20 offset0:4 offset1:5
	;; [unrolled: 1-line block ×3, first 2 shown]
	s_waitcnt lgkmcnt(3)
	v_cmp_gt_i64_e32 vcc_lo, v[2:3], v[8:9]
	v_cndmask_b32_e64 v8, 0, 1, vcc_lo
	v_cmp_gt_i64_e32 vcc_lo, v[2:3], v[10:11]
	v_cndmask_b32_e64 v9, 0, 1, vcc_lo
	s_waitcnt lgkmcnt(2)
	v_cmp_gt_i64_e32 vcc_lo, v[2:3], v[12:13]
	v_cndmask_b32_e64 v10, 0, 1, vcc_lo
	v_cmp_gt_i64_e32 vcc_lo, v[2:3], v[14:15]
	v_cndmask_b32_e64 v11, 0, 1, vcc_lo
	s_waitcnt lgkmcnt(1)
	v_cmp_gt_i64_e32 vcc_lo, v[2:3], v[16:17]
	v_cndmask_b32_e64 v12, 0, 1, vcc_lo
	v_add_co_u32 v6, vcc_lo, v6, v8
	v_add_co_ci_u32_e32 v7, vcc_lo, 0, v7, vcc_lo
	v_cmp_gt_i64_e32 vcc_lo, v[2:3], v[18:19]
	s_delay_alu instid0(VALU_DEP_3) | instskip(NEXT) | instid1(VALU_DEP_1)
	v_add_co_u32 v6, s0, v6, v9
	v_add_co_ci_u32_e64 v7, s0, 0, v7, s0
	v_cndmask_b32_e64 v8, 0, 1, vcc_lo
	s_delay_alu instid0(VALU_DEP_3) | instskip(NEXT) | instid1(VALU_DEP_3)
	v_add_co_u32 v6, vcc_lo, v6, v10
	v_add_co_ci_u32_e32 v7, vcc_lo, 0, v7, vcc_lo
	s_waitcnt lgkmcnt(0)
	v_cmp_gt_i64_e32 vcc_lo, v[2:3], v[20:21]
	s_delay_alu instid0(VALU_DEP_3) | instskip(NEXT) | instid1(VALU_DEP_1)
	v_add_co_u32 v6, s0, v6, v11
	v_add_co_ci_u32_e64 v7, s0, 0, v7, s0
	v_cndmask_b32_e64 v9, 0, 1, vcc_lo
	s_delay_alu instid0(VALU_DEP_3) | instskip(NEXT) | instid1(VALU_DEP_3)
	v_add_co_u32 v6, vcc_lo, v6, v12
	v_add_co_ci_u32_e32 v7, vcc_lo, 0, v7, vcc_lo
	v_cmp_gt_i64_e32 vcc_lo, v[2:3], v[22:23]
	s_delay_alu instid0(VALU_DEP_3) | instskip(NEXT) | instid1(VALU_DEP_1)
	v_add_co_u32 v6, s0, v6, v8
	v_add_co_ci_u32_e64 v7, s0, 0, v7, s0
	v_cndmask_b32_e64 v8, 0, 1, vcc_lo
	s_delay_alu instid0(VALU_DEP_3) | instskip(NEXT) | instid1(VALU_DEP_3)
	v_add_co_u32 v6, vcc_lo, v6, v9
	v_add_co_ci_u32_e32 v7, vcc_lo, 0, v7, vcc_lo
	s_delay_alu instid0(VALU_DEP_2) | instskip(NEXT) | instid1(VALU_DEP_2)
	v_add_co_u32 v6, vcc_lo, v6, v8
	v_add_co_ci_u32_e32 v7, vcc_lo, 0, v7, vcc_lo
	s_cbranch_scc0 .LBB116_78
; %bb.79:                               ;   in Loop: Header=BB116_76 Depth=1
	s_mov_b64 s[0:1], s[2:3]
.LBB116_80:                             ;   in Loop: Header=BB116_76 Depth=1
	s_and_not1_b32 vcc_lo, exec_lo, s13
	s_cbranch_vccnz .LBB116_75
; %bb.81:                               ;   in Loop: Header=BB116_76 Depth=1
	s_lshl_b32 s0, s0, 3
	s_delay_alu instid0(SALU_CYCLE_1)
	s_add_i32 s10, s0, 0
	s_mov_b64 s[0:1], s[6:7]
.LBB116_82:                             ;   Parent Loop BB116_76 Depth=1
                                        ; =>  This Inner Loop Header: Depth=2
	v_mov_b32_e32 v8, s10
	s_add_i32 s10, s10, 8
	s_add_u32 s0, s0, -1
	s_addc_u32 s1, s1, -1
	s_delay_alu instid0(SALU_CYCLE_1) | instskip(SKIP_4) | instid1(VALU_DEP_1)
	s_cmp_lg_u64 s[0:1], 0
	ds_load_b64 v[8:9], v8
	s_waitcnt lgkmcnt(0)
	v_cmp_gt_i64_e32 vcc_lo, v[2:3], v[8:9]
	v_cndmask_b32_e64 v8, 0, 1, vcc_lo
	v_add_co_u32 v6, vcc_lo, v6, v8
	v_add_co_ci_u32_e32 v7, vcc_lo, 0, v7, vcc_lo
	s_cbranch_scc1 .LBB116_82
	s_branch .LBB116_75
.LBB116_83:
	s_nop 0
	s_sendmsg sendmsg(MSG_DEALLOC_VGPRS)
	s_endpgm
	.section	.rodata,"a",@progbits
	.p2align	6, 0x0
	.amdhsa_kernel _ZN9rocsparseL26csrgemm_fill_block_per_rowILj256ELj32ELj512ELj137ELj32ElldEEvT5_PKS1_S3_NS_24const_host_device_scalarIT6_EEPKT4_S3_PKS5_S9_S3_SB_S6_S9_S3_SB_S9_PS1_PS5_21rocsparse_index_base_SE_SE_SE_bbb
		.amdhsa_group_segment_fixed_size 0
		.amdhsa_private_segment_fixed_size 0
		.amdhsa_kernarg_size 156
		.amdhsa_user_sgpr_count 15
		.amdhsa_user_sgpr_dispatch_ptr 0
		.amdhsa_user_sgpr_queue_ptr 0
		.amdhsa_user_sgpr_kernarg_segment_ptr 1
		.amdhsa_user_sgpr_dispatch_id 0
		.amdhsa_user_sgpr_private_segment_size 0
		.amdhsa_wavefront_size32 1
		.amdhsa_uses_dynamic_stack 0
		.amdhsa_enable_private_segment 0
		.amdhsa_system_sgpr_workgroup_id_x 1
		.amdhsa_system_sgpr_workgroup_id_y 0
		.amdhsa_system_sgpr_workgroup_id_z 0
		.amdhsa_system_sgpr_workgroup_info 0
		.amdhsa_system_vgpr_workitem_id 0
		.amdhsa_next_free_vgpr 28
		.amdhsa_next_free_sgpr 45
		.amdhsa_reserve_vcc 1
		.amdhsa_float_round_mode_32 0
		.amdhsa_float_round_mode_16_64 0
		.amdhsa_float_denorm_mode_32 3
		.amdhsa_float_denorm_mode_16_64 3
		.amdhsa_dx10_clamp 1
		.amdhsa_ieee_mode 1
		.amdhsa_fp16_overflow 0
		.amdhsa_workgroup_processor_mode 1
		.amdhsa_memory_ordered 1
		.amdhsa_forward_progress 0
		.amdhsa_shared_vgpr_count 0
		.amdhsa_exception_fp_ieee_invalid_op 0
		.amdhsa_exception_fp_denorm_src 0
		.amdhsa_exception_fp_ieee_div_zero 0
		.amdhsa_exception_fp_ieee_overflow 0
		.amdhsa_exception_fp_ieee_underflow 0
		.amdhsa_exception_fp_ieee_inexact 0
		.amdhsa_exception_int_div_zero 0
	.end_amdhsa_kernel
	.section	.text._ZN9rocsparseL26csrgemm_fill_block_per_rowILj256ELj32ELj512ELj137ELj32ElldEEvT5_PKS1_S3_NS_24const_host_device_scalarIT6_EEPKT4_S3_PKS5_S9_S3_SB_S6_S9_S3_SB_S9_PS1_PS5_21rocsparse_index_base_SE_SE_SE_bbb,"axG",@progbits,_ZN9rocsparseL26csrgemm_fill_block_per_rowILj256ELj32ELj512ELj137ELj32ElldEEvT5_PKS1_S3_NS_24const_host_device_scalarIT6_EEPKT4_S3_PKS5_S9_S3_SB_S6_S9_S3_SB_S9_PS1_PS5_21rocsparse_index_base_SE_SE_SE_bbb,comdat
.Lfunc_end116:
	.size	_ZN9rocsparseL26csrgemm_fill_block_per_rowILj256ELj32ELj512ELj137ELj32ElldEEvT5_PKS1_S3_NS_24const_host_device_scalarIT6_EEPKT4_S3_PKS5_S9_S3_SB_S6_S9_S3_SB_S9_PS1_PS5_21rocsparse_index_base_SE_SE_SE_bbb, .Lfunc_end116-_ZN9rocsparseL26csrgemm_fill_block_per_rowILj256ELj32ELj512ELj137ELj32ElldEEvT5_PKS1_S3_NS_24const_host_device_scalarIT6_EEPKT4_S3_PKS5_S9_S3_SB_S6_S9_S3_SB_S9_PS1_PS5_21rocsparse_index_base_SE_SE_SE_bbb
                                        ; -- End function
	.section	.AMDGPU.csdata,"",@progbits
; Kernel info:
; codeLenInByte = 3316
; NumSgprs: 47
; NumVgprs: 28
; ScratchSize: 0
; MemoryBound: 0
; FloatMode: 240
; IeeeMode: 1
; LDSByteSize: 0 bytes/workgroup (compile time only)
; SGPRBlocks: 5
; VGPRBlocks: 3
; NumSGPRsForWavesPerEU: 47
; NumVGPRsForWavesPerEU: 28
; Occupancy: 16
; WaveLimiterHint : 1
; COMPUTE_PGM_RSRC2:SCRATCH_EN: 0
; COMPUTE_PGM_RSRC2:USER_SGPR: 15
; COMPUTE_PGM_RSRC2:TRAP_HANDLER: 0
; COMPUTE_PGM_RSRC2:TGID_X_EN: 1
; COMPUTE_PGM_RSRC2:TGID_Y_EN: 0
; COMPUTE_PGM_RSRC2:TGID_Z_EN: 0
; COMPUTE_PGM_RSRC2:TIDIG_COMP_CNT: 0
	.section	.text._ZN9rocsparseL26csrgemm_fill_block_per_rowILj256ELj32ELj512ELj137ELj64ElldEEvT5_PKS1_S3_NS_24const_host_device_scalarIT6_EEPKT4_S3_PKS5_S9_S3_SB_S6_S9_S3_SB_S9_PS1_PS5_21rocsparse_index_base_SE_SE_SE_bbb,"axG",@progbits,_ZN9rocsparseL26csrgemm_fill_block_per_rowILj256ELj32ELj512ELj137ELj64ElldEEvT5_PKS1_S3_NS_24const_host_device_scalarIT6_EEPKT4_S3_PKS5_S9_S3_SB_S6_S9_S3_SB_S9_PS1_PS5_21rocsparse_index_base_SE_SE_SE_bbb,comdat
	.globl	_ZN9rocsparseL26csrgemm_fill_block_per_rowILj256ELj32ELj512ELj137ELj64ElldEEvT5_PKS1_S3_NS_24const_host_device_scalarIT6_EEPKT4_S3_PKS5_S9_S3_SB_S6_S9_S3_SB_S9_PS1_PS5_21rocsparse_index_base_SE_SE_SE_bbb ; -- Begin function _ZN9rocsparseL26csrgemm_fill_block_per_rowILj256ELj32ELj512ELj137ELj64ElldEEvT5_PKS1_S3_NS_24const_host_device_scalarIT6_EEPKT4_S3_PKS5_S9_S3_SB_S6_S9_S3_SB_S9_PS1_PS5_21rocsparse_index_base_SE_SE_SE_bbb
	.p2align	8
	.type	_ZN9rocsparseL26csrgemm_fill_block_per_rowILj256ELj32ELj512ELj137ELj64ElldEEvT5_PKS1_S3_NS_24const_host_device_scalarIT6_EEPKT4_S3_PKS5_S9_S3_SB_S6_S9_S3_SB_S9_PS1_PS5_21rocsparse_index_base_SE_SE_SE_bbb,@function
_ZN9rocsparseL26csrgemm_fill_block_per_rowILj256ELj32ELj512ELj137ELj64ElldEEvT5_PKS1_S3_NS_24const_host_device_scalarIT6_EEPKT4_S3_PKS5_S9_S3_SB_S6_S9_S3_SB_S9_PS1_PS5_21rocsparse_index_base_SE_SE_SE_bbb: ; @_ZN9rocsparseL26csrgemm_fill_block_per_rowILj256ELj32ELj512ELj137ELj64ElldEEvT5_PKS1_S3_NS_24const_host_device_scalarIT6_EEPKT4_S3_PKS5_S9_S3_SB_S6_S9_S3_SB_S9_PS1_PS5_21rocsparse_index_base_SE_SE_SE_bbb
; %bb.0:
	s_clause 0x2
	s_load_b32 s3, s[0:1], 0x98
	s_load_b64 s[6:7], s[0:1], 0x18
	s_load_b64 s[4:5], s[0:1], 0x50
	s_mov_b32 s2, s15
	s_waitcnt lgkmcnt(0)
	s_and_b32 s9, 1, s3
	s_bitcmp1_b32 s3, 16
	s_cselect_b32 s8, -1, 0
	s_cmp_eq_u32 s9, 1
	s_cselect_b32 s40, -1, 0
	s_delay_alu instid0(SALU_CYCLE_1)
	s_and_b32 s9, s40, exec_lo
	s_cselect_b32 s11, s7, 0
	s_cselect_b32 s10, s6, 0
	s_xor_b32 s9, s40, -1
	v_dual_mov_b32 v3, s10 :: v_dual_mov_b32 v4, s11
	s_or_b32 s9, s9, s8
	s_delay_alu instid0(SALU_CYCLE_1)
	s_and_b32 vcc_lo, exec_lo, s9
	s_cbranch_vccnz .LBB117_2
; %bb.1:
	v_dual_mov_b32 v1, s6 :: v_dual_mov_b32 v2, s7
	flat_load_b64 v[3:4], v[1:2]
.LBB117_2:
	s_load_b128 s[20:23], s[0:1], 0x88
	s_bitcmp1_b32 s3, 8
	s_cselect_b32 s33, -1, 0
	s_delay_alu instid0(SALU_CYCLE_1)
	s_and_b32 s3, s33, exec_lo
	s_cselect_b32 s7, s5, 0
	s_cselect_b32 s6, s4, 0
	s_xor_b32 s3, s33, -1
	v_dual_mov_b32 v1, s6 :: v_dual_mov_b32 v2, s7
	s_or_b32 s3, s3, s8
	s_delay_alu instid0(SALU_CYCLE_1)
	s_and_b32 vcc_lo, exec_lo, s3
	s_cbranch_vccnz .LBB117_4
; %bb.3:
	v_dual_mov_b32 v1, s4 :: v_dual_mov_b32 v2, s5
	flat_load_b64 v[1:2], v[1:2]
.LBB117_4:
	s_clause 0x5
	s_load_b128 s[24:27], s[0:1], 0x78
	s_load_b256 s[4:11], s[0:1], 0x58
	s_load_b128 s[36:39], s[0:1], 0x40
	s_load_b128 s[28:31], s[0:1], 0x0
	s_load_b64 s[34:35], s[0:1], 0x10
	s_load_b256 s[12:19], s[0:1], 0x20
	v_cmp_gt_u32_e64 s0, 0x200, v0
	v_or_b32_e32 v19, 0xffffff00, v0
	v_lshl_add_u32 v20, v0, 3, 0
	s_delay_alu instid0(VALU_DEP_3)
	s_and_saveexec_b32 s1, s0
	s_cbranch_execz .LBB117_7
; %bb.5:
	v_mov_b32_e32 v5, 0
	s_waitcnt lgkmcnt(0)
	v_mov_b32_e32 v7, s28
	v_or_b32_e32 v9, 0xffffff00, v0
	v_lshl_add_u32 v10, v0, 3, 0
	v_mov_b32_e32 v8, s29
	v_mov_b32_e32 v6, v5
	s_mov_b32 s3, 0
.LBB117_6:                              ; =>This Inner Loop Header: Depth=1
	v_add_co_u32 v9, s41, 0x100, v9
	s_delay_alu instid0(VALU_DEP_1) | instskip(SKIP_3) | instid1(SALU_CYCLE_1)
	s_xor_b32 s41, s41, -1
	ds_store_2addr_stride64_b64 v10, v[7:8], v[5:6] offset1:8
	v_add_nc_u32_e32 v10, 0x800, v10
	s_and_b32 s41, exec_lo, s41
	s_or_b32 s3, s41, s3
	s_delay_alu instid0(SALU_CYCLE_1)
	s_and_not1_b32 exec_lo, exec_lo, s3
	s_cbranch_execnz .LBB117_6
.LBB117_7:
	s_or_b32 exec_lo, exec_lo, s1
	s_waitcnt vmcnt(0) lgkmcnt(0)
	s_barrier
	buffer_gl0_inv
	s_load_b64 s[30:31], s[30:31], 0x0
	s_mov_b32 s3, 0
	s_waitcnt lgkmcnt(0)
	s_lshl_b64 s[30:31], s[30:31], 3
	s_delay_alu instid0(SALU_CYCLE_1) | instskip(SKIP_2) | instid1(SALU_CYCLE_1)
	s_add_u32 s1, s34, s30
	s_addc_u32 s30, s35, s31
	s_lshl_b64 s[2:3], s[2:3], 3
	s_add_u32 s2, s1, s2
	s_addc_u32 s3, s30, s3
	s_and_b32 vcc_lo, exec_lo, s40
	s_load_b64 s[30:31], s[2:3], 0x0
	s_cbranch_vccz .LBB117_31
; %bb.8:
	s_waitcnt lgkmcnt(0)
	s_lshl_b64 s[2:3], s[30:31], 3
	v_lshrrev_b32_e32 v5, 5, v0
	s_add_u32 s2, s12, s2
	s_addc_u32 s3, s13, s3
	s_load_b128 s[40:43], s[2:3], 0x0
	s_delay_alu instid0(VALU_DEP_1) | instskip(NEXT) | instid1(VALU_DEP_1)
	v_sub_co_u32 v5, s1, v5, s20
	v_sub_co_ci_u32_e64 v6, null, 0, 0, s1
	s_mov_b32 s1, exec_lo
	s_waitcnt lgkmcnt(0)
	s_delay_alu instid0(VALU_DEP_2) | instskip(NEXT) | instid1(VALU_DEP_2)
	v_add_co_u32 v5, vcc_lo, s40, v5
	v_add_co_ci_u32_e32 v6, vcc_lo, s41, v6, vcc_lo
	s_sub_u32 s2, s42, s20
	s_subb_u32 s3, s43, 0
	s_delay_alu instid0(VALU_DEP_1) | instid1(SALU_CYCLE_1)
	v_cmpx_gt_i64_e64 s[2:3], v[5:6]
	s_cbranch_execz .LBB117_30
; %bb.9:
	v_and_b32_e32 v7, 31, v0
	s_mov_b32 s13, s21
	s_delay_alu instid0(VALU_DEP_1) | instskip(NEXT) | instid1(VALU_DEP_1)
	v_sub_co_u32 v21, s12, v7, s21
	v_sub_co_ci_u32_e64 v22, null, 0, 0, s12
	s_mov_b32 s12, 0
	s_branch .LBB117_11
.LBB117_10:                             ;   in Loop: Header=BB117_11 Depth=1
	s_or_b32 exec_lo, exec_lo, s21
	v_add_co_u32 v5, vcc_lo, v5, 8
	v_add_co_ci_u32_e32 v6, vcc_lo, 0, v6, vcc_lo
	s_delay_alu instid0(VALU_DEP_1) | instskip(SKIP_1) | instid1(SALU_CYCLE_1)
	v_cmp_le_i64_e32 vcc_lo, s[2:3], v[5:6]
	s_or_b32 s12, vcc_lo, s12
	s_and_not1_b32 exec_lo, exec_lo, s12
	s_cbranch_execz .LBB117_30
.LBB117_11:                             ; =>This Loop Header: Depth=1
                                        ;     Child Loop BB117_14 Depth 2
                                        ;       Child Loop BB117_16 Depth 3
                                        ;         Child Loop BB117_22 Depth 4
                                        ;         Child Loop BB117_28 Depth 4
	v_lshlrev_b64 v[11:12], 3, v[5:6]
	s_mov_b32 s21, exec_lo
	s_delay_alu instid0(VALU_DEP_1) | instskip(NEXT) | instid1(VALU_DEP_2)
	v_add_co_u32 v7, vcc_lo, s14, v11
	v_add_co_ci_u32_e32 v8, vcc_lo, s15, v12, vcc_lo
	global_load_b64 v[7:8], v[7:8], off
	s_waitcnt vmcnt(0)
	v_sub_co_u32 v7, vcc_lo, v7, s20
	v_subrev_co_ci_u32_e32 v8, vcc_lo, 0, v8, vcc_lo
	s_delay_alu instid0(VALU_DEP_1) | instskip(NEXT) | instid1(VALU_DEP_1)
	v_lshlrev_b64 v[7:8], 3, v[7:8]
	v_add_co_u32 v7, vcc_lo, s18, v7
	s_delay_alu instid0(VALU_DEP_2)
	v_add_co_ci_u32_e32 v8, vcc_lo, s19, v8, vcc_lo
	global_load_b128 v[13:16], v[7:8], off
	s_waitcnt vmcnt(0)
	v_sub_co_u32 v7, vcc_lo, v15, s13
	v_subrev_co_ci_u32_e32 v8, vcc_lo, 0, v16, vcc_lo
	v_add_co_u32 v9, vcc_lo, v13, v21
	v_add_co_ci_u32_e32 v10, vcc_lo, v14, v22, vcc_lo
	s_delay_alu instid0(VALU_DEP_1)
	v_cmpx_lt_i64_e64 v[9:10], v[7:8]
	s_cbranch_execz .LBB117_10
; %bb.12:                               ;   in Loop: Header=BB117_11 Depth=1
	v_add_co_u32 v11, vcc_lo, s16, v11
	v_add_co_ci_u32_e32 v12, vcc_lo, s17, v12, vcc_lo
	s_mov_b32 s34, 0
	global_load_b64 v[11:12], v[11:12], off
	s_waitcnt vmcnt(0)
	v_mul_f64 v[11:12], v[3:4], v[11:12]
	s_branch .LBB117_14
.LBB117_13:                             ;   in Loop: Header=BB117_14 Depth=2
	s_or_b32 exec_lo, exec_lo, s35
	v_add_co_u32 v9, vcc_lo, v9, 32
	v_add_co_ci_u32_e32 v10, vcc_lo, 0, v10, vcc_lo
	s_delay_alu instid0(VALU_DEP_1) | instskip(SKIP_1) | instid1(SALU_CYCLE_1)
	v_cmp_ge_i64_e32 vcc_lo, v[9:10], v[7:8]
	s_or_b32 s34, vcc_lo, s34
	s_and_not1_b32 exec_lo, exec_lo, s34
	s_cbranch_execz .LBB117_10
.LBB117_14:                             ;   Parent Loop BB117_11 Depth=1
                                        ; =>  This Loop Header: Depth=2
                                        ;       Child Loop BB117_16 Depth 3
                                        ;         Child Loop BB117_22 Depth 4
                                        ;         Child Loop BB117_28 Depth 4
	v_lshlrev_b64 v[13:14], 3, v[9:10]
	s_mov_b32 s35, 0
	s_delay_alu instid0(VALU_DEP_1) | instskip(NEXT) | instid1(VALU_DEP_2)
	v_add_co_u32 v15, vcc_lo, s38, v13
	v_add_co_ci_u32_e32 v16, vcc_lo, s39, v14, vcc_lo
	v_add_co_u32 v13, vcc_lo, s36, v13
	v_add_co_ci_u32_e32 v14, vcc_lo, s37, v14, vcc_lo
	global_load_b64 v[15:16], v[15:16], off
	global_load_b64 v[17:18], v[13:14], off
	s_waitcnt vmcnt(1)
	v_mul_f64 v[13:14], v[11:12], v[15:16]
	s_waitcnt vmcnt(0)
	v_sub_co_u32 v15, vcc_lo, v17, s13
	v_subrev_co_ci_u32_e32 v16, vcc_lo, 0, v18, vcc_lo
	s_delay_alu instid0(VALU_DEP_2) | instskip(NEXT) | instid1(VALU_DEP_1)
	v_mul_lo_u32 v17, 0x89, v15
	v_and_b32_e32 v23, 0x1ff, v17
	s_branch .LBB117_16
.LBB117_15:                             ;   in Loop: Header=BB117_16 Depth=3
	s_or_b32 exec_lo, exec_lo, s40
	s_xor_b32 s40, s41, -1
	s_delay_alu instid0(SALU_CYCLE_1) | instskip(NEXT) | instid1(SALU_CYCLE_1)
	s_and_b32 s40, exec_lo, s40
	s_or_b32 s35, s40, s35
	s_delay_alu instid0(SALU_CYCLE_1)
	s_and_not1_b32 exec_lo, exec_lo, s35
	s_cbranch_execz .LBB117_13
.LBB117_16:                             ;   Parent Loop BB117_11 Depth=1
                                        ;     Parent Loop BB117_14 Depth=2
                                        ; =>    This Loop Header: Depth=3
                                        ;         Child Loop BB117_22 Depth 4
                                        ;         Child Loop BB117_28 Depth 4
	s_delay_alu instid0(VALU_DEP_1)
	v_lshl_add_u32 v24, v23, 3, 0
	s_mov_b32 s40, exec_lo
                                        ; implicit-def: $sgpr41
	ds_load_b64 v[17:18], v24
	s_waitcnt lgkmcnt(0)
	v_cmpx_ne_u64_e64 v[17:18], v[15:16]
	s_xor_b32 s40, exec_lo, s40
	s_cbranch_execz .LBB117_26
; %bb.17:                               ;   in Loop: Header=BB117_16 Depth=3
	s_mov_b32 s42, exec_lo
                                        ; implicit-def: $sgpr41
	v_cmpx_ne_u64_e64 s[28:29], v[17:18]
	s_xor_b32 s42, exec_lo, s42
; %bb.18:                               ;   in Loop: Header=BB117_16 Depth=3
	v_add_nc_u32_e32 v17, 1, v23
	s_mov_b32 s41, -1
                                        ; implicit-def: $vgpr24
	s_delay_alu instid0(VALU_DEP_1)
	v_and_b32_e32 v23, 0x1ff, v17
; %bb.19:                               ;   in Loop: Header=BB117_16 Depth=3
	s_and_not1_saveexec_b32 s42, s42
	s_cbranch_execz .LBB117_25
; %bb.20:                               ;   in Loop: Header=BB117_16 Depth=3
	v_dual_mov_b32 v17, s28 :: v_dual_mov_b32 v18, s29
	s_mov_b32 s44, -1
	s_mov_b32 s43, exec_lo
	ds_cmpstore_rtn_b64 v[17:18], v24, v[15:16], v[17:18]
	s_waitcnt lgkmcnt(0)
	v_cmpx_eq_u64_e64 s[28:29], v[17:18]
	s_cbranch_execz .LBB117_24
; %bb.21:                               ;   in Loop: Header=BB117_16 Depth=3
	ds_load_b64 v[17:18], v24 offset:4096
	s_mov_b32 s44, 0
.LBB117_22:                             ;   Parent Loop BB117_11 Depth=1
                                        ;     Parent Loop BB117_14 Depth=2
                                        ;       Parent Loop BB117_16 Depth=3
                                        ; =>      This Inner Loop Header: Depth=4
	s_waitcnt lgkmcnt(0)
	v_add_f64 v[25:26], v[17:18], v[13:14]
	ds_cmpstore_rtn_b64 v[25:26], v24, v[25:26], v[17:18] offset:4096
	s_waitcnt lgkmcnt(0)
	v_cmp_eq_u64_e32 vcc_lo, v[25:26], v[17:18]
	v_dual_mov_b32 v17, v25 :: v_dual_mov_b32 v18, v26
	s_or_b32 s44, vcc_lo, s44
	s_delay_alu instid0(SALU_CYCLE_1)
	s_and_not1_b32 exec_lo, exec_lo, s44
	s_cbranch_execnz .LBB117_22
; %bb.23:                               ;   in Loop: Header=BB117_16 Depth=3
	s_or_b32 exec_lo, exec_lo, s44
	s_delay_alu instid0(SALU_CYCLE_1)
	s_xor_b32 s44, exec_lo, -1
.LBB117_24:                             ;   in Loop: Header=BB117_16 Depth=3
	s_or_b32 exec_lo, exec_lo, s43
	s_delay_alu instid0(SALU_CYCLE_1) | instskip(SKIP_1) | instid1(SALU_CYCLE_1)
	s_and_not1_b32 s41, s41, exec_lo
	s_and_b32 s43, s44, exec_lo
	s_or_b32 s41, s41, s43
.LBB117_25:                             ;   in Loop: Header=BB117_16 Depth=3
	s_or_b32 exec_lo, exec_lo, s42
	s_delay_alu instid0(SALU_CYCLE_1)
	s_and_b32 s41, s41, exec_lo
                                        ; implicit-def: $vgpr24
.LBB117_26:                             ;   in Loop: Header=BB117_16 Depth=3
	s_and_not1_saveexec_b32 s40, s40
	s_cbranch_execz .LBB117_15
; %bb.27:                               ;   in Loop: Header=BB117_16 Depth=3
	ds_load_b64 v[17:18], v24 offset:4096
	s_mov_b32 s42, 0
.LBB117_28:                             ;   Parent Loop BB117_11 Depth=1
                                        ;     Parent Loop BB117_14 Depth=2
                                        ;       Parent Loop BB117_16 Depth=3
                                        ; =>      This Inner Loop Header: Depth=4
	s_waitcnt lgkmcnt(0)
	v_add_f64 v[25:26], v[17:18], v[13:14]
	ds_cmpstore_rtn_b64 v[25:26], v24, v[25:26], v[17:18] offset:4096
	s_waitcnt lgkmcnt(0)
	v_cmp_eq_u64_e32 vcc_lo, v[25:26], v[17:18]
	v_dual_mov_b32 v17, v25 :: v_dual_mov_b32 v18, v26
	s_or_b32 s42, vcc_lo, s42
	s_delay_alu instid0(SALU_CYCLE_1)
	s_and_not1_b32 exec_lo, exec_lo, s42
	s_cbranch_execnz .LBB117_28
; %bb.29:                               ;   in Loop: Header=BB117_16 Depth=3
	s_or_b32 exec_lo, exec_lo, s42
	s_delay_alu instid0(SALU_CYCLE_1)
	s_and_not1_b32 s41, s41, exec_lo
	s_branch .LBB117_15
.LBB117_30:
	s_or_b32 exec_lo, exec_lo, s1
.LBB117_31:
	s_delay_alu instid0(SALU_CYCLE_1)
	s_and_not1_b32 vcc_lo, exec_lo, s33
	s_cbranch_vccnz .LBB117_52
; %bb.32:
	s_waitcnt lgkmcnt(0)
	s_lshl_b64 s[2:3], s[30:31], 3
	v_sub_co_u32 v3, s1, v0, s23
	s_add_u32 s2, s4, s2
	s_addc_u32 s3, s5, s3
	v_sub_co_ci_u32_e64 v4, null, 0, 0, s1
	s_load_b128 s[12:15], s[2:3], 0x0
	s_mov_b32 s1, 0
	s_mov_b32 s4, exec_lo
	s_waitcnt lgkmcnt(0)
	v_add_co_u32 v3, vcc_lo, s12, v3
	v_add_co_ci_u32_e32 v4, vcc_lo, s13, v4, vcc_lo
	s_sub_u32 s2, s14, s23
	s_subb_u32 s3, s15, 0
	s_delay_alu instid0(VALU_DEP_1) | instid1(SALU_CYCLE_1)
	v_cmpx_gt_i64_e64 s[2:3], v[3:4]
	s_cbranch_execz .LBB117_51
; %bb.33:
	s_mov_b32 s5, s23
	s_branch .LBB117_35
.LBB117_34:                             ;   in Loop: Header=BB117_35 Depth=1
	s_or_b32 exec_lo, exec_lo, s12
	v_add_co_u32 v3, vcc_lo, 0x100, v3
	v_add_co_ci_u32_e32 v4, vcc_lo, 0, v4, vcc_lo
	s_delay_alu instid0(VALU_DEP_1) | instskip(SKIP_1) | instid1(SALU_CYCLE_1)
	v_cmp_le_i64_e32 vcc_lo, s[2:3], v[3:4]
	s_or_b32 s1, vcc_lo, s1
	s_and_not1_b32 exec_lo, exec_lo, s1
	s_cbranch_execz .LBB117_51
.LBB117_35:                             ; =>This Loop Header: Depth=1
                                        ;     Child Loop BB117_37 Depth 2
                                        ;       Child Loop BB117_43 Depth 3
                                        ;       Child Loop BB117_49 Depth 3
	v_lshlrev_b64 v[5:6], 3, v[3:4]
	s_mov_b32 s12, 0
	s_delay_alu instid0(VALU_DEP_1) | instskip(NEXT) | instid1(VALU_DEP_2)
	v_add_co_u32 v7, vcc_lo, s8, v5
	v_add_co_ci_u32_e32 v8, vcc_lo, s9, v6, vcc_lo
	v_add_co_u32 v5, vcc_lo, s6, v5
	v_add_co_ci_u32_e32 v6, vcc_lo, s7, v6, vcc_lo
	global_load_b64 v[7:8], v[7:8], off
	global_load_b64 v[9:10], v[5:6], off
	s_waitcnt vmcnt(1)
	v_mul_f64 v[5:6], v[1:2], v[7:8]
	s_waitcnt vmcnt(0)
	v_sub_co_u32 v7, vcc_lo, v9, s5
	v_subrev_co_ci_u32_e32 v8, vcc_lo, 0, v10, vcc_lo
	s_delay_alu instid0(VALU_DEP_2) | instskip(NEXT) | instid1(VALU_DEP_1)
	v_mul_lo_u32 v9, 0x89, v7
	v_and_b32_e32 v11, 0x1ff, v9
	s_branch .LBB117_37
.LBB117_36:                             ;   in Loop: Header=BB117_37 Depth=2
	s_or_b32 exec_lo, exec_lo, s13
	s_xor_b32 s13, s14, -1
	s_delay_alu instid0(SALU_CYCLE_1) | instskip(NEXT) | instid1(SALU_CYCLE_1)
	s_and_b32 s13, exec_lo, s13
	s_or_b32 s12, s13, s12
	s_delay_alu instid0(SALU_CYCLE_1)
	s_and_not1_b32 exec_lo, exec_lo, s12
	s_cbranch_execz .LBB117_34
.LBB117_37:                             ;   Parent Loop BB117_35 Depth=1
                                        ; =>  This Loop Header: Depth=2
                                        ;       Child Loop BB117_43 Depth 3
                                        ;       Child Loop BB117_49 Depth 3
	s_delay_alu instid0(VALU_DEP_1)
	v_lshl_add_u32 v12, v11, 3, 0
	s_mov_b32 s13, exec_lo
                                        ; implicit-def: $sgpr14
	ds_load_b64 v[9:10], v12
	s_waitcnt lgkmcnt(0)
	v_cmpx_ne_u64_e64 v[9:10], v[7:8]
	s_xor_b32 s13, exec_lo, s13
	s_cbranch_execz .LBB117_47
; %bb.38:                               ;   in Loop: Header=BB117_37 Depth=2
	s_mov_b32 s15, exec_lo
                                        ; implicit-def: $sgpr14
	v_cmpx_ne_u64_e64 s[28:29], v[9:10]
	s_xor_b32 s15, exec_lo, s15
; %bb.39:                               ;   in Loop: Header=BB117_37 Depth=2
	v_add_nc_u32_e32 v9, 1, v11
	s_mov_b32 s14, -1
                                        ; implicit-def: $vgpr12
	s_delay_alu instid0(VALU_DEP_1)
	v_and_b32_e32 v11, 0x1ff, v9
; %bb.40:                               ;   in Loop: Header=BB117_37 Depth=2
	s_and_not1_saveexec_b32 s15, s15
	s_cbranch_execz .LBB117_46
; %bb.41:                               ;   in Loop: Header=BB117_37 Depth=2
	v_dual_mov_b32 v9, s28 :: v_dual_mov_b32 v10, s29
	s_mov_b32 s17, -1
	s_mov_b32 s16, exec_lo
	ds_cmpstore_rtn_b64 v[9:10], v12, v[7:8], v[9:10]
	s_waitcnt lgkmcnt(0)
	v_cmpx_eq_u64_e64 s[28:29], v[9:10]
	s_cbranch_execz .LBB117_45
; %bb.42:                               ;   in Loop: Header=BB117_37 Depth=2
	ds_load_b64 v[9:10], v12 offset:4096
	s_mov_b32 s17, 0
.LBB117_43:                             ;   Parent Loop BB117_35 Depth=1
                                        ;     Parent Loop BB117_37 Depth=2
                                        ; =>    This Inner Loop Header: Depth=3
	s_waitcnt lgkmcnt(0)
	v_add_f64 v[13:14], v[9:10], v[5:6]
	ds_cmpstore_rtn_b64 v[13:14], v12, v[13:14], v[9:10] offset:4096
	s_waitcnt lgkmcnt(0)
	v_cmp_eq_u64_e32 vcc_lo, v[13:14], v[9:10]
	v_dual_mov_b32 v9, v13 :: v_dual_mov_b32 v10, v14
	s_or_b32 s17, vcc_lo, s17
	s_delay_alu instid0(SALU_CYCLE_1)
	s_and_not1_b32 exec_lo, exec_lo, s17
	s_cbranch_execnz .LBB117_43
; %bb.44:                               ;   in Loop: Header=BB117_37 Depth=2
	s_or_b32 exec_lo, exec_lo, s17
	s_delay_alu instid0(SALU_CYCLE_1)
	s_xor_b32 s17, exec_lo, -1
.LBB117_45:                             ;   in Loop: Header=BB117_37 Depth=2
	s_or_b32 exec_lo, exec_lo, s16
	s_delay_alu instid0(SALU_CYCLE_1) | instskip(SKIP_1) | instid1(SALU_CYCLE_1)
	s_and_not1_b32 s14, s14, exec_lo
	s_and_b32 s16, s17, exec_lo
	s_or_b32 s14, s14, s16
.LBB117_46:                             ;   in Loop: Header=BB117_37 Depth=2
	s_or_b32 exec_lo, exec_lo, s15
	s_delay_alu instid0(SALU_CYCLE_1)
	s_and_b32 s14, s14, exec_lo
                                        ; implicit-def: $vgpr12
.LBB117_47:                             ;   in Loop: Header=BB117_37 Depth=2
	s_and_not1_saveexec_b32 s13, s13
	s_cbranch_execz .LBB117_36
; %bb.48:                               ;   in Loop: Header=BB117_37 Depth=2
	ds_load_b64 v[9:10], v12 offset:4096
	s_mov_b32 s15, 0
.LBB117_49:                             ;   Parent Loop BB117_35 Depth=1
                                        ;     Parent Loop BB117_37 Depth=2
                                        ; =>    This Inner Loop Header: Depth=3
	s_waitcnt lgkmcnt(0)
	v_add_f64 v[13:14], v[9:10], v[5:6]
	ds_cmpstore_rtn_b64 v[13:14], v12, v[13:14], v[9:10] offset:4096
	s_waitcnt lgkmcnt(0)
	v_cmp_eq_u64_e32 vcc_lo, v[13:14], v[9:10]
	v_dual_mov_b32 v9, v13 :: v_dual_mov_b32 v10, v14
	s_or_b32 s15, vcc_lo, s15
	s_delay_alu instid0(SALU_CYCLE_1)
	s_and_not1_b32 exec_lo, exec_lo, s15
	s_cbranch_execnz .LBB117_49
; %bb.50:                               ;   in Loop: Header=BB117_37 Depth=2
	s_or_b32 exec_lo, exec_lo, s15
	s_delay_alu instid0(SALU_CYCLE_1)
	s_and_not1_b32 s14, s14, exec_lo
	s_branch .LBB117_36
.LBB117_51:
	s_or_b32 exec_lo, exec_lo, s4
.LBB117_52:
	s_waitcnt lgkmcnt(0)
	s_barrier
	buffer_gl0_inv
	s_and_saveexec_b32 s4, s0
	s_cbranch_execz .LBB117_65
; %bb.53:
	v_mbcnt_lo_u32_b32 v1, -1, 0
	v_lshrrev_b32_e32 v2, 3, v0
	v_cmp_eq_u32_e32 vcc_lo, 0xff, v0
	v_cmp_lt_u32_e64 s0, 63, v0
	v_cmp_lt_u32_e64 s1, 0x7f, v0
	v_xor_b32_e32 v1, 63, v1
	v_and_b32_e32 v2, 24, v2
	v_cmp_lt_u32_e64 s2, 0xbf, v0
	s_mov_b32 s5, 0
	v_mov_b32_e32 v9, 0
	v_lshrrev_b64 v[5:6], v1, -1
	v_mov_b32_e32 v6, 0
	v_dual_mov_b32 v7, 0 :: v_dual_add_nc_u32 v12, 0, v2
	s_branch .LBB117_55
.LBB117_54:                             ;   in Loop: Header=BB117_55 Depth=1
	s_or_b32 exec_lo, exec_lo, s3
	s_waitcnt lgkmcnt(0)
	s_barrier
	buffer_gl0_inv
	ds_load_b64 v[1:2], v9 offset:8216
	v_add_co_u32 v19, s3, 0x100, v19
	s_delay_alu instid0(VALU_DEP_1) | instskip(SKIP_3) | instid1(VALU_DEP_1)
	s_xor_b32 s6, s3, -1
	v_add_nc_u32_e32 v20, 0x800, v20
	s_waitcnt lgkmcnt(0)
	v_add_co_u32 v6, s3, v1, v6
	v_add_co_ci_u32_e64 v7, s3, v2, v7, s3
	s_and_b32 s3, exec_lo, s6
	s_delay_alu instid0(SALU_CYCLE_1) | instskip(NEXT) | instid1(SALU_CYCLE_1)
	s_or_b32 s5, s3, s5
	s_and_not1_b32 exec_lo, exec_lo, s5
	s_cbranch_execz .LBB117_65
.LBB117_55:                             ; =>This Inner Loop Header: Depth=1
	ds_load_2addr_stride64_b64 v[1:4], v20 offset1:8
	s_waitcnt lgkmcnt(0)
	s_barrier
	buffer_gl0_inv
	v_cmp_gt_i64_e64 s3, s[28:29], v[1:2]
	s_delay_alu instid0(VALU_DEP_1) | instskip(SKIP_1) | instid1(SALU_CYCLE_1)
	v_and_b32_e32 v10, s3, v5
	s_bcnt1_i32_b32 s6, s3
	v_mov_b32_e32 v8, s6
	s_delay_alu instid0(VALU_DEP_2)
	v_bcnt_u32_b32 v10, v10, 0
	ds_store_b64 v12, v[8:9] offset:8192
	s_waitcnt lgkmcnt(0)
	s_barrier
	buffer_gl0_inv
	s_and_saveexec_b32 s6, s0
	s_cbranch_execnz .LBB117_60
; %bb.56:                               ;   in Loop: Header=BB117_55 Depth=1
	s_or_b32 exec_lo, exec_lo, s6
	s_and_saveexec_b32 s6, s1
	s_cbranch_execnz .LBB117_61
.LBB117_57:                             ;   in Loop: Header=BB117_55 Depth=1
	s_or_b32 exec_lo, exec_lo, s6
	s_and_saveexec_b32 s6, s2
	s_cbranch_execnz .LBB117_62
.LBB117_58:                             ;   in Loop: Header=BB117_55 Depth=1
	s_or_b32 exec_lo, exec_lo, s6
	v_ashrrev_i32_e32 v11, 31, v10
	s_and_saveexec_b32 s6, s3
	s_cbranch_execnz .LBB117_63
.LBB117_59:                             ;   in Loop: Header=BB117_55 Depth=1
	s_or_b32 exec_lo, exec_lo, s6
	s_and_saveexec_b32 s3, vcc_lo
	s_cbranch_execz .LBB117_54
	s_branch .LBB117_64
.LBB117_60:                             ;   in Loop: Header=BB117_55 Depth=1
	ds_load_b32 v8, v9 offset:8192
	s_waitcnt lgkmcnt(0)
	v_add_nc_u32_e32 v10, v8, v10
	s_or_b32 exec_lo, exec_lo, s6
	s_and_saveexec_b32 s6, s1
	s_cbranch_execz .LBB117_57
.LBB117_61:                             ;   in Loop: Header=BB117_55 Depth=1
	ds_load_b32 v8, v9 offset:8200
	s_waitcnt lgkmcnt(0)
	v_add_nc_u32_e32 v10, v10, v8
	s_or_b32 exec_lo, exec_lo, s6
	s_and_saveexec_b32 s6, s2
	s_cbranch_execz .LBB117_58
.LBB117_62:                             ;   in Loop: Header=BB117_55 Depth=1
	ds_load_b32 v8, v9 offset:8208
	s_waitcnt lgkmcnt(0)
	v_add_nc_u32_e32 v10, v10, v8
	s_or_b32 exec_lo, exec_lo, s6
	s_delay_alu instid0(VALU_DEP_1)
	v_ashrrev_i32_e32 v11, 31, v10
	s_and_saveexec_b32 s6, s3
	s_cbranch_execz .LBB117_59
.LBB117_63:                             ;   in Loop: Header=BB117_55 Depth=1
	v_add3_u32 v8, v6, -1, v10
	s_delay_alu instid0(VALU_DEP_1)
	v_lshl_add_u32 v8, v8, 3, 0
	ds_store_2addr_stride64_b64 v8, v[1:2], v[3:4] offset1:8
	s_or_b32 exec_lo, exec_lo, s6
	s_and_saveexec_b32 s3, vcc_lo
	s_cbranch_execz .LBB117_54
.LBB117_64:                             ;   in Loop: Header=BB117_55 Depth=1
	ds_store_b64 v9, v[10:11] offset:8216
	s_branch .LBB117_54
.LBB117_65:
	s_or_b32 exec_lo, exec_lo, s4
	s_lshl_b64 s[0:1], s[30:31], 3
	v_mov_b32_e32 v1, 0
	s_add_u32 s0, s10, s0
	s_addc_u32 s1, s11, s1
	s_mov_b32 s6, exec_lo
	s_load_b128 s[0:3], s[0:1], 0x0
	s_waitcnt lgkmcnt(0)
	s_sub_u32 s4, s2, s0
	s_subb_u32 s5, s3, s1
	s_delay_alu instid0(SALU_CYCLE_1)
	v_cmpx_gt_i64_e64 s[4:5], v[0:1]
	s_cbranch_execz .LBB117_75
; %bb.66:
	s_sub_u32 s8, s0, s22
	s_subb_u32 s9, s1, 0
	s_and_b32 s6, s4, 7
	s_sub_u32 s0, s0, s2
	s_subb_u32 s1, s1, s3
	s_mov_b32 s7, 0
	v_cmp_lt_u64_e64 s12, s[0:1], -7
	s_and_b32 s2, s4, -8
	s_cmp_lg_u64 s[6:7], 0
	s_mov_b32 s3, s5
	s_cselect_b32 s13, -1, 0
	s_mov_b32 s14, s7
	s_branch .LBB117_68
.LBB117_67:                             ;   in Loop: Header=BB117_68 Depth=1
	s_waitcnt lgkmcnt(0)
	v_add_co_u32 v2, vcc_lo, v2, s22
	v_lshlrev_b64 v[6:7], 3, v[6:7]
	v_add_co_ci_u32_e32 v3, vcc_lo, 0, v3, vcc_lo
	v_add_co_u32 v0, vcc_lo, 0x100, v0
	v_add_co_ci_u32_e32 v1, vcc_lo, 0, v1, vcc_lo
	s_delay_alu instid0(VALU_DEP_4) | instskip(SKIP_1) | instid1(VALU_DEP_3)
	v_add_co_u32 v8, vcc_lo, s24, v6
	v_add_co_ci_u32_e32 v9, vcc_lo, s25, v7, vcc_lo
	v_cmp_le_i64_e32 vcc_lo, s[4:5], v[0:1]
	v_add_co_u32 v6, s0, s26, v6
	s_delay_alu instid0(VALU_DEP_1) | instskip(SKIP_3) | instid1(SALU_CYCLE_1)
	v_add_co_ci_u32_e64 v7, s0, s27, v7, s0
	global_store_b64 v[8:9], v[2:3], off
	global_store_b64 v[6:7], v[4:5], off
	s_or_b32 s14, vcc_lo, s14
	s_and_not1_b32 exec_lo, exec_lo, s14
	s_cbranch_execz .LBB117_75
.LBB117_68:                             ; =>This Loop Header: Depth=1
                                        ;     Child Loop BB117_70 Depth 2
                                        ;     Child Loop BB117_74 Depth 2
	v_lshl_add_u32 v2, v0, 3, 0
	v_dual_mov_b32 v6, s8 :: v_dual_mov_b32 v7, s9
	s_and_not1_b32 vcc_lo, exec_lo, s12
	s_mov_b64 s[0:1], 0
	ds_load_2addr_stride64_b64 v[2:5], v2 offset1:8
	s_cbranch_vccnz .LBB117_72
; %bb.69:                               ;   in Loop: Header=BB117_68 Depth=1
	v_dual_mov_b32 v6, s8 :: v_dual_mov_b32 v7, s9
	s_mov_b64 s[10:11], 0
	s_mov_b32 s1, 0
.LBB117_70:                             ;   Parent Loop BB117_68 Depth=1
                                        ; =>  This Inner Loop Header: Depth=2
	s_delay_alu instid0(SALU_CYCLE_1)
	v_mov_b32_e32 v20, s1
	s_add_u32 s10, s10, 8
	s_addc_u32 s11, s11, 0
	s_add_i32 s1, s1, 64
	s_cmp_eq_u64 s[2:3], s[10:11]
	ds_load_2addr_b64 v[8:11], v20 offset1:1
	ds_load_2addr_b64 v[12:15], v20 offset0:2 offset1:3
	ds_load_2addr_b64 v[16:19], v20 offset0:4 offset1:5
	;; [unrolled: 1-line block ×3, first 2 shown]
	s_waitcnt lgkmcnt(3)
	v_cmp_gt_i64_e32 vcc_lo, v[2:3], v[8:9]
	v_cndmask_b32_e64 v8, 0, 1, vcc_lo
	v_cmp_gt_i64_e32 vcc_lo, v[2:3], v[10:11]
	v_cndmask_b32_e64 v9, 0, 1, vcc_lo
	s_waitcnt lgkmcnt(2)
	v_cmp_gt_i64_e32 vcc_lo, v[2:3], v[12:13]
	v_cndmask_b32_e64 v10, 0, 1, vcc_lo
	v_cmp_gt_i64_e32 vcc_lo, v[2:3], v[14:15]
	v_cndmask_b32_e64 v11, 0, 1, vcc_lo
	s_waitcnt lgkmcnt(1)
	v_cmp_gt_i64_e32 vcc_lo, v[2:3], v[16:17]
	v_cndmask_b32_e64 v12, 0, 1, vcc_lo
	v_add_co_u32 v6, vcc_lo, v6, v8
	v_add_co_ci_u32_e32 v7, vcc_lo, 0, v7, vcc_lo
	v_cmp_gt_i64_e32 vcc_lo, v[2:3], v[18:19]
	s_delay_alu instid0(VALU_DEP_3) | instskip(NEXT) | instid1(VALU_DEP_1)
	v_add_co_u32 v6, s0, v6, v9
	v_add_co_ci_u32_e64 v7, s0, 0, v7, s0
	v_cndmask_b32_e64 v8, 0, 1, vcc_lo
	s_delay_alu instid0(VALU_DEP_3) | instskip(NEXT) | instid1(VALU_DEP_3)
	v_add_co_u32 v6, vcc_lo, v6, v10
	v_add_co_ci_u32_e32 v7, vcc_lo, 0, v7, vcc_lo
	s_waitcnt lgkmcnt(0)
	v_cmp_gt_i64_e32 vcc_lo, v[2:3], v[20:21]
	s_delay_alu instid0(VALU_DEP_3) | instskip(NEXT) | instid1(VALU_DEP_1)
	v_add_co_u32 v6, s0, v6, v11
	v_add_co_ci_u32_e64 v7, s0, 0, v7, s0
	v_cndmask_b32_e64 v9, 0, 1, vcc_lo
	s_delay_alu instid0(VALU_DEP_3) | instskip(NEXT) | instid1(VALU_DEP_3)
	v_add_co_u32 v6, vcc_lo, v6, v12
	v_add_co_ci_u32_e32 v7, vcc_lo, 0, v7, vcc_lo
	v_cmp_gt_i64_e32 vcc_lo, v[2:3], v[22:23]
	s_delay_alu instid0(VALU_DEP_3) | instskip(NEXT) | instid1(VALU_DEP_1)
	v_add_co_u32 v6, s0, v6, v8
	v_add_co_ci_u32_e64 v7, s0, 0, v7, s0
	v_cndmask_b32_e64 v8, 0, 1, vcc_lo
	s_delay_alu instid0(VALU_DEP_3) | instskip(NEXT) | instid1(VALU_DEP_3)
	v_add_co_u32 v6, vcc_lo, v6, v9
	v_add_co_ci_u32_e32 v7, vcc_lo, 0, v7, vcc_lo
	s_delay_alu instid0(VALU_DEP_2) | instskip(NEXT) | instid1(VALU_DEP_2)
	v_add_co_u32 v6, vcc_lo, v6, v8
	v_add_co_ci_u32_e32 v7, vcc_lo, 0, v7, vcc_lo
	s_cbranch_scc0 .LBB117_70
; %bb.71:                               ;   in Loop: Header=BB117_68 Depth=1
	s_mov_b64 s[0:1], s[2:3]
.LBB117_72:                             ;   in Loop: Header=BB117_68 Depth=1
	s_and_not1_b32 vcc_lo, exec_lo, s13
	s_cbranch_vccnz .LBB117_67
; %bb.73:                               ;   in Loop: Header=BB117_68 Depth=1
	s_lshl_b32 s0, s0, 3
	s_delay_alu instid0(SALU_CYCLE_1)
	s_add_i32 s10, s0, 0
	s_mov_b64 s[0:1], s[6:7]
.LBB117_74:                             ;   Parent Loop BB117_68 Depth=1
                                        ; =>  This Inner Loop Header: Depth=2
	v_mov_b32_e32 v8, s10
	s_add_i32 s10, s10, 8
	s_add_u32 s0, s0, -1
	s_addc_u32 s1, s1, -1
	s_delay_alu instid0(SALU_CYCLE_1) | instskip(SKIP_4) | instid1(VALU_DEP_1)
	s_cmp_lg_u64 s[0:1], 0
	ds_load_b64 v[8:9], v8
	s_waitcnt lgkmcnt(0)
	v_cmp_gt_i64_e32 vcc_lo, v[2:3], v[8:9]
	v_cndmask_b32_e64 v8, 0, 1, vcc_lo
	v_add_co_u32 v6, vcc_lo, v6, v8
	v_add_co_ci_u32_e32 v7, vcc_lo, 0, v7, vcc_lo
	s_cbranch_scc1 .LBB117_74
	s_branch .LBB117_67
.LBB117_75:
	s_nop 0
	s_sendmsg sendmsg(MSG_DEALLOC_VGPRS)
	s_endpgm
	.section	.rodata,"a",@progbits
	.p2align	6, 0x0
	.amdhsa_kernel _ZN9rocsparseL26csrgemm_fill_block_per_rowILj256ELj32ELj512ELj137ELj64ElldEEvT5_PKS1_S3_NS_24const_host_device_scalarIT6_EEPKT4_S3_PKS5_S9_S3_SB_S6_S9_S3_SB_S9_PS1_PS5_21rocsparse_index_base_SE_SE_SE_bbb
		.amdhsa_group_segment_fixed_size 0
		.amdhsa_private_segment_fixed_size 0
		.amdhsa_kernarg_size 156
		.amdhsa_user_sgpr_count 15
		.amdhsa_user_sgpr_dispatch_ptr 0
		.amdhsa_user_sgpr_queue_ptr 0
		.amdhsa_user_sgpr_kernarg_segment_ptr 1
		.amdhsa_user_sgpr_dispatch_id 0
		.amdhsa_user_sgpr_private_segment_size 0
		.amdhsa_wavefront_size32 1
		.amdhsa_uses_dynamic_stack 0
		.amdhsa_enable_private_segment 0
		.amdhsa_system_sgpr_workgroup_id_x 1
		.amdhsa_system_sgpr_workgroup_id_y 0
		.amdhsa_system_sgpr_workgroup_id_z 0
		.amdhsa_system_sgpr_workgroup_info 0
		.amdhsa_system_vgpr_workitem_id 0
		.amdhsa_next_free_vgpr 27
		.amdhsa_next_free_sgpr 45
		.amdhsa_reserve_vcc 1
		.amdhsa_float_round_mode_32 0
		.amdhsa_float_round_mode_16_64 0
		.amdhsa_float_denorm_mode_32 3
		.amdhsa_float_denorm_mode_16_64 3
		.amdhsa_dx10_clamp 1
		.amdhsa_ieee_mode 1
		.amdhsa_fp16_overflow 0
		.amdhsa_workgroup_processor_mode 1
		.amdhsa_memory_ordered 1
		.amdhsa_forward_progress 0
		.amdhsa_shared_vgpr_count 0
		.amdhsa_exception_fp_ieee_invalid_op 0
		.amdhsa_exception_fp_denorm_src 0
		.amdhsa_exception_fp_ieee_div_zero 0
		.amdhsa_exception_fp_ieee_overflow 0
		.amdhsa_exception_fp_ieee_underflow 0
		.amdhsa_exception_fp_ieee_inexact 0
		.amdhsa_exception_int_div_zero 0
	.end_amdhsa_kernel
	.section	.text._ZN9rocsparseL26csrgemm_fill_block_per_rowILj256ELj32ELj512ELj137ELj64ElldEEvT5_PKS1_S3_NS_24const_host_device_scalarIT6_EEPKT4_S3_PKS5_S9_S3_SB_S6_S9_S3_SB_S9_PS1_PS5_21rocsparse_index_base_SE_SE_SE_bbb,"axG",@progbits,_ZN9rocsparseL26csrgemm_fill_block_per_rowILj256ELj32ELj512ELj137ELj64ElldEEvT5_PKS1_S3_NS_24const_host_device_scalarIT6_EEPKT4_S3_PKS5_S9_S3_SB_S6_S9_S3_SB_S9_PS1_PS5_21rocsparse_index_base_SE_SE_SE_bbb,comdat
.Lfunc_end117:
	.size	_ZN9rocsparseL26csrgemm_fill_block_per_rowILj256ELj32ELj512ELj137ELj64ElldEEvT5_PKS1_S3_NS_24const_host_device_scalarIT6_EEPKT4_S3_PKS5_S9_S3_SB_S6_S9_S3_SB_S9_PS1_PS5_21rocsparse_index_base_SE_SE_SE_bbb, .Lfunc_end117-_ZN9rocsparseL26csrgemm_fill_block_per_rowILj256ELj32ELj512ELj137ELj64ElldEEvT5_PKS1_S3_NS_24const_host_device_scalarIT6_EEPKT4_S3_PKS5_S9_S3_SB_S6_S9_S3_SB_S9_PS1_PS5_21rocsparse_index_base_SE_SE_SE_bbb
                                        ; -- End function
	.section	.AMDGPU.csdata,"",@progbits
; Kernel info:
; codeLenInByte = 3124
; NumSgprs: 47
; NumVgprs: 27
; ScratchSize: 0
; MemoryBound: 0
; FloatMode: 240
; IeeeMode: 1
; LDSByteSize: 0 bytes/workgroup (compile time only)
; SGPRBlocks: 5
; VGPRBlocks: 3
; NumSGPRsForWavesPerEU: 47
; NumVGPRsForWavesPerEU: 27
; Occupancy: 16
; WaveLimiterHint : 1
; COMPUTE_PGM_RSRC2:SCRATCH_EN: 0
; COMPUTE_PGM_RSRC2:USER_SGPR: 15
; COMPUTE_PGM_RSRC2:TRAP_HANDLER: 0
; COMPUTE_PGM_RSRC2:TGID_X_EN: 1
; COMPUTE_PGM_RSRC2:TGID_Y_EN: 0
; COMPUTE_PGM_RSRC2:TGID_Z_EN: 0
; COMPUTE_PGM_RSRC2:TIDIG_COMP_CNT: 0
	.section	.text._ZN9rocsparseL26csrgemm_fill_block_per_rowILj512ELj32ELj1024ELj137ELj32ElldEEvT5_PKS1_S3_NS_24const_host_device_scalarIT6_EEPKT4_S3_PKS5_S9_S3_SB_S6_S9_S3_SB_S9_PS1_PS5_21rocsparse_index_base_SE_SE_SE_bbb,"axG",@progbits,_ZN9rocsparseL26csrgemm_fill_block_per_rowILj512ELj32ELj1024ELj137ELj32ElldEEvT5_PKS1_S3_NS_24const_host_device_scalarIT6_EEPKT4_S3_PKS5_S9_S3_SB_S6_S9_S3_SB_S9_PS1_PS5_21rocsparse_index_base_SE_SE_SE_bbb,comdat
	.globl	_ZN9rocsparseL26csrgemm_fill_block_per_rowILj512ELj32ELj1024ELj137ELj32ElldEEvT5_PKS1_S3_NS_24const_host_device_scalarIT6_EEPKT4_S3_PKS5_S9_S3_SB_S6_S9_S3_SB_S9_PS1_PS5_21rocsparse_index_base_SE_SE_SE_bbb ; -- Begin function _ZN9rocsparseL26csrgemm_fill_block_per_rowILj512ELj32ELj1024ELj137ELj32ElldEEvT5_PKS1_S3_NS_24const_host_device_scalarIT6_EEPKT4_S3_PKS5_S9_S3_SB_S6_S9_S3_SB_S9_PS1_PS5_21rocsparse_index_base_SE_SE_SE_bbb
	.p2align	8
	.type	_ZN9rocsparseL26csrgemm_fill_block_per_rowILj512ELj32ELj1024ELj137ELj32ElldEEvT5_PKS1_S3_NS_24const_host_device_scalarIT6_EEPKT4_S3_PKS5_S9_S3_SB_S6_S9_S3_SB_S9_PS1_PS5_21rocsparse_index_base_SE_SE_SE_bbb,@function
_ZN9rocsparseL26csrgemm_fill_block_per_rowILj512ELj32ELj1024ELj137ELj32ElldEEvT5_PKS1_S3_NS_24const_host_device_scalarIT6_EEPKT4_S3_PKS5_S9_S3_SB_S6_S9_S3_SB_S9_PS1_PS5_21rocsparse_index_base_SE_SE_SE_bbb: ; @_ZN9rocsparseL26csrgemm_fill_block_per_rowILj512ELj32ELj1024ELj137ELj32ElldEEvT5_PKS1_S3_NS_24const_host_device_scalarIT6_EEPKT4_S3_PKS5_S9_S3_SB_S6_S9_S3_SB_S9_PS1_PS5_21rocsparse_index_base_SE_SE_SE_bbb
; %bb.0:
	s_clause 0x3
	s_load_b32 s3, s[0:1], 0x98
	s_load_b64 s[4:5], s[0:1], 0x18
	s_load_b128 s[20:23], s[0:1], 0x88
	s_load_b64 s[34:35], s[0:1], 0x50
	s_mov_b32 s2, s15
	s_waitcnt lgkmcnt(0)
	s_and_b32 s6, 1, s3
	s_bitcmp1_b32 s3, 16
	s_cselect_b32 s41, -1, 0
	s_cmp_eq_u32 s6, 1
	s_cselect_b32 s40, -1, 0
	s_delay_alu instid0(SALU_CYCLE_1)
	s_and_b32 s6, s40, exec_lo
	s_cselect_b32 s7, s5, 0
	s_cselect_b32 s6, s4, 0
	s_xor_b32 s8, s40, -1
	v_dual_mov_b32 v3, s6 :: v_dual_mov_b32 v4, s7
	s_or_b32 s8, s8, s41
	s_delay_alu instid0(SALU_CYCLE_1)
	s_and_b32 vcc_lo, exec_lo, s8
	s_cbranch_vccnz .LBB118_2
; %bb.1:
	v_dual_mov_b32 v1, s4 :: v_dual_mov_b32 v2, s5
	flat_load_b64 v[3:4], v[1:2]
.LBB118_2:
	s_clause 0x4
	s_load_b128 s[24:27], s[0:1], 0x78
	s_load_b256 s[12:19], s[0:1], 0x58
	s_load_b128 s[28:31], s[0:1], 0x40
	s_load_b128 s[36:39], s[0:1], 0x8
	s_load_b256 s[4:11], s[0:1], 0x20
	s_bitcmp1_b32 s3, 8
	s_cselect_b32 s33, -1, 0
	s_delay_alu instid0(SALU_CYCLE_1)
	s_and_b32 s3, s33, exec_lo
	s_cselect_b32 s43, s35, 0
	s_cselect_b32 s42, s34, 0
	s_xor_b32 s3, s33, -1
	v_dual_mov_b32 v1, s42 :: v_dual_mov_b32 v2, s43
	s_or_b32 s3, s3, s41
	s_delay_alu instid0(SALU_CYCLE_1)
	s_and_b32 vcc_lo, exec_lo, s3
	s_cbranch_vccnz .LBB118_4
; %bb.3:
	v_dual_mov_b32 v1, s34 :: v_dual_mov_b32 v2, s35
	flat_load_b64 v[1:2], v[1:2]
.LBB118_4:
	s_load_b64 s[34:35], s[0:1], 0x0
	v_mov_b32_e32 v5, 0
	v_lshl_add_u32 v19, v0, 3, 0
	v_or_b32_e32 v20, 0xfffffe00, v0
	s_mov_b32 s0, 0
	s_delay_alu instid0(VALU_DEP_1)
	v_dual_mov_b32 v9, v19 :: v_dual_mov_b32 v10, v20
	s_waitcnt lgkmcnt(0)
	v_dual_mov_b32 v7, s34 :: v_dual_mov_b32 v8, s35
	v_mov_b32_e32 v6, v5
.LBB118_5:                              ; =>This Inner Loop Header: Depth=1
	s_delay_alu instid0(VALU_DEP_3) | instskip(NEXT) | instid1(VALU_DEP_1)
	v_add_co_u32 v10, s1, 0x200, v10
	s_xor_b32 s1, s1, -1
	ds_store_2addr_stride64_b64 v9, v[7:8], v[5:6] offset1:16
	v_add_nc_u32_e32 v9, 0x1000, v9
	s_and_b32 s1, exec_lo, s1
	s_delay_alu instid0(SALU_CYCLE_1) | instskip(NEXT) | instid1(SALU_CYCLE_1)
	s_or_b32 s0, s1, s0
	s_and_not1_b32 exec_lo, exec_lo, s0
	s_cbranch_execnz .LBB118_5
; %bb.6:
	s_or_b32 exec_lo, exec_lo, s0
	s_waitcnt vmcnt(0) lgkmcnt(0)
	s_barrier
	buffer_gl0_inv
	s_load_b64 s[0:1], s[36:37], 0x0
	s_mov_b32 s3, 0
	v_lshrrev_b32_e32 v21, 5, v0
	s_waitcnt lgkmcnt(0)
	s_lshl_b64 s[0:1], s[0:1], 3
	s_delay_alu instid0(SALU_CYCLE_1) | instskip(SKIP_2) | instid1(SALU_CYCLE_1)
	s_add_u32 s36, s38, s0
	s_addc_u32 s37, s39, s1
	s_lshl_b64 s[0:1], s[2:3], 3
	s_add_u32 s0, s36, s0
	s_addc_u32 s1, s37, s1
	s_and_b32 vcc_lo, exec_lo, s40
	s_load_b64 s[36:37], s[0:1], 0x0
	s_cbranch_vccz .LBB118_30
; %bb.7:
	s_waitcnt lgkmcnt(0)
	s_lshl_b64 s[0:1], s[36:37], 3
	s_delay_alu instid0(SALU_CYCLE_1)
	s_add_u32 s0, s4, s0
	s_addc_u32 s1, s5, s1
	v_sub_co_u32 v5, s4, v21, s20
	s_load_b128 s[0:3], s[0:1], 0x0
	v_sub_co_ci_u32_e64 v6, null, 0, 0, s4
	s_waitcnt lgkmcnt(0)
	s_delay_alu instid0(VALU_DEP_2) | instskip(NEXT) | instid1(VALU_DEP_2)
	v_add_co_u32 v5, vcc_lo, s0, v5
	v_add_co_ci_u32_e32 v6, vcc_lo, s1, v6, vcc_lo
	s_sub_u32 s0, s2, s20
	s_subb_u32 s1, s3, 0
	s_mov_b32 s2, exec_lo
	s_delay_alu instid0(VALU_DEP_1)
	v_cmpx_gt_i64_e64 s[0:1], v[5:6]
	s_cbranch_execz .LBB118_29
; %bb.8:
	v_and_b32_e32 v7, 31, v0
	s_mov_b32 s4, s21
	s_delay_alu instid0(VALU_DEP_1) | instskip(NEXT) | instid1(VALU_DEP_1)
	v_sub_co_u32 v22, s3, v7, s21
	v_sub_co_ci_u32_e64 v23, null, 0, 0, s3
	s_mov_b32 s3, 0
	s_branch .LBB118_10
.LBB118_9:                              ;   in Loop: Header=BB118_10 Depth=1
	s_or_b32 exec_lo, exec_lo, s5
	v_add_co_u32 v5, vcc_lo, v5, 16
	v_add_co_ci_u32_e32 v6, vcc_lo, 0, v6, vcc_lo
	s_delay_alu instid0(VALU_DEP_1) | instskip(SKIP_1) | instid1(SALU_CYCLE_1)
	v_cmp_le_i64_e32 vcc_lo, s[0:1], v[5:6]
	s_or_b32 s3, vcc_lo, s3
	s_and_not1_b32 exec_lo, exec_lo, s3
	s_cbranch_execz .LBB118_29
.LBB118_10:                             ; =>This Loop Header: Depth=1
                                        ;     Child Loop BB118_13 Depth 2
                                        ;       Child Loop BB118_15 Depth 3
                                        ;         Child Loop BB118_21 Depth 4
                                        ;         Child Loop BB118_27 Depth 4
	v_lshlrev_b64 v[11:12], 3, v[5:6]
	s_mov_b32 s5, exec_lo
	s_delay_alu instid0(VALU_DEP_1) | instskip(NEXT) | instid1(VALU_DEP_2)
	v_add_co_u32 v7, vcc_lo, s6, v11
	v_add_co_ci_u32_e32 v8, vcc_lo, s7, v12, vcc_lo
	global_load_b64 v[7:8], v[7:8], off
	s_waitcnt vmcnt(0)
	v_sub_co_u32 v7, vcc_lo, v7, s20
	v_subrev_co_ci_u32_e32 v8, vcc_lo, 0, v8, vcc_lo
	s_delay_alu instid0(VALU_DEP_1) | instskip(NEXT) | instid1(VALU_DEP_1)
	v_lshlrev_b64 v[7:8], 3, v[7:8]
	v_add_co_u32 v7, vcc_lo, s10, v7
	s_delay_alu instid0(VALU_DEP_2)
	v_add_co_ci_u32_e32 v8, vcc_lo, s11, v8, vcc_lo
	global_load_b128 v[13:16], v[7:8], off
	s_waitcnt vmcnt(0)
	v_sub_co_u32 v7, vcc_lo, v15, s4
	v_subrev_co_ci_u32_e32 v8, vcc_lo, 0, v16, vcc_lo
	v_add_co_u32 v9, vcc_lo, v13, v22
	v_add_co_ci_u32_e32 v10, vcc_lo, v14, v23, vcc_lo
	s_delay_alu instid0(VALU_DEP_1)
	v_cmpx_lt_i64_e64 v[9:10], v[7:8]
	s_cbranch_execz .LBB118_9
; %bb.11:                               ;   in Loop: Header=BB118_10 Depth=1
	v_add_co_u32 v11, vcc_lo, s8, v11
	v_add_co_ci_u32_e32 v12, vcc_lo, s9, v12, vcc_lo
	s_mov_b32 s21, 0
	global_load_b64 v[11:12], v[11:12], off
	s_waitcnt vmcnt(0)
	v_mul_f64 v[11:12], v[3:4], v[11:12]
	s_branch .LBB118_13
.LBB118_12:                             ;   in Loop: Header=BB118_13 Depth=2
	s_or_b32 exec_lo, exec_lo, s38
	v_add_co_u32 v9, vcc_lo, v9, 32
	v_add_co_ci_u32_e32 v10, vcc_lo, 0, v10, vcc_lo
	s_delay_alu instid0(VALU_DEP_1) | instskip(SKIP_1) | instid1(SALU_CYCLE_1)
	v_cmp_ge_i64_e32 vcc_lo, v[9:10], v[7:8]
	s_or_b32 s21, vcc_lo, s21
	s_and_not1_b32 exec_lo, exec_lo, s21
	s_cbranch_execz .LBB118_9
.LBB118_13:                             ;   Parent Loop BB118_10 Depth=1
                                        ; =>  This Loop Header: Depth=2
                                        ;       Child Loop BB118_15 Depth 3
                                        ;         Child Loop BB118_21 Depth 4
                                        ;         Child Loop BB118_27 Depth 4
	v_lshlrev_b64 v[13:14], 3, v[9:10]
	s_mov_b32 s38, 0
	s_delay_alu instid0(VALU_DEP_1) | instskip(NEXT) | instid1(VALU_DEP_2)
	v_add_co_u32 v15, vcc_lo, s30, v13
	v_add_co_ci_u32_e32 v16, vcc_lo, s31, v14, vcc_lo
	v_add_co_u32 v13, vcc_lo, s28, v13
	v_add_co_ci_u32_e32 v14, vcc_lo, s29, v14, vcc_lo
	global_load_b64 v[15:16], v[15:16], off
	global_load_b64 v[17:18], v[13:14], off
	s_waitcnt vmcnt(1)
	v_mul_f64 v[13:14], v[11:12], v[15:16]
	s_waitcnt vmcnt(0)
	v_sub_co_u32 v15, vcc_lo, v17, s4
	v_subrev_co_ci_u32_e32 v16, vcc_lo, 0, v18, vcc_lo
	s_delay_alu instid0(VALU_DEP_2) | instskip(NEXT) | instid1(VALU_DEP_1)
	v_mul_lo_u32 v17, 0x89, v15
	v_and_b32_e32 v24, 0x3ff, v17
	s_branch .LBB118_15
.LBB118_14:                             ;   in Loop: Header=BB118_15 Depth=3
	s_or_b32 exec_lo, exec_lo, s39
	s_xor_b32 s39, s40, -1
	s_delay_alu instid0(SALU_CYCLE_1) | instskip(NEXT) | instid1(SALU_CYCLE_1)
	s_and_b32 s39, exec_lo, s39
	s_or_b32 s38, s39, s38
	s_delay_alu instid0(SALU_CYCLE_1)
	s_and_not1_b32 exec_lo, exec_lo, s38
	s_cbranch_execz .LBB118_12
.LBB118_15:                             ;   Parent Loop BB118_10 Depth=1
                                        ;     Parent Loop BB118_13 Depth=2
                                        ; =>    This Loop Header: Depth=3
                                        ;         Child Loop BB118_21 Depth 4
                                        ;         Child Loop BB118_27 Depth 4
	s_delay_alu instid0(VALU_DEP_1)
	v_lshl_add_u32 v25, v24, 3, 0
	s_mov_b32 s39, exec_lo
                                        ; implicit-def: $sgpr40
	ds_load_b64 v[17:18], v25
	s_waitcnt lgkmcnt(0)
	v_cmpx_ne_u64_e64 v[17:18], v[15:16]
	s_xor_b32 s39, exec_lo, s39
	s_cbranch_execz .LBB118_25
; %bb.16:                               ;   in Loop: Header=BB118_15 Depth=3
	s_mov_b32 s41, exec_lo
                                        ; implicit-def: $sgpr40
	v_cmpx_ne_u64_e64 s[34:35], v[17:18]
	s_xor_b32 s41, exec_lo, s41
; %bb.17:                               ;   in Loop: Header=BB118_15 Depth=3
	v_add_nc_u32_e32 v17, 1, v24
	s_mov_b32 s40, -1
                                        ; implicit-def: $vgpr25
	s_delay_alu instid0(VALU_DEP_1)
	v_and_b32_e32 v24, 0x3ff, v17
; %bb.18:                               ;   in Loop: Header=BB118_15 Depth=3
	s_and_not1_saveexec_b32 s41, s41
	s_cbranch_execz .LBB118_24
; %bb.19:                               ;   in Loop: Header=BB118_15 Depth=3
	v_dual_mov_b32 v17, s34 :: v_dual_mov_b32 v18, s35
	s_mov_b32 s43, -1
	s_mov_b32 s42, exec_lo
	ds_cmpstore_rtn_b64 v[17:18], v25, v[15:16], v[17:18]
	s_waitcnt lgkmcnt(0)
	v_cmpx_eq_u64_e64 s[34:35], v[17:18]
	s_cbranch_execz .LBB118_23
; %bb.20:                               ;   in Loop: Header=BB118_15 Depth=3
	ds_load_b64 v[17:18], v25 offset:8192
	s_mov_b32 s43, 0
.LBB118_21:                             ;   Parent Loop BB118_10 Depth=1
                                        ;     Parent Loop BB118_13 Depth=2
                                        ;       Parent Loop BB118_15 Depth=3
                                        ; =>      This Inner Loop Header: Depth=4
	s_waitcnt lgkmcnt(0)
	v_add_f64 v[26:27], v[17:18], v[13:14]
	ds_cmpstore_rtn_b64 v[26:27], v25, v[26:27], v[17:18] offset:8192
	s_waitcnt lgkmcnt(0)
	v_cmp_eq_u64_e32 vcc_lo, v[26:27], v[17:18]
	v_dual_mov_b32 v17, v26 :: v_dual_mov_b32 v18, v27
	s_or_b32 s43, vcc_lo, s43
	s_delay_alu instid0(SALU_CYCLE_1)
	s_and_not1_b32 exec_lo, exec_lo, s43
	s_cbranch_execnz .LBB118_21
; %bb.22:                               ;   in Loop: Header=BB118_15 Depth=3
	s_or_b32 exec_lo, exec_lo, s43
	s_delay_alu instid0(SALU_CYCLE_1)
	s_xor_b32 s43, exec_lo, -1
.LBB118_23:                             ;   in Loop: Header=BB118_15 Depth=3
	s_or_b32 exec_lo, exec_lo, s42
	s_delay_alu instid0(SALU_CYCLE_1) | instskip(SKIP_1) | instid1(SALU_CYCLE_1)
	s_and_not1_b32 s40, s40, exec_lo
	s_and_b32 s42, s43, exec_lo
	s_or_b32 s40, s40, s42
.LBB118_24:                             ;   in Loop: Header=BB118_15 Depth=3
	s_or_b32 exec_lo, exec_lo, s41
	s_delay_alu instid0(SALU_CYCLE_1)
	s_and_b32 s40, s40, exec_lo
                                        ; implicit-def: $vgpr25
.LBB118_25:                             ;   in Loop: Header=BB118_15 Depth=3
	s_and_not1_saveexec_b32 s39, s39
	s_cbranch_execz .LBB118_14
; %bb.26:                               ;   in Loop: Header=BB118_15 Depth=3
	ds_load_b64 v[17:18], v25 offset:8192
	s_mov_b32 s41, 0
.LBB118_27:                             ;   Parent Loop BB118_10 Depth=1
                                        ;     Parent Loop BB118_13 Depth=2
                                        ;       Parent Loop BB118_15 Depth=3
                                        ; =>      This Inner Loop Header: Depth=4
	s_waitcnt lgkmcnt(0)
	v_add_f64 v[26:27], v[17:18], v[13:14]
	ds_cmpstore_rtn_b64 v[26:27], v25, v[26:27], v[17:18] offset:8192
	s_waitcnt lgkmcnt(0)
	v_cmp_eq_u64_e32 vcc_lo, v[26:27], v[17:18]
	v_dual_mov_b32 v17, v26 :: v_dual_mov_b32 v18, v27
	s_or_b32 s41, vcc_lo, s41
	s_delay_alu instid0(SALU_CYCLE_1)
	s_and_not1_b32 exec_lo, exec_lo, s41
	s_cbranch_execnz .LBB118_27
; %bb.28:                               ;   in Loop: Header=BB118_15 Depth=3
	s_or_b32 exec_lo, exec_lo, s41
	s_delay_alu instid0(SALU_CYCLE_1)
	s_and_not1_b32 s40, s40, exec_lo
	s_branch .LBB118_14
.LBB118_29:
	s_or_b32 exec_lo, exec_lo, s2
.LBB118_30:
	s_delay_alu instid0(SALU_CYCLE_1)
	s_and_not1_b32 vcc_lo, exec_lo, s33
	s_cbranch_vccnz .LBB118_51
; %bb.31:
	s_waitcnt lgkmcnt(0)
	s_lshl_b64 s[0:1], s[36:37], 3
	v_sub_co_u32 v3, s4, v0, s23
	s_add_u32 s0, s12, s0
	s_addc_u32 s1, s13, s1
	v_sub_co_ci_u32_e64 v4, null, 0, 0, s4
	s_load_b128 s[0:3], s[0:1], 0x0
	s_waitcnt lgkmcnt(0)
	v_add_co_u32 v3, vcc_lo, s0, v3
	s_delay_alu instid0(VALU_DEP_2)
	v_add_co_ci_u32_e32 v4, vcc_lo, s1, v4, vcc_lo
	s_sub_u32 s0, s2, s23
	s_subb_u32 s1, s3, 0
	s_mov_b32 s2, 0
	s_mov_b32 s3, exec_lo
	v_cmpx_gt_i64_e64 s[0:1], v[3:4]
	s_cbranch_execz .LBB118_50
; %bb.32:
	s_mov_b32 s4, s23
	s_branch .LBB118_34
.LBB118_33:                             ;   in Loop: Header=BB118_34 Depth=1
	s_or_b32 exec_lo, exec_lo, s5
	v_add_co_u32 v3, vcc_lo, 0x200, v3
	v_add_co_ci_u32_e32 v4, vcc_lo, 0, v4, vcc_lo
	s_delay_alu instid0(VALU_DEP_1) | instskip(SKIP_1) | instid1(SALU_CYCLE_1)
	v_cmp_le_i64_e32 vcc_lo, s[0:1], v[3:4]
	s_or_b32 s2, vcc_lo, s2
	s_and_not1_b32 exec_lo, exec_lo, s2
	s_cbranch_execz .LBB118_50
.LBB118_34:                             ; =>This Loop Header: Depth=1
                                        ;     Child Loop BB118_36 Depth 2
                                        ;       Child Loop BB118_42 Depth 3
                                        ;       Child Loop BB118_48 Depth 3
	v_lshlrev_b64 v[5:6], 3, v[3:4]
	s_mov_b32 s5, 0
	s_delay_alu instid0(VALU_DEP_1) | instskip(NEXT) | instid1(VALU_DEP_2)
	v_add_co_u32 v7, vcc_lo, s16, v5
	v_add_co_ci_u32_e32 v8, vcc_lo, s17, v6, vcc_lo
	v_add_co_u32 v5, vcc_lo, s14, v5
	v_add_co_ci_u32_e32 v6, vcc_lo, s15, v6, vcc_lo
	global_load_b64 v[7:8], v[7:8], off
	global_load_b64 v[9:10], v[5:6], off
	s_waitcnt vmcnt(1)
	v_mul_f64 v[5:6], v[1:2], v[7:8]
	s_waitcnt vmcnt(0)
	v_sub_co_u32 v7, vcc_lo, v9, s4
	v_subrev_co_ci_u32_e32 v8, vcc_lo, 0, v10, vcc_lo
	s_delay_alu instid0(VALU_DEP_2) | instskip(NEXT) | instid1(VALU_DEP_1)
	v_mul_lo_u32 v9, 0x89, v7
	v_and_b32_e32 v11, 0x3ff, v9
	s_branch .LBB118_36
.LBB118_35:                             ;   in Loop: Header=BB118_36 Depth=2
	s_or_b32 exec_lo, exec_lo, s6
	s_xor_b32 s6, s7, -1
	s_delay_alu instid0(SALU_CYCLE_1) | instskip(NEXT) | instid1(SALU_CYCLE_1)
	s_and_b32 s6, exec_lo, s6
	s_or_b32 s5, s6, s5
	s_delay_alu instid0(SALU_CYCLE_1)
	s_and_not1_b32 exec_lo, exec_lo, s5
	s_cbranch_execz .LBB118_33
.LBB118_36:                             ;   Parent Loop BB118_34 Depth=1
                                        ; =>  This Loop Header: Depth=2
                                        ;       Child Loop BB118_42 Depth 3
                                        ;       Child Loop BB118_48 Depth 3
	s_delay_alu instid0(VALU_DEP_1)
	v_lshl_add_u32 v12, v11, 3, 0
	s_mov_b32 s6, exec_lo
                                        ; implicit-def: $sgpr7
	ds_load_b64 v[9:10], v12
	s_waitcnt lgkmcnt(0)
	v_cmpx_ne_u64_e64 v[9:10], v[7:8]
	s_xor_b32 s6, exec_lo, s6
	s_cbranch_execz .LBB118_46
; %bb.37:                               ;   in Loop: Header=BB118_36 Depth=2
	s_mov_b32 s8, exec_lo
                                        ; implicit-def: $sgpr7
	v_cmpx_ne_u64_e64 s[34:35], v[9:10]
	s_xor_b32 s8, exec_lo, s8
; %bb.38:                               ;   in Loop: Header=BB118_36 Depth=2
	v_add_nc_u32_e32 v9, 1, v11
	s_mov_b32 s7, -1
                                        ; implicit-def: $vgpr12
	s_delay_alu instid0(VALU_DEP_1)
	v_and_b32_e32 v11, 0x3ff, v9
; %bb.39:                               ;   in Loop: Header=BB118_36 Depth=2
	s_and_not1_saveexec_b32 s8, s8
	s_cbranch_execz .LBB118_45
; %bb.40:                               ;   in Loop: Header=BB118_36 Depth=2
	v_dual_mov_b32 v9, s34 :: v_dual_mov_b32 v10, s35
	s_mov_b32 s10, -1
	s_mov_b32 s9, exec_lo
	ds_cmpstore_rtn_b64 v[9:10], v12, v[7:8], v[9:10]
	s_waitcnt lgkmcnt(0)
	v_cmpx_eq_u64_e64 s[34:35], v[9:10]
	s_cbranch_execz .LBB118_44
; %bb.41:                               ;   in Loop: Header=BB118_36 Depth=2
	ds_load_b64 v[9:10], v12 offset:8192
	s_mov_b32 s10, 0
.LBB118_42:                             ;   Parent Loop BB118_34 Depth=1
                                        ;     Parent Loop BB118_36 Depth=2
                                        ; =>    This Inner Loop Header: Depth=3
	s_waitcnt lgkmcnt(0)
	v_add_f64 v[13:14], v[9:10], v[5:6]
	ds_cmpstore_rtn_b64 v[13:14], v12, v[13:14], v[9:10] offset:8192
	s_waitcnt lgkmcnt(0)
	v_cmp_eq_u64_e32 vcc_lo, v[13:14], v[9:10]
	v_dual_mov_b32 v9, v13 :: v_dual_mov_b32 v10, v14
	s_or_b32 s10, vcc_lo, s10
	s_delay_alu instid0(SALU_CYCLE_1)
	s_and_not1_b32 exec_lo, exec_lo, s10
	s_cbranch_execnz .LBB118_42
; %bb.43:                               ;   in Loop: Header=BB118_36 Depth=2
	s_or_b32 exec_lo, exec_lo, s10
	s_delay_alu instid0(SALU_CYCLE_1)
	s_xor_b32 s10, exec_lo, -1
.LBB118_44:                             ;   in Loop: Header=BB118_36 Depth=2
	s_or_b32 exec_lo, exec_lo, s9
	s_delay_alu instid0(SALU_CYCLE_1) | instskip(SKIP_1) | instid1(SALU_CYCLE_1)
	s_and_not1_b32 s7, s7, exec_lo
	s_and_b32 s9, s10, exec_lo
	s_or_b32 s7, s7, s9
.LBB118_45:                             ;   in Loop: Header=BB118_36 Depth=2
	s_or_b32 exec_lo, exec_lo, s8
	s_delay_alu instid0(SALU_CYCLE_1)
	s_and_b32 s7, s7, exec_lo
                                        ; implicit-def: $vgpr12
.LBB118_46:                             ;   in Loop: Header=BB118_36 Depth=2
	s_and_not1_saveexec_b32 s6, s6
	s_cbranch_execz .LBB118_35
; %bb.47:                               ;   in Loop: Header=BB118_36 Depth=2
	ds_load_b64 v[9:10], v12 offset:8192
	s_mov_b32 s8, 0
.LBB118_48:                             ;   Parent Loop BB118_34 Depth=1
                                        ;     Parent Loop BB118_36 Depth=2
                                        ; =>    This Inner Loop Header: Depth=3
	s_waitcnt lgkmcnt(0)
	v_add_f64 v[13:14], v[9:10], v[5:6]
	ds_cmpstore_rtn_b64 v[13:14], v12, v[13:14], v[9:10] offset:8192
	s_waitcnt lgkmcnt(0)
	v_cmp_eq_u64_e32 vcc_lo, v[13:14], v[9:10]
	v_dual_mov_b32 v9, v13 :: v_dual_mov_b32 v10, v14
	s_or_b32 s8, vcc_lo, s8
	s_delay_alu instid0(SALU_CYCLE_1)
	s_and_not1_b32 exec_lo, exec_lo, s8
	s_cbranch_execnz .LBB118_48
; %bb.49:                               ;   in Loop: Header=BB118_36 Depth=2
	s_or_b32 exec_lo, exec_lo, s8
	s_delay_alu instid0(SALU_CYCLE_1)
	s_and_not1_b32 s7, s7, exec_lo
	s_branch .LBB118_35
.LBB118_50:
	s_or_b32 exec_lo, exec_lo, s3
.LBB118_51:
	v_mbcnt_lo_u32_b32 v1, -1, 0
	v_lshl_add_u32 v12, v21, 3, 0
	v_cmp_eq_u32_e32 vcc_lo, 0x1ff, v0
	v_cmp_lt_u32_e64 s0, 31, v0
	v_cmp_lt_u32_e64 s1, 63, v0
	v_xor_b32_e32 v1, 63, v1
	v_cmp_lt_u32_e64 s2, 0x5f, v0
	v_cmp_lt_u32_e64 s3, 0x7f, v0
	;; [unrolled: 1-line block ×4, first 2 shown]
	v_lshrrev_b64 v[5:6], v1, -1
	v_dual_mov_b32 v6, 0 :: v_dual_mov_b32 v9, 0
	v_cmp_lt_u32_e64 s6, 0xdf, v0
	v_cmp_lt_u32_e64 s7, 0xff, v0
	v_cmp_lt_u32_e64 s8, 0x11f, v0
	v_cmp_lt_u32_e64 s9, 0x13f, v0
	v_cmp_lt_u32_e64 s10, 0x15f, v0
	v_cmp_lt_u32_e64 s11, 0x17f, v0
	v_cmp_lt_u32_e64 s12, 0x19f, v0
	v_cmp_lt_u32_e64 s13, 0x1bf, v0
	v_cmp_lt_u32_e64 s14, 0x1df, v0
	v_mov_b32_e32 v7, 0
	s_mov_b32 s16, 0
	s_waitcnt lgkmcnt(0)
	s_barrier
	buffer_gl0_inv
	s_branch .LBB118_53
.LBB118_52:                             ;   in Loop: Header=BB118_53 Depth=1
	s_or_b32 exec_lo, exec_lo, s15
	s_waitcnt lgkmcnt(0)
	s_barrier
	buffer_gl0_inv
	ds_load_b64 v[1:2], v9 offset:16504
	v_add_co_u32 v20, s15, 0x200, v20
	s_delay_alu instid0(VALU_DEP_1) | instskip(SKIP_3) | instid1(VALU_DEP_1)
	s_xor_b32 s17, s15, -1
	v_add_nc_u32_e32 v19, 0x1000, v19
	s_waitcnt lgkmcnt(0)
	v_add_co_u32 v6, s15, v1, v6
	v_add_co_ci_u32_e64 v7, s15, v2, v7, s15
	s_and_b32 s15, exec_lo, s17
	s_delay_alu instid0(SALU_CYCLE_1) | instskip(NEXT) | instid1(SALU_CYCLE_1)
	s_or_b32 s16, s15, s16
	s_and_not1_b32 exec_lo, exec_lo, s16
	s_cbranch_execz .LBB118_87
.LBB118_53:                             ; =>This Inner Loop Header: Depth=1
	ds_load_2addr_stride64_b64 v[1:4], v19 offset1:16
	s_waitcnt lgkmcnt(0)
	s_barrier
	buffer_gl0_inv
	v_cmp_gt_i64_e64 s15, s[34:35], v[1:2]
	s_delay_alu instid0(VALU_DEP_1) | instskip(SKIP_1) | instid1(SALU_CYCLE_1)
	v_and_b32_e32 v10, s15, v5
	s_bcnt1_i32_b32 s17, s15
	v_mov_b32_e32 v8, s17
	s_delay_alu instid0(VALU_DEP_2)
	v_bcnt_u32_b32 v10, v10, 0
	ds_store_b64 v12, v[8:9] offset:16384
	s_waitcnt lgkmcnt(0)
	s_barrier
	buffer_gl0_inv
	s_and_saveexec_b32 s17, s0
	s_cbranch_execnz .LBB118_70
; %bb.54:                               ;   in Loop: Header=BB118_53 Depth=1
	s_or_b32 exec_lo, exec_lo, s17
	s_and_saveexec_b32 s17, s1
	s_cbranch_execnz .LBB118_71
.LBB118_55:                             ;   in Loop: Header=BB118_53 Depth=1
	s_or_b32 exec_lo, exec_lo, s17
	s_and_saveexec_b32 s17, s2
	s_cbranch_execnz .LBB118_72
.LBB118_56:                             ;   in Loop: Header=BB118_53 Depth=1
	s_or_b32 exec_lo, exec_lo, s17
	s_and_saveexec_b32 s17, s3
	s_cbranch_execnz .LBB118_73
.LBB118_57:                             ;   in Loop: Header=BB118_53 Depth=1
	s_or_b32 exec_lo, exec_lo, s17
	s_and_saveexec_b32 s17, s4
	s_cbranch_execnz .LBB118_74
.LBB118_58:                             ;   in Loop: Header=BB118_53 Depth=1
	s_or_b32 exec_lo, exec_lo, s17
	s_and_saveexec_b32 s17, s5
	s_cbranch_execnz .LBB118_75
.LBB118_59:                             ;   in Loop: Header=BB118_53 Depth=1
	s_or_b32 exec_lo, exec_lo, s17
	s_and_saveexec_b32 s17, s6
	s_cbranch_execnz .LBB118_76
.LBB118_60:                             ;   in Loop: Header=BB118_53 Depth=1
	s_or_b32 exec_lo, exec_lo, s17
	s_and_saveexec_b32 s17, s7
	s_cbranch_execnz .LBB118_77
.LBB118_61:                             ;   in Loop: Header=BB118_53 Depth=1
	s_or_b32 exec_lo, exec_lo, s17
	s_and_saveexec_b32 s17, s8
	s_cbranch_execnz .LBB118_78
.LBB118_62:                             ;   in Loop: Header=BB118_53 Depth=1
	s_or_b32 exec_lo, exec_lo, s17
	s_and_saveexec_b32 s17, s9
	s_cbranch_execnz .LBB118_79
.LBB118_63:                             ;   in Loop: Header=BB118_53 Depth=1
	s_or_b32 exec_lo, exec_lo, s17
	s_and_saveexec_b32 s17, s10
	s_cbranch_execnz .LBB118_80
.LBB118_64:                             ;   in Loop: Header=BB118_53 Depth=1
	s_or_b32 exec_lo, exec_lo, s17
	s_and_saveexec_b32 s17, s11
	s_cbranch_execnz .LBB118_81
.LBB118_65:                             ;   in Loop: Header=BB118_53 Depth=1
	s_or_b32 exec_lo, exec_lo, s17
	s_and_saveexec_b32 s17, s12
	s_cbranch_execnz .LBB118_82
.LBB118_66:                             ;   in Loop: Header=BB118_53 Depth=1
	s_or_b32 exec_lo, exec_lo, s17
	s_and_saveexec_b32 s17, s13
	s_cbranch_execnz .LBB118_83
.LBB118_67:                             ;   in Loop: Header=BB118_53 Depth=1
	s_or_b32 exec_lo, exec_lo, s17
	s_and_saveexec_b32 s17, s14
	s_cbranch_execnz .LBB118_84
.LBB118_68:                             ;   in Loop: Header=BB118_53 Depth=1
	s_or_b32 exec_lo, exec_lo, s17
	v_ashrrev_i32_e32 v11, 31, v10
	s_and_saveexec_b32 s17, s15
	s_cbranch_execnz .LBB118_85
.LBB118_69:                             ;   in Loop: Header=BB118_53 Depth=1
	s_or_b32 exec_lo, exec_lo, s17
	s_and_saveexec_b32 s15, vcc_lo
	s_cbranch_execz .LBB118_52
	s_branch .LBB118_86
.LBB118_70:                             ;   in Loop: Header=BB118_53 Depth=1
	ds_load_b32 v8, v9 offset:16384
	s_waitcnt lgkmcnt(0)
	v_add_nc_u32_e32 v10, v8, v10
	s_or_b32 exec_lo, exec_lo, s17
	s_and_saveexec_b32 s17, s1
	s_cbranch_execz .LBB118_55
.LBB118_71:                             ;   in Loop: Header=BB118_53 Depth=1
	ds_load_b32 v8, v9 offset:16392
	s_waitcnt lgkmcnt(0)
	v_add_nc_u32_e32 v10, v10, v8
	s_or_b32 exec_lo, exec_lo, s17
	s_and_saveexec_b32 s17, s2
	s_cbranch_execz .LBB118_56
.LBB118_72:                             ;   in Loop: Header=BB118_53 Depth=1
	ds_load_b32 v8, v9 offset:16400
	s_waitcnt lgkmcnt(0)
	v_add_nc_u32_e32 v10, v10, v8
	s_or_b32 exec_lo, exec_lo, s17
	s_and_saveexec_b32 s17, s3
	s_cbranch_execz .LBB118_57
.LBB118_73:                             ;   in Loop: Header=BB118_53 Depth=1
	ds_load_b32 v8, v9 offset:16408
	s_waitcnt lgkmcnt(0)
	v_add_nc_u32_e32 v10, v10, v8
	s_or_b32 exec_lo, exec_lo, s17
	s_and_saveexec_b32 s17, s4
	s_cbranch_execz .LBB118_58
.LBB118_74:                             ;   in Loop: Header=BB118_53 Depth=1
	ds_load_b32 v8, v9 offset:16416
	s_waitcnt lgkmcnt(0)
	v_add_nc_u32_e32 v10, v10, v8
	s_or_b32 exec_lo, exec_lo, s17
	s_and_saveexec_b32 s17, s5
	s_cbranch_execz .LBB118_59
.LBB118_75:                             ;   in Loop: Header=BB118_53 Depth=1
	ds_load_b32 v8, v9 offset:16424
	s_waitcnt lgkmcnt(0)
	v_add_nc_u32_e32 v10, v10, v8
	s_or_b32 exec_lo, exec_lo, s17
	s_and_saveexec_b32 s17, s6
	s_cbranch_execz .LBB118_60
.LBB118_76:                             ;   in Loop: Header=BB118_53 Depth=1
	ds_load_b32 v8, v9 offset:16432
	s_waitcnt lgkmcnt(0)
	v_add_nc_u32_e32 v10, v10, v8
	s_or_b32 exec_lo, exec_lo, s17
	s_and_saveexec_b32 s17, s7
	s_cbranch_execz .LBB118_61
.LBB118_77:                             ;   in Loop: Header=BB118_53 Depth=1
	ds_load_b32 v8, v9 offset:16440
	s_waitcnt lgkmcnt(0)
	v_add_nc_u32_e32 v10, v10, v8
	s_or_b32 exec_lo, exec_lo, s17
	s_and_saveexec_b32 s17, s8
	s_cbranch_execz .LBB118_62
.LBB118_78:                             ;   in Loop: Header=BB118_53 Depth=1
	ds_load_b32 v8, v9 offset:16448
	s_waitcnt lgkmcnt(0)
	v_add_nc_u32_e32 v10, v10, v8
	s_or_b32 exec_lo, exec_lo, s17
	s_and_saveexec_b32 s17, s9
	s_cbranch_execz .LBB118_63
.LBB118_79:                             ;   in Loop: Header=BB118_53 Depth=1
	ds_load_b32 v8, v9 offset:16456
	s_waitcnt lgkmcnt(0)
	v_add_nc_u32_e32 v10, v10, v8
	s_or_b32 exec_lo, exec_lo, s17
	s_and_saveexec_b32 s17, s10
	s_cbranch_execz .LBB118_64
.LBB118_80:                             ;   in Loop: Header=BB118_53 Depth=1
	ds_load_b32 v8, v9 offset:16464
	s_waitcnt lgkmcnt(0)
	v_add_nc_u32_e32 v10, v10, v8
	s_or_b32 exec_lo, exec_lo, s17
	s_and_saveexec_b32 s17, s11
	s_cbranch_execz .LBB118_65
.LBB118_81:                             ;   in Loop: Header=BB118_53 Depth=1
	ds_load_b32 v8, v9 offset:16472
	s_waitcnt lgkmcnt(0)
	v_add_nc_u32_e32 v10, v10, v8
	s_or_b32 exec_lo, exec_lo, s17
	s_and_saveexec_b32 s17, s12
	s_cbranch_execz .LBB118_66
.LBB118_82:                             ;   in Loop: Header=BB118_53 Depth=1
	ds_load_b32 v8, v9 offset:16480
	s_waitcnt lgkmcnt(0)
	v_add_nc_u32_e32 v10, v10, v8
	s_or_b32 exec_lo, exec_lo, s17
	s_and_saveexec_b32 s17, s13
	s_cbranch_execz .LBB118_67
.LBB118_83:                             ;   in Loop: Header=BB118_53 Depth=1
	ds_load_b32 v8, v9 offset:16488
	s_waitcnt lgkmcnt(0)
	v_add_nc_u32_e32 v10, v10, v8
	s_or_b32 exec_lo, exec_lo, s17
	s_and_saveexec_b32 s17, s14
	s_cbranch_execz .LBB118_68
.LBB118_84:                             ;   in Loop: Header=BB118_53 Depth=1
	ds_load_b32 v8, v9 offset:16496
	s_waitcnt lgkmcnt(0)
	v_add_nc_u32_e32 v10, v10, v8
	s_or_b32 exec_lo, exec_lo, s17
	s_delay_alu instid0(VALU_DEP_1)
	v_ashrrev_i32_e32 v11, 31, v10
	s_and_saveexec_b32 s17, s15
	s_cbranch_execz .LBB118_69
.LBB118_85:                             ;   in Loop: Header=BB118_53 Depth=1
	v_add3_u32 v8, v6, -1, v10
	s_delay_alu instid0(VALU_DEP_1)
	v_lshl_add_u32 v8, v8, 3, 0
	ds_store_2addr_stride64_b64 v8, v[1:2], v[3:4] offset1:16
	s_or_b32 exec_lo, exec_lo, s17
	s_and_saveexec_b32 s15, vcc_lo
	s_cbranch_execz .LBB118_52
.LBB118_86:                             ;   in Loop: Header=BB118_53 Depth=1
	ds_store_b64 v9, v[10:11] offset:16504
	s_branch .LBB118_52
.LBB118_87:
	s_or_b32 exec_lo, exec_lo, s16
	s_lshl_b64 s[0:1], s[36:37], 3
	v_mov_b32_e32 v1, 0
	s_add_u32 s0, s18, s0
	s_addc_u32 s1, s19, s1
	s_mov_b32 s6, exec_lo
	s_load_b128 s[0:3], s[0:1], 0x0
	s_waitcnt lgkmcnt(0)
	s_sub_u32 s4, s2, s0
	s_subb_u32 s5, s3, s1
	s_delay_alu instid0(SALU_CYCLE_1)
	v_cmpx_gt_i64_e64 s[4:5], v[0:1]
	s_cbranch_execz .LBB118_97
; %bb.88:
	s_sub_u32 s8, s0, s22
	s_subb_u32 s9, s1, 0
	s_and_b32 s6, s4, 7
	s_sub_u32 s0, s0, s2
	s_subb_u32 s1, s1, s3
	s_mov_b32 s7, 0
	v_cmp_lt_u64_e64 s12, s[0:1], -7
	s_and_b32 s2, s4, -8
	s_cmp_lg_u64 s[6:7], 0
	s_mov_b32 s3, s5
	s_cselect_b32 s13, -1, 0
	s_mov_b32 s14, s7
	s_branch .LBB118_90
.LBB118_89:                             ;   in Loop: Header=BB118_90 Depth=1
	s_waitcnt lgkmcnt(0)
	v_add_co_u32 v2, vcc_lo, v2, s22
	v_lshlrev_b64 v[6:7], 3, v[6:7]
	v_add_co_ci_u32_e32 v3, vcc_lo, 0, v3, vcc_lo
	v_add_co_u32 v0, vcc_lo, 0x200, v0
	v_add_co_ci_u32_e32 v1, vcc_lo, 0, v1, vcc_lo
	s_delay_alu instid0(VALU_DEP_4) | instskip(SKIP_1) | instid1(VALU_DEP_3)
	v_add_co_u32 v8, vcc_lo, s24, v6
	v_add_co_ci_u32_e32 v9, vcc_lo, s25, v7, vcc_lo
	v_cmp_le_i64_e32 vcc_lo, s[4:5], v[0:1]
	v_add_co_u32 v6, s0, s26, v6
	s_delay_alu instid0(VALU_DEP_1) | instskip(SKIP_3) | instid1(SALU_CYCLE_1)
	v_add_co_ci_u32_e64 v7, s0, s27, v7, s0
	global_store_b64 v[8:9], v[2:3], off
	global_store_b64 v[6:7], v[4:5], off
	s_or_b32 s14, vcc_lo, s14
	s_and_not1_b32 exec_lo, exec_lo, s14
	s_cbranch_execz .LBB118_97
.LBB118_90:                             ; =>This Loop Header: Depth=1
                                        ;     Child Loop BB118_92 Depth 2
                                        ;     Child Loop BB118_96 Depth 2
	v_lshl_add_u32 v2, v0, 3, 0
	v_dual_mov_b32 v6, s8 :: v_dual_mov_b32 v7, s9
	s_and_not1_b32 vcc_lo, exec_lo, s12
	s_mov_b64 s[0:1], 0
	ds_load_2addr_stride64_b64 v[2:5], v2 offset1:16
	s_cbranch_vccnz .LBB118_94
; %bb.91:                               ;   in Loop: Header=BB118_90 Depth=1
	v_dual_mov_b32 v6, s8 :: v_dual_mov_b32 v7, s9
	s_mov_b64 s[10:11], 0
	s_mov_b32 s1, 0
.LBB118_92:                             ;   Parent Loop BB118_90 Depth=1
                                        ; =>  This Inner Loop Header: Depth=2
	s_delay_alu instid0(SALU_CYCLE_1)
	v_mov_b32_e32 v20, s1
	s_add_u32 s10, s10, 8
	s_addc_u32 s11, s11, 0
	s_add_i32 s1, s1, 64
	s_cmp_eq_u64 s[2:3], s[10:11]
	ds_load_2addr_b64 v[8:11], v20 offset1:1
	ds_load_2addr_b64 v[12:15], v20 offset0:2 offset1:3
	ds_load_2addr_b64 v[16:19], v20 offset0:4 offset1:5
	;; [unrolled: 1-line block ×3, first 2 shown]
	s_waitcnt lgkmcnt(3)
	v_cmp_gt_i64_e32 vcc_lo, v[2:3], v[8:9]
	v_cndmask_b32_e64 v8, 0, 1, vcc_lo
	v_cmp_gt_i64_e32 vcc_lo, v[2:3], v[10:11]
	v_cndmask_b32_e64 v9, 0, 1, vcc_lo
	s_waitcnt lgkmcnt(2)
	v_cmp_gt_i64_e32 vcc_lo, v[2:3], v[12:13]
	v_cndmask_b32_e64 v10, 0, 1, vcc_lo
	v_cmp_gt_i64_e32 vcc_lo, v[2:3], v[14:15]
	v_cndmask_b32_e64 v11, 0, 1, vcc_lo
	s_waitcnt lgkmcnt(1)
	v_cmp_gt_i64_e32 vcc_lo, v[2:3], v[16:17]
	v_cndmask_b32_e64 v12, 0, 1, vcc_lo
	v_add_co_u32 v6, vcc_lo, v6, v8
	v_add_co_ci_u32_e32 v7, vcc_lo, 0, v7, vcc_lo
	v_cmp_gt_i64_e32 vcc_lo, v[2:3], v[18:19]
	s_delay_alu instid0(VALU_DEP_3) | instskip(NEXT) | instid1(VALU_DEP_1)
	v_add_co_u32 v6, s0, v6, v9
	v_add_co_ci_u32_e64 v7, s0, 0, v7, s0
	v_cndmask_b32_e64 v8, 0, 1, vcc_lo
	s_delay_alu instid0(VALU_DEP_3) | instskip(NEXT) | instid1(VALU_DEP_3)
	v_add_co_u32 v6, vcc_lo, v6, v10
	v_add_co_ci_u32_e32 v7, vcc_lo, 0, v7, vcc_lo
	s_waitcnt lgkmcnt(0)
	v_cmp_gt_i64_e32 vcc_lo, v[2:3], v[20:21]
	s_delay_alu instid0(VALU_DEP_3) | instskip(NEXT) | instid1(VALU_DEP_1)
	v_add_co_u32 v6, s0, v6, v11
	v_add_co_ci_u32_e64 v7, s0, 0, v7, s0
	v_cndmask_b32_e64 v9, 0, 1, vcc_lo
	s_delay_alu instid0(VALU_DEP_3) | instskip(NEXT) | instid1(VALU_DEP_3)
	v_add_co_u32 v6, vcc_lo, v6, v12
	v_add_co_ci_u32_e32 v7, vcc_lo, 0, v7, vcc_lo
	v_cmp_gt_i64_e32 vcc_lo, v[2:3], v[22:23]
	s_delay_alu instid0(VALU_DEP_3) | instskip(NEXT) | instid1(VALU_DEP_1)
	v_add_co_u32 v6, s0, v6, v8
	v_add_co_ci_u32_e64 v7, s0, 0, v7, s0
	v_cndmask_b32_e64 v8, 0, 1, vcc_lo
	s_delay_alu instid0(VALU_DEP_3) | instskip(NEXT) | instid1(VALU_DEP_3)
	v_add_co_u32 v6, vcc_lo, v6, v9
	v_add_co_ci_u32_e32 v7, vcc_lo, 0, v7, vcc_lo
	s_delay_alu instid0(VALU_DEP_2) | instskip(NEXT) | instid1(VALU_DEP_2)
	v_add_co_u32 v6, vcc_lo, v6, v8
	v_add_co_ci_u32_e32 v7, vcc_lo, 0, v7, vcc_lo
	s_cbranch_scc0 .LBB118_92
; %bb.93:                               ;   in Loop: Header=BB118_90 Depth=1
	s_mov_b64 s[0:1], s[2:3]
.LBB118_94:                             ;   in Loop: Header=BB118_90 Depth=1
	s_and_not1_b32 vcc_lo, exec_lo, s13
	s_cbranch_vccnz .LBB118_89
; %bb.95:                               ;   in Loop: Header=BB118_90 Depth=1
	s_lshl_b32 s0, s0, 3
	s_delay_alu instid0(SALU_CYCLE_1)
	s_add_i32 s10, s0, 0
	s_mov_b64 s[0:1], s[6:7]
.LBB118_96:                             ;   Parent Loop BB118_90 Depth=1
                                        ; =>  This Inner Loop Header: Depth=2
	v_mov_b32_e32 v8, s10
	s_add_i32 s10, s10, 8
	s_add_u32 s0, s0, -1
	s_addc_u32 s1, s1, -1
	s_delay_alu instid0(SALU_CYCLE_1) | instskip(SKIP_4) | instid1(VALU_DEP_1)
	s_cmp_lg_u64 s[0:1], 0
	ds_load_b64 v[8:9], v8
	s_waitcnt lgkmcnt(0)
	v_cmp_gt_i64_e32 vcc_lo, v[2:3], v[8:9]
	v_cndmask_b32_e64 v8, 0, 1, vcc_lo
	v_add_co_u32 v6, vcc_lo, v6, v8
	v_add_co_ci_u32_e32 v7, vcc_lo, 0, v7, vcc_lo
	s_cbranch_scc1 .LBB118_96
	s_branch .LBB118_89
.LBB118_97:
	s_nop 0
	s_sendmsg sendmsg(MSG_DEALLOC_VGPRS)
	s_endpgm
	.section	.rodata,"a",@progbits
	.p2align	6, 0x0
	.amdhsa_kernel _ZN9rocsparseL26csrgemm_fill_block_per_rowILj512ELj32ELj1024ELj137ELj32ElldEEvT5_PKS1_S3_NS_24const_host_device_scalarIT6_EEPKT4_S3_PKS5_S9_S3_SB_S6_S9_S3_SB_S9_PS1_PS5_21rocsparse_index_base_SE_SE_SE_bbb
		.amdhsa_group_segment_fixed_size 0
		.amdhsa_private_segment_fixed_size 0
		.amdhsa_kernarg_size 156
		.amdhsa_user_sgpr_count 15
		.amdhsa_user_sgpr_dispatch_ptr 0
		.amdhsa_user_sgpr_queue_ptr 0
		.amdhsa_user_sgpr_kernarg_segment_ptr 1
		.amdhsa_user_sgpr_dispatch_id 0
		.amdhsa_user_sgpr_private_segment_size 0
		.amdhsa_wavefront_size32 1
		.amdhsa_uses_dynamic_stack 0
		.amdhsa_enable_private_segment 0
		.amdhsa_system_sgpr_workgroup_id_x 1
		.amdhsa_system_sgpr_workgroup_id_y 0
		.amdhsa_system_sgpr_workgroup_id_z 0
		.amdhsa_system_sgpr_workgroup_info 0
		.amdhsa_system_vgpr_workitem_id 0
		.amdhsa_next_free_vgpr 28
		.amdhsa_next_free_sgpr 44
		.amdhsa_reserve_vcc 1
		.amdhsa_float_round_mode_32 0
		.amdhsa_float_round_mode_16_64 0
		.amdhsa_float_denorm_mode_32 3
		.amdhsa_float_denorm_mode_16_64 3
		.amdhsa_dx10_clamp 1
		.amdhsa_ieee_mode 1
		.amdhsa_fp16_overflow 0
		.amdhsa_workgroup_processor_mode 1
		.amdhsa_memory_ordered 1
		.amdhsa_forward_progress 0
		.amdhsa_shared_vgpr_count 0
		.amdhsa_exception_fp_ieee_invalid_op 0
		.amdhsa_exception_fp_denorm_src 0
		.amdhsa_exception_fp_ieee_div_zero 0
		.amdhsa_exception_fp_ieee_overflow 0
		.amdhsa_exception_fp_ieee_underflow 0
		.amdhsa_exception_fp_ieee_inexact 0
		.amdhsa_exception_int_div_zero 0
	.end_amdhsa_kernel
	.section	.text._ZN9rocsparseL26csrgemm_fill_block_per_rowILj512ELj32ELj1024ELj137ELj32ElldEEvT5_PKS1_S3_NS_24const_host_device_scalarIT6_EEPKT4_S3_PKS5_S9_S3_SB_S6_S9_S3_SB_S9_PS1_PS5_21rocsparse_index_base_SE_SE_SE_bbb,"axG",@progbits,_ZN9rocsparseL26csrgemm_fill_block_per_rowILj512ELj32ELj1024ELj137ELj32ElldEEvT5_PKS1_S3_NS_24const_host_device_scalarIT6_EEPKT4_S3_PKS5_S9_S3_SB_S6_S9_S3_SB_S9_PS1_PS5_21rocsparse_index_base_SE_SE_SE_bbb,comdat
.Lfunc_end118:
	.size	_ZN9rocsparseL26csrgemm_fill_block_per_rowILj512ELj32ELj1024ELj137ELj32ElldEEvT5_PKS1_S3_NS_24const_host_device_scalarIT6_EEPKT4_S3_PKS5_S9_S3_SB_S6_S9_S3_SB_S9_PS1_PS5_21rocsparse_index_base_SE_SE_SE_bbb, .Lfunc_end118-_ZN9rocsparseL26csrgemm_fill_block_per_rowILj512ELj32ELj1024ELj137ELj32ElldEEvT5_PKS1_S3_NS_24const_host_device_scalarIT6_EEPKT4_S3_PKS5_S9_S3_SB_S6_S9_S3_SB_S9_PS1_PS5_21rocsparse_index_base_SE_SE_SE_bbb
                                        ; -- End function
	.section	.AMDGPU.csdata,"",@progbits
; Kernel info:
; codeLenInByte = 3704
; NumSgprs: 46
; NumVgprs: 28
; ScratchSize: 0
; MemoryBound: 0
; FloatMode: 240
; IeeeMode: 1
; LDSByteSize: 0 bytes/workgroup (compile time only)
; SGPRBlocks: 5
; VGPRBlocks: 3
; NumSGPRsForWavesPerEU: 46
; NumVGPRsForWavesPerEU: 28
; Occupancy: 16
; WaveLimiterHint : 1
; COMPUTE_PGM_RSRC2:SCRATCH_EN: 0
; COMPUTE_PGM_RSRC2:USER_SGPR: 15
; COMPUTE_PGM_RSRC2:TRAP_HANDLER: 0
; COMPUTE_PGM_RSRC2:TGID_X_EN: 1
; COMPUTE_PGM_RSRC2:TGID_Y_EN: 0
; COMPUTE_PGM_RSRC2:TGID_Z_EN: 0
; COMPUTE_PGM_RSRC2:TIDIG_COMP_CNT: 0
	.section	.text._ZN9rocsparseL26csrgemm_fill_block_per_rowILj512ELj32ELj1024ELj137ELj64ElldEEvT5_PKS1_S3_NS_24const_host_device_scalarIT6_EEPKT4_S3_PKS5_S9_S3_SB_S6_S9_S3_SB_S9_PS1_PS5_21rocsparse_index_base_SE_SE_SE_bbb,"axG",@progbits,_ZN9rocsparseL26csrgemm_fill_block_per_rowILj512ELj32ELj1024ELj137ELj64ElldEEvT5_PKS1_S3_NS_24const_host_device_scalarIT6_EEPKT4_S3_PKS5_S9_S3_SB_S6_S9_S3_SB_S9_PS1_PS5_21rocsparse_index_base_SE_SE_SE_bbb,comdat
	.globl	_ZN9rocsparseL26csrgemm_fill_block_per_rowILj512ELj32ELj1024ELj137ELj64ElldEEvT5_PKS1_S3_NS_24const_host_device_scalarIT6_EEPKT4_S3_PKS5_S9_S3_SB_S6_S9_S3_SB_S9_PS1_PS5_21rocsparse_index_base_SE_SE_SE_bbb ; -- Begin function _ZN9rocsparseL26csrgemm_fill_block_per_rowILj512ELj32ELj1024ELj137ELj64ElldEEvT5_PKS1_S3_NS_24const_host_device_scalarIT6_EEPKT4_S3_PKS5_S9_S3_SB_S6_S9_S3_SB_S9_PS1_PS5_21rocsparse_index_base_SE_SE_SE_bbb
	.p2align	8
	.type	_ZN9rocsparseL26csrgemm_fill_block_per_rowILj512ELj32ELj1024ELj137ELj64ElldEEvT5_PKS1_S3_NS_24const_host_device_scalarIT6_EEPKT4_S3_PKS5_S9_S3_SB_S6_S9_S3_SB_S9_PS1_PS5_21rocsparse_index_base_SE_SE_SE_bbb,@function
_ZN9rocsparseL26csrgemm_fill_block_per_rowILj512ELj32ELj1024ELj137ELj64ElldEEvT5_PKS1_S3_NS_24const_host_device_scalarIT6_EEPKT4_S3_PKS5_S9_S3_SB_S6_S9_S3_SB_S9_PS1_PS5_21rocsparse_index_base_SE_SE_SE_bbb: ; @_ZN9rocsparseL26csrgemm_fill_block_per_rowILj512ELj32ELj1024ELj137ELj64ElldEEvT5_PKS1_S3_NS_24const_host_device_scalarIT6_EEPKT4_S3_PKS5_S9_S3_SB_S6_S9_S3_SB_S9_PS1_PS5_21rocsparse_index_base_SE_SE_SE_bbb
; %bb.0:
	s_clause 0x3
	s_load_b32 s3, s[0:1], 0x98
	s_load_b64 s[4:5], s[0:1], 0x18
	s_load_b128 s[20:23], s[0:1], 0x88
	s_load_b64 s[34:35], s[0:1], 0x50
	s_mov_b32 s2, s15
	s_waitcnt lgkmcnt(0)
	s_and_b32 s6, 1, s3
	s_bitcmp1_b32 s3, 16
	s_cselect_b32 s41, -1, 0
	s_cmp_eq_u32 s6, 1
	s_cselect_b32 s40, -1, 0
	s_delay_alu instid0(SALU_CYCLE_1)
	s_and_b32 s6, s40, exec_lo
	s_cselect_b32 s7, s5, 0
	s_cselect_b32 s6, s4, 0
	s_xor_b32 s8, s40, -1
	v_dual_mov_b32 v3, s6 :: v_dual_mov_b32 v4, s7
	s_or_b32 s8, s8, s41
	s_delay_alu instid0(SALU_CYCLE_1)
	s_and_b32 vcc_lo, exec_lo, s8
	s_cbranch_vccnz .LBB119_2
; %bb.1:
	v_dual_mov_b32 v1, s4 :: v_dual_mov_b32 v2, s5
	flat_load_b64 v[3:4], v[1:2]
.LBB119_2:
	s_clause 0x4
	s_load_b128 s[24:27], s[0:1], 0x78
	s_load_b256 s[4:11], s[0:1], 0x58
	s_load_b128 s[28:31], s[0:1], 0x40
	s_load_b128 s[36:39], s[0:1], 0x8
	s_load_b256 s[12:19], s[0:1], 0x20
	s_bitcmp1_b32 s3, 8
	s_cselect_b32 s33, -1, 0
	s_delay_alu instid0(SALU_CYCLE_1)
	s_and_b32 s3, s33, exec_lo
	s_cselect_b32 s43, s35, 0
	s_cselect_b32 s42, s34, 0
	s_xor_b32 s3, s33, -1
	v_dual_mov_b32 v1, s42 :: v_dual_mov_b32 v2, s43
	s_or_b32 s3, s3, s41
	s_delay_alu instid0(SALU_CYCLE_1)
	s_and_b32 vcc_lo, exec_lo, s3
	s_cbranch_vccnz .LBB119_4
; %bb.3:
	v_dual_mov_b32 v1, s34 :: v_dual_mov_b32 v2, s35
	flat_load_b64 v[1:2], v[1:2]
.LBB119_4:
	s_load_b64 s[34:35], s[0:1], 0x0
	v_mov_b32_e32 v5, 0
	v_lshl_add_u32 v19, v0, 3, 0
	v_or_b32_e32 v20, 0xfffffe00, v0
	s_mov_b32 s0, 0
	s_delay_alu instid0(VALU_DEP_1)
	v_dual_mov_b32 v9, v19 :: v_dual_mov_b32 v10, v20
	s_waitcnt lgkmcnt(0)
	v_dual_mov_b32 v7, s34 :: v_dual_mov_b32 v8, s35
	v_mov_b32_e32 v6, v5
.LBB119_5:                              ; =>This Inner Loop Header: Depth=1
	s_delay_alu instid0(VALU_DEP_3) | instskip(NEXT) | instid1(VALU_DEP_1)
	v_add_co_u32 v10, s1, 0x200, v10
	s_xor_b32 s1, s1, -1
	ds_store_2addr_stride64_b64 v9, v[7:8], v[5:6] offset1:16
	v_add_nc_u32_e32 v9, 0x1000, v9
	s_and_b32 s1, exec_lo, s1
	s_delay_alu instid0(SALU_CYCLE_1) | instskip(NEXT) | instid1(SALU_CYCLE_1)
	s_or_b32 s0, s1, s0
	s_and_not1_b32 exec_lo, exec_lo, s0
	s_cbranch_execnz .LBB119_5
; %bb.6:
	s_or_b32 exec_lo, exec_lo, s0
	s_waitcnt vmcnt(0) lgkmcnt(0)
	s_barrier
	buffer_gl0_inv
	s_load_b64 s[0:1], s[36:37], 0x0
	s_mov_b32 s3, 0
	s_waitcnt lgkmcnt(0)
	s_lshl_b64 s[0:1], s[0:1], 3
	s_delay_alu instid0(SALU_CYCLE_1) | instskip(SKIP_2) | instid1(SALU_CYCLE_1)
	s_add_u32 s36, s38, s0
	s_addc_u32 s37, s39, s1
	s_lshl_b64 s[0:1], s[2:3], 3
	s_add_u32 s0, s36, s0
	s_addc_u32 s1, s37, s1
	s_and_b32 vcc_lo, exec_lo, s40
	s_load_b64 s[36:37], s[0:1], 0x0
	s_cbranch_vccz .LBB119_30
; %bb.7:
	s_waitcnt lgkmcnt(0)
	s_lshl_b64 s[0:1], s[36:37], 3
	v_lshrrev_b32_e32 v5, 5, v0
	s_add_u32 s0, s12, s0
	s_addc_u32 s1, s13, s1
	s_load_b128 s[0:3], s[0:1], 0x0
	s_delay_alu instid0(VALU_DEP_1) | instskip(NEXT) | instid1(VALU_DEP_1)
	v_sub_co_u32 v5, s12, v5, s20
	v_sub_co_ci_u32_e64 v6, null, 0, 0, s12
	s_waitcnt lgkmcnt(0)
	s_delay_alu instid0(VALU_DEP_2) | instskip(NEXT) | instid1(VALU_DEP_2)
	v_add_co_u32 v5, vcc_lo, s0, v5
	v_add_co_ci_u32_e32 v6, vcc_lo, s1, v6, vcc_lo
	s_sub_u32 s0, s2, s20
	s_subb_u32 s1, s3, 0
	s_mov_b32 s2, exec_lo
	s_delay_alu instid0(VALU_DEP_1)
	v_cmpx_gt_i64_e64 s[0:1], v[5:6]
	s_cbranch_execz .LBB119_29
; %bb.8:
	v_and_b32_e32 v7, 31, v0
	s_mov_b32 s12, s21
	s_delay_alu instid0(VALU_DEP_1) | instskip(NEXT) | instid1(VALU_DEP_1)
	v_sub_co_u32 v21, s3, v7, s21
	v_sub_co_ci_u32_e64 v22, null, 0, 0, s3
	s_mov_b32 s3, 0
	s_branch .LBB119_10
.LBB119_9:                              ;   in Loop: Header=BB119_10 Depth=1
	s_or_b32 exec_lo, exec_lo, s13
	v_add_co_u32 v5, vcc_lo, v5, 16
	v_add_co_ci_u32_e32 v6, vcc_lo, 0, v6, vcc_lo
	s_delay_alu instid0(VALU_DEP_1) | instskip(SKIP_1) | instid1(SALU_CYCLE_1)
	v_cmp_le_i64_e32 vcc_lo, s[0:1], v[5:6]
	s_or_b32 s3, vcc_lo, s3
	s_and_not1_b32 exec_lo, exec_lo, s3
	s_cbranch_execz .LBB119_29
.LBB119_10:                             ; =>This Loop Header: Depth=1
                                        ;     Child Loop BB119_13 Depth 2
                                        ;       Child Loop BB119_15 Depth 3
                                        ;         Child Loop BB119_21 Depth 4
                                        ;         Child Loop BB119_27 Depth 4
	v_lshlrev_b64 v[11:12], 3, v[5:6]
	s_mov_b32 s13, exec_lo
	s_delay_alu instid0(VALU_DEP_1) | instskip(NEXT) | instid1(VALU_DEP_2)
	v_add_co_u32 v7, vcc_lo, s14, v11
	v_add_co_ci_u32_e32 v8, vcc_lo, s15, v12, vcc_lo
	global_load_b64 v[7:8], v[7:8], off
	s_waitcnt vmcnt(0)
	v_sub_co_u32 v7, vcc_lo, v7, s20
	v_subrev_co_ci_u32_e32 v8, vcc_lo, 0, v8, vcc_lo
	s_delay_alu instid0(VALU_DEP_1) | instskip(NEXT) | instid1(VALU_DEP_1)
	v_lshlrev_b64 v[7:8], 3, v[7:8]
	v_add_co_u32 v7, vcc_lo, s18, v7
	s_delay_alu instid0(VALU_DEP_2)
	v_add_co_ci_u32_e32 v8, vcc_lo, s19, v8, vcc_lo
	global_load_b128 v[13:16], v[7:8], off
	s_waitcnt vmcnt(0)
	v_sub_co_u32 v7, vcc_lo, v15, s12
	v_subrev_co_ci_u32_e32 v8, vcc_lo, 0, v16, vcc_lo
	v_add_co_u32 v9, vcc_lo, v13, v21
	v_add_co_ci_u32_e32 v10, vcc_lo, v14, v22, vcc_lo
	s_delay_alu instid0(VALU_DEP_1)
	v_cmpx_lt_i64_e64 v[9:10], v[7:8]
	s_cbranch_execz .LBB119_9
; %bb.11:                               ;   in Loop: Header=BB119_10 Depth=1
	v_add_co_u32 v11, vcc_lo, s16, v11
	v_add_co_ci_u32_e32 v12, vcc_lo, s17, v12, vcc_lo
	s_mov_b32 s21, 0
	global_load_b64 v[11:12], v[11:12], off
	s_waitcnt vmcnt(0)
	v_mul_f64 v[11:12], v[3:4], v[11:12]
	s_branch .LBB119_13
.LBB119_12:                             ;   in Loop: Header=BB119_13 Depth=2
	s_or_b32 exec_lo, exec_lo, s38
	v_add_co_u32 v9, vcc_lo, v9, 32
	v_add_co_ci_u32_e32 v10, vcc_lo, 0, v10, vcc_lo
	s_delay_alu instid0(VALU_DEP_1) | instskip(SKIP_1) | instid1(SALU_CYCLE_1)
	v_cmp_ge_i64_e32 vcc_lo, v[9:10], v[7:8]
	s_or_b32 s21, vcc_lo, s21
	s_and_not1_b32 exec_lo, exec_lo, s21
	s_cbranch_execz .LBB119_9
.LBB119_13:                             ;   Parent Loop BB119_10 Depth=1
                                        ; =>  This Loop Header: Depth=2
                                        ;       Child Loop BB119_15 Depth 3
                                        ;         Child Loop BB119_21 Depth 4
                                        ;         Child Loop BB119_27 Depth 4
	v_lshlrev_b64 v[13:14], 3, v[9:10]
	s_mov_b32 s38, 0
	s_delay_alu instid0(VALU_DEP_1) | instskip(NEXT) | instid1(VALU_DEP_2)
	v_add_co_u32 v15, vcc_lo, s30, v13
	v_add_co_ci_u32_e32 v16, vcc_lo, s31, v14, vcc_lo
	v_add_co_u32 v13, vcc_lo, s28, v13
	v_add_co_ci_u32_e32 v14, vcc_lo, s29, v14, vcc_lo
	global_load_b64 v[15:16], v[15:16], off
	global_load_b64 v[17:18], v[13:14], off
	s_waitcnt vmcnt(1)
	v_mul_f64 v[13:14], v[11:12], v[15:16]
	s_waitcnt vmcnt(0)
	v_sub_co_u32 v15, vcc_lo, v17, s12
	v_subrev_co_ci_u32_e32 v16, vcc_lo, 0, v18, vcc_lo
	s_delay_alu instid0(VALU_DEP_2) | instskip(NEXT) | instid1(VALU_DEP_1)
	v_mul_lo_u32 v17, 0x89, v15
	v_and_b32_e32 v23, 0x3ff, v17
	s_branch .LBB119_15
.LBB119_14:                             ;   in Loop: Header=BB119_15 Depth=3
	s_or_b32 exec_lo, exec_lo, s39
	s_xor_b32 s39, s40, -1
	s_delay_alu instid0(SALU_CYCLE_1) | instskip(NEXT) | instid1(SALU_CYCLE_1)
	s_and_b32 s39, exec_lo, s39
	s_or_b32 s38, s39, s38
	s_delay_alu instid0(SALU_CYCLE_1)
	s_and_not1_b32 exec_lo, exec_lo, s38
	s_cbranch_execz .LBB119_12
.LBB119_15:                             ;   Parent Loop BB119_10 Depth=1
                                        ;     Parent Loop BB119_13 Depth=2
                                        ; =>    This Loop Header: Depth=3
                                        ;         Child Loop BB119_21 Depth 4
                                        ;         Child Loop BB119_27 Depth 4
	s_delay_alu instid0(VALU_DEP_1)
	v_lshl_add_u32 v24, v23, 3, 0
	s_mov_b32 s39, exec_lo
                                        ; implicit-def: $sgpr40
	ds_load_b64 v[17:18], v24
	s_waitcnt lgkmcnt(0)
	v_cmpx_ne_u64_e64 v[17:18], v[15:16]
	s_xor_b32 s39, exec_lo, s39
	s_cbranch_execz .LBB119_25
; %bb.16:                               ;   in Loop: Header=BB119_15 Depth=3
	s_mov_b32 s41, exec_lo
                                        ; implicit-def: $sgpr40
	v_cmpx_ne_u64_e64 s[34:35], v[17:18]
	s_xor_b32 s41, exec_lo, s41
; %bb.17:                               ;   in Loop: Header=BB119_15 Depth=3
	v_add_nc_u32_e32 v17, 1, v23
	s_mov_b32 s40, -1
                                        ; implicit-def: $vgpr24
	s_delay_alu instid0(VALU_DEP_1)
	v_and_b32_e32 v23, 0x3ff, v17
; %bb.18:                               ;   in Loop: Header=BB119_15 Depth=3
	s_and_not1_saveexec_b32 s41, s41
	s_cbranch_execz .LBB119_24
; %bb.19:                               ;   in Loop: Header=BB119_15 Depth=3
	v_dual_mov_b32 v17, s34 :: v_dual_mov_b32 v18, s35
	s_mov_b32 s43, -1
	s_mov_b32 s42, exec_lo
	ds_cmpstore_rtn_b64 v[17:18], v24, v[15:16], v[17:18]
	s_waitcnt lgkmcnt(0)
	v_cmpx_eq_u64_e64 s[34:35], v[17:18]
	s_cbranch_execz .LBB119_23
; %bb.20:                               ;   in Loop: Header=BB119_15 Depth=3
	ds_load_b64 v[17:18], v24 offset:8192
	s_mov_b32 s43, 0
.LBB119_21:                             ;   Parent Loop BB119_10 Depth=1
                                        ;     Parent Loop BB119_13 Depth=2
                                        ;       Parent Loop BB119_15 Depth=3
                                        ; =>      This Inner Loop Header: Depth=4
	s_waitcnt lgkmcnt(0)
	v_add_f64 v[25:26], v[17:18], v[13:14]
	ds_cmpstore_rtn_b64 v[25:26], v24, v[25:26], v[17:18] offset:8192
	s_waitcnt lgkmcnt(0)
	v_cmp_eq_u64_e32 vcc_lo, v[25:26], v[17:18]
	v_dual_mov_b32 v17, v25 :: v_dual_mov_b32 v18, v26
	s_or_b32 s43, vcc_lo, s43
	s_delay_alu instid0(SALU_CYCLE_1)
	s_and_not1_b32 exec_lo, exec_lo, s43
	s_cbranch_execnz .LBB119_21
; %bb.22:                               ;   in Loop: Header=BB119_15 Depth=3
	s_or_b32 exec_lo, exec_lo, s43
	s_delay_alu instid0(SALU_CYCLE_1)
	s_xor_b32 s43, exec_lo, -1
.LBB119_23:                             ;   in Loop: Header=BB119_15 Depth=3
	s_or_b32 exec_lo, exec_lo, s42
	s_delay_alu instid0(SALU_CYCLE_1) | instskip(SKIP_1) | instid1(SALU_CYCLE_1)
	s_and_not1_b32 s40, s40, exec_lo
	s_and_b32 s42, s43, exec_lo
	s_or_b32 s40, s40, s42
.LBB119_24:                             ;   in Loop: Header=BB119_15 Depth=3
	s_or_b32 exec_lo, exec_lo, s41
	s_delay_alu instid0(SALU_CYCLE_1)
	s_and_b32 s40, s40, exec_lo
                                        ; implicit-def: $vgpr24
.LBB119_25:                             ;   in Loop: Header=BB119_15 Depth=3
	s_and_not1_saveexec_b32 s39, s39
	s_cbranch_execz .LBB119_14
; %bb.26:                               ;   in Loop: Header=BB119_15 Depth=3
	ds_load_b64 v[17:18], v24 offset:8192
	s_mov_b32 s41, 0
.LBB119_27:                             ;   Parent Loop BB119_10 Depth=1
                                        ;     Parent Loop BB119_13 Depth=2
                                        ;       Parent Loop BB119_15 Depth=3
                                        ; =>      This Inner Loop Header: Depth=4
	s_waitcnt lgkmcnt(0)
	v_add_f64 v[25:26], v[17:18], v[13:14]
	ds_cmpstore_rtn_b64 v[25:26], v24, v[25:26], v[17:18] offset:8192
	s_waitcnt lgkmcnt(0)
	v_cmp_eq_u64_e32 vcc_lo, v[25:26], v[17:18]
	v_dual_mov_b32 v17, v25 :: v_dual_mov_b32 v18, v26
	s_or_b32 s41, vcc_lo, s41
	s_delay_alu instid0(SALU_CYCLE_1)
	s_and_not1_b32 exec_lo, exec_lo, s41
	s_cbranch_execnz .LBB119_27
; %bb.28:                               ;   in Loop: Header=BB119_15 Depth=3
	s_or_b32 exec_lo, exec_lo, s41
	s_delay_alu instid0(SALU_CYCLE_1)
	s_and_not1_b32 s40, s40, exec_lo
	s_branch .LBB119_14
.LBB119_29:
	s_or_b32 exec_lo, exec_lo, s2
.LBB119_30:
	s_delay_alu instid0(SALU_CYCLE_1)
	s_and_not1_b32 vcc_lo, exec_lo, s33
	s_cbranch_vccnz .LBB119_51
; %bb.31:
	s_waitcnt lgkmcnt(0)
	s_lshl_b64 s[0:1], s[36:37], 3
	s_delay_alu instid0(SALU_CYCLE_1)
	s_add_u32 s0, s4, s0
	s_addc_u32 s1, s5, s1
	v_sub_co_u32 v3, s4, v0, s23
	s_load_b128 s[0:3], s[0:1], 0x0
	v_sub_co_ci_u32_e64 v4, null, 0, 0, s4
	s_waitcnt lgkmcnt(0)
	s_delay_alu instid0(VALU_DEP_2) | instskip(NEXT) | instid1(VALU_DEP_2)
	v_add_co_u32 v3, vcc_lo, s0, v3
	v_add_co_ci_u32_e32 v4, vcc_lo, s1, v4, vcc_lo
	s_sub_u32 s0, s2, s23
	s_subb_u32 s1, s3, 0
	s_mov_b32 s2, 0
	s_mov_b32 s3, exec_lo
	v_cmpx_gt_i64_e64 s[0:1], v[3:4]
	s_cbranch_execz .LBB119_50
; %bb.32:
	s_mov_b32 s4, s23
	s_branch .LBB119_34
.LBB119_33:                             ;   in Loop: Header=BB119_34 Depth=1
	s_or_b32 exec_lo, exec_lo, s5
	v_add_co_u32 v3, vcc_lo, 0x200, v3
	v_add_co_ci_u32_e32 v4, vcc_lo, 0, v4, vcc_lo
	s_delay_alu instid0(VALU_DEP_1) | instskip(SKIP_1) | instid1(SALU_CYCLE_1)
	v_cmp_le_i64_e32 vcc_lo, s[0:1], v[3:4]
	s_or_b32 s2, vcc_lo, s2
	s_and_not1_b32 exec_lo, exec_lo, s2
	s_cbranch_execz .LBB119_50
.LBB119_34:                             ; =>This Loop Header: Depth=1
                                        ;     Child Loop BB119_36 Depth 2
                                        ;       Child Loop BB119_42 Depth 3
                                        ;       Child Loop BB119_48 Depth 3
	v_lshlrev_b64 v[5:6], 3, v[3:4]
	s_mov_b32 s5, 0
	s_delay_alu instid0(VALU_DEP_1) | instskip(NEXT) | instid1(VALU_DEP_2)
	v_add_co_u32 v7, vcc_lo, s8, v5
	v_add_co_ci_u32_e32 v8, vcc_lo, s9, v6, vcc_lo
	v_add_co_u32 v5, vcc_lo, s6, v5
	v_add_co_ci_u32_e32 v6, vcc_lo, s7, v6, vcc_lo
	global_load_b64 v[7:8], v[7:8], off
	global_load_b64 v[9:10], v[5:6], off
	s_waitcnt vmcnt(1)
	v_mul_f64 v[5:6], v[1:2], v[7:8]
	s_waitcnt vmcnt(0)
	v_sub_co_u32 v7, vcc_lo, v9, s4
	v_subrev_co_ci_u32_e32 v8, vcc_lo, 0, v10, vcc_lo
	s_delay_alu instid0(VALU_DEP_2) | instskip(NEXT) | instid1(VALU_DEP_1)
	v_mul_lo_u32 v9, 0x89, v7
	v_and_b32_e32 v11, 0x3ff, v9
	s_branch .LBB119_36
.LBB119_35:                             ;   in Loop: Header=BB119_36 Depth=2
	s_or_b32 exec_lo, exec_lo, s12
	s_xor_b32 s12, s13, -1
	s_delay_alu instid0(SALU_CYCLE_1) | instskip(NEXT) | instid1(SALU_CYCLE_1)
	s_and_b32 s12, exec_lo, s12
	s_or_b32 s5, s12, s5
	s_delay_alu instid0(SALU_CYCLE_1)
	s_and_not1_b32 exec_lo, exec_lo, s5
	s_cbranch_execz .LBB119_33
.LBB119_36:                             ;   Parent Loop BB119_34 Depth=1
                                        ; =>  This Loop Header: Depth=2
                                        ;       Child Loop BB119_42 Depth 3
                                        ;       Child Loop BB119_48 Depth 3
	s_delay_alu instid0(VALU_DEP_1)
	v_lshl_add_u32 v12, v11, 3, 0
	s_mov_b32 s12, exec_lo
                                        ; implicit-def: $sgpr13
	ds_load_b64 v[9:10], v12
	s_waitcnt lgkmcnt(0)
	v_cmpx_ne_u64_e64 v[9:10], v[7:8]
	s_xor_b32 s12, exec_lo, s12
	s_cbranch_execz .LBB119_46
; %bb.37:                               ;   in Loop: Header=BB119_36 Depth=2
	s_mov_b32 s14, exec_lo
                                        ; implicit-def: $sgpr13
	v_cmpx_ne_u64_e64 s[34:35], v[9:10]
	s_xor_b32 s14, exec_lo, s14
; %bb.38:                               ;   in Loop: Header=BB119_36 Depth=2
	v_add_nc_u32_e32 v9, 1, v11
	s_mov_b32 s13, -1
                                        ; implicit-def: $vgpr12
	s_delay_alu instid0(VALU_DEP_1)
	v_and_b32_e32 v11, 0x3ff, v9
; %bb.39:                               ;   in Loop: Header=BB119_36 Depth=2
	s_and_not1_saveexec_b32 s14, s14
	s_cbranch_execz .LBB119_45
; %bb.40:                               ;   in Loop: Header=BB119_36 Depth=2
	v_dual_mov_b32 v9, s34 :: v_dual_mov_b32 v10, s35
	s_mov_b32 s16, -1
	s_mov_b32 s15, exec_lo
	ds_cmpstore_rtn_b64 v[9:10], v12, v[7:8], v[9:10]
	s_waitcnt lgkmcnt(0)
	v_cmpx_eq_u64_e64 s[34:35], v[9:10]
	s_cbranch_execz .LBB119_44
; %bb.41:                               ;   in Loop: Header=BB119_36 Depth=2
	ds_load_b64 v[9:10], v12 offset:8192
	s_mov_b32 s16, 0
.LBB119_42:                             ;   Parent Loop BB119_34 Depth=1
                                        ;     Parent Loop BB119_36 Depth=2
                                        ; =>    This Inner Loop Header: Depth=3
	s_waitcnt lgkmcnt(0)
	v_add_f64 v[13:14], v[9:10], v[5:6]
	ds_cmpstore_rtn_b64 v[13:14], v12, v[13:14], v[9:10] offset:8192
	s_waitcnt lgkmcnt(0)
	v_cmp_eq_u64_e32 vcc_lo, v[13:14], v[9:10]
	v_dual_mov_b32 v9, v13 :: v_dual_mov_b32 v10, v14
	s_or_b32 s16, vcc_lo, s16
	s_delay_alu instid0(SALU_CYCLE_1)
	s_and_not1_b32 exec_lo, exec_lo, s16
	s_cbranch_execnz .LBB119_42
; %bb.43:                               ;   in Loop: Header=BB119_36 Depth=2
	s_or_b32 exec_lo, exec_lo, s16
	s_delay_alu instid0(SALU_CYCLE_1)
	s_xor_b32 s16, exec_lo, -1
.LBB119_44:                             ;   in Loop: Header=BB119_36 Depth=2
	s_or_b32 exec_lo, exec_lo, s15
	s_delay_alu instid0(SALU_CYCLE_1) | instskip(SKIP_1) | instid1(SALU_CYCLE_1)
	s_and_not1_b32 s13, s13, exec_lo
	s_and_b32 s15, s16, exec_lo
	s_or_b32 s13, s13, s15
.LBB119_45:                             ;   in Loop: Header=BB119_36 Depth=2
	s_or_b32 exec_lo, exec_lo, s14
	s_delay_alu instid0(SALU_CYCLE_1)
	s_and_b32 s13, s13, exec_lo
                                        ; implicit-def: $vgpr12
.LBB119_46:                             ;   in Loop: Header=BB119_36 Depth=2
	s_and_not1_saveexec_b32 s12, s12
	s_cbranch_execz .LBB119_35
; %bb.47:                               ;   in Loop: Header=BB119_36 Depth=2
	ds_load_b64 v[9:10], v12 offset:8192
	s_mov_b32 s14, 0
.LBB119_48:                             ;   Parent Loop BB119_34 Depth=1
                                        ;     Parent Loop BB119_36 Depth=2
                                        ; =>    This Inner Loop Header: Depth=3
	s_waitcnt lgkmcnt(0)
	v_add_f64 v[13:14], v[9:10], v[5:6]
	ds_cmpstore_rtn_b64 v[13:14], v12, v[13:14], v[9:10] offset:8192
	s_waitcnt lgkmcnt(0)
	v_cmp_eq_u64_e32 vcc_lo, v[13:14], v[9:10]
	v_dual_mov_b32 v9, v13 :: v_dual_mov_b32 v10, v14
	s_or_b32 s14, vcc_lo, s14
	s_delay_alu instid0(SALU_CYCLE_1)
	s_and_not1_b32 exec_lo, exec_lo, s14
	s_cbranch_execnz .LBB119_48
; %bb.49:                               ;   in Loop: Header=BB119_36 Depth=2
	s_or_b32 exec_lo, exec_lo, s14
	s_delay_alu instid0(SALU_CYCLE_1)
	s_and_not1_b32 s13, s13, exec_lo
	s_branch .LBB119_35
.LBB119_50:
	s_or_b32 exec_lo, exec_lo, s3
.LBB119_51:
	v_mbcnt_lo_u32_b32 v1, -1, 0
	v_lshrrev_b32_e32 v2, 3, v0
	v_cmp_eq_u32_e32 vcc_lo, 0x1ff, v0
	v_cmp_lt_u32_e64 s0, 63, v0
	v_cmp_lt_u32_e64 s1, 0x7f, v0
	v_xor_b32_e32 v1, 63, v1
	v_and_b32_e32 v2, 56, v2
	v_cmp_lt_u32_e64 s2, 0xbf, v0
	v_cmp_lt_u32_e64 s3, 0xff, v0
	v_cmp_lt_u32_e64 s4, 0x13f, v0
	v_lshrrev_b64 v[5:6], v1, -1
	v_mov_b32_e32 v6, 0
	v_dual_mov_b32 v7, 0 :: v_dual_add_nc_u32 v12, 0, v2
	v_mov_b32_e32 v9, 0
	v_cmp_lt_u32_e64 s5, 0x17f, v0
	v_cmp_lt_u32_e64 s6, 0x1bf, v0
	s_mov_b32 s8, 0
	s_waitcnt lgkmcnt(0)
	s_barrier
	buffer_gl0_inv
	s_branch .LBB119_53
.LBB119_52:                             ;   in Loop: Header=BB119_53 Depth=1
	s_or_b32 exec_lo, exec_lo, s7
	s_waitcnt lgkmcnt(0)
	s_barrier
	buffer_gl0_inv
	ds_load_b64 v[1:2], v9 offset:16440
	v_add_co_u32 v20, s7, 0x200, v20
	s_delay_alu instid0(VALU_DEP_1) | instskip(SKIP_3) | instid1(VALU_DEP_1)
	s_xor_b32 s9, s7, -1
	v_add_nc_u32_e32 v19, 0x1000, v19
	s_waitcnt lgkmcnt(0)
	v_add_co_u32 v6, s7, v1, v6
	v_add_co_ci_u32_e64 v7, s7, v2, v7, s7
	s_and_b32 s7, exec_lo, s9
	s_delay_alu instid0(SALU_CYCLE_1) | instskip(NEXT) | instid1(SALU_CYCLE_1)
	s_or_b32 s8, s7, s8
	s_and_not1_b32 exec_lo, exec_lo, s8
	s_cbranch_execz .LBB119_71
.LBB119_53:                             ; =>This Inner Loop Header: Depth=1
	ds_load_2addr_stride64_b64 v[1:4], v19 offset1:16
	s_waitcnt lgkmcnt(0)
	s_barrier
	buffer_gl0_inv
	v_cmp_gt_i64_e64 s7, s[34:35], v[1:2]
	s_delay_alu instid0(VALU_DEP_1) | instskip(SKIP_1) | instid1(SALU_CYCLE_1)
	v_and_b32_e32 v10, s7, v5
	s_bcnt1_i32_b32 s9, s7
	v_mov_b32_e32 v8, s9
	s_delay_alu instid0(VALU_DEP_2)
	v_bcnt_u32_b32 v10, v10, 0
	ds_store_b64 v12, v[8:9] offset:16384
	s_waitcnt lgkmcnt(0)
	s_barrier
	buffer_gl0_inv
	s_and_saveexec_b32 s9, s0
	s_cbranch_execnz .LBB119_62
; %bb.54:                               ;   in Loop: Header=BB119_53 Depth=1
	s_or_b32 exec_lo, exec_lo, s9
	s_and_saveexec_b32 s9, s1
	s_cbranch_execnz .LBB119_63
.LBB119_55:                             ;   in Loop: Header=BB119_53 Depth=1
	s_or_b32 exec_lo, exec_lo, s9
	s_and_saveexec_b32 s9, s2
	s_cbranch_execnz .LBB119_64
.LBB119_56:                             ;   in Loop: Header=BB119_53 Depth=1
	s_or_b32 exec_lo, exec_lo, s9
	s_and_saveexec_b32 s9, s3
	s_cbranch_execnz .LBB119_65
.LBB119_57:                             ;   in Loop: Header=BB119_53 Depth=1
	s_or_b32 exec_lo, exec_lo, s9
	s_and_saveexec_b32 s9, s4
	s_cbranch_execnz .LBB119_66
.LBB119_58:                             ;   in Loop: Header=BB119_53 Depth=1
	s_or_b32 exec_lo, exec_lo, s9
	s_and_saveexec_b32 s9, s5
	s_cbranch_execnz .LBB119_67
.LBB119_59:                             ;   in Loop: Header=BB119_53 Depth=1
	s_or_b32 exec_lo, exec_lo, s9
	s_and_saveexec_b32 s9, s6
	s_cbranch_execnz .LBB119_68
.LBB119_60:                             ;   in Loop: Header=BB119_53 Depth=1
	s_or_b32 exec_lo, exec_lo, s9
	v_ashrrev_i32_e32 v11, 31, v10
	s_and_saveexec_b32 s9, s7
	s_cbranch_execnz .LBB119_69
.LBB119_61:                             ;   in Loop: Header=BB119_53 Depth=1
	s_or_b32 exec_lo, exec_lo, s9
	s_and_saveexec_b32 s7, vcc_lo
	s_cbranch_execz .LBB119_52
	s_branch .LBB119_70
.LBB119_62:                             ;   in Loop: Header=BB119_53 Depth=1
	ds_load_b32 v8, v9 offset:16384
	s_waitcnt lgkmcnt(0)
	v_add_nc_u32_e32 v10, v8, v10
	s_or_b32 exec_lo, exec_lo, s9
	s_and_saveexec_b32 s9, s1
	s_cbranch_execz .LBB119_55
.LBB119_63:                             ;   in Loop: Header=BB119_53 Depth=1
	ds_load_b32 v8, v9 offset:16392
	s_waitcnt lgkmcnt(0)
	v_add_nc_u32_e32 v10, v10, v8
	s_or_b32 exec_lo, exec_lo, s9
	s_and_saveexec_b32 s9, s2
	s_cbranch_execz .LBB119_56
.LBB119_64:                             ;   in Loop: Header=BB119_53 Depth=1
	ds_load_b32 v8, v9 offset:16400
	s_waitcnt lgkmcnt(0)
	v_add_nc_u32_e32 v10, v10, v8
	s_or_b32 exec_lo, exec_lo, s9
	s_and_saveexec_b32 s9, s3
	s_cbranch_execz .LBB119_57
.LBB119_65:                             ;   in Loop: Header=BB119_53 Depth=1
	ds_load_b32 v8, v9 offset:16408
	s_waitcnt lgkmcnt(0)
	v_add_nc_u32_e32 v10, v10, v8
	s_or_b32 exec_lo, exec_lo, s9
	s_and_saveexec_b32 s9, s4
	s_cbranch_execz .LBB119_58
.LBB119_66:                             ;   in Loop: Header=BB119_53 Depth=1
	ds_load_b32 v8, v9 offset:16416
	s_waitcnt lgkmcnt(0)
	v_add_nc_u32_e32 v10, v10, v8
	s_or_b32 exec_lo, exec_lo, s9
	s_and_saveexec_b32 s9, s5
	s_cbranch_execz .LBB119_59
.LBB119_67:                             ;   in Loop: Header=BB119_53 Depth=1
	ds_load_b32 v8, v9 offset:16424
	s_waitcnt lgkmcnt(0)
	v_add_nc_u32_e32 v10, v10, v8
	s_or_b32 exec_lo, exec_lo, s9
	s_and_saveexec_b32 s9, s6
	s_cbranch_execz .LBB119_60
.LBB119_68:                             ;   in Loop: Header=BB119_53 Depth=1
	ds_load_b32 v8, v9 offset:16432
	s_waitcnt lgkmcnt(0)
	v_add_nc_u32_e32 v10, v10, v8
	s_or_b32 exec_lo, exec_lo, s9
	s_delay_alu instid0(VALU_DEP_1)
	v_ashrrev_i32_e32 v11, 31, v10
	s_and_saveexec_b32 s9, s7
	s_cbranch_execz .LBB119_61
.LBB119_69:                             ;   in Loop: Header=BB119_53 Depth=1
	v_add3_u32 v8, v6, -1, v10
	s_delay_alu instid0(VALU_DEP_1)
	v_lshl_add_u32 v8, v8, 3, 0
	ds_store_2addr_stride64_b64 v8, v[1:2], v[3:4] offset1:16
	s_or_b32 exec_lo, exec_lo, s9
	s_and_saveexec_b32 s7, vcc_lo
	s_cbranch_execz .LBB119_52
.LBB119_70:                             ;   in Loop: Header=BB119_53 Depth=1
	ds_store_b64 v9, v[10:11] offset:16440
	s_branch .LBB119_52
.LBB119_71:
	s_or_b32 exec_lo, exec_lo, s8
	s_lshl_b64 s[0:1], s[36:37], 3
	v_mov_b32_e32 v1, 0
	s_add_u32 s0, s10, s0
	s_addc_u32 s1, s11, s1
	s_mov_b32 s6, exec_lo
	s_load_b128 s[0:3], s[0:1], 0x0
	s_waitcnt lgkmcnt(0)
	s_sub_u32 s4, s2, s0
	s_subb_u32 s5, s3, s1
	s_delay_alu instid0(SALU_CYCLE_1)
	v_cmpx_gt_i64_e64 s[4:5], v[0:1]
	s_cbranch_execz .LBB119_81
; %bb.72:
	s_sub_u32 s8, s0, s22
	s_subb_u32 s9, s1, 0
	s_and_b32 s6, s4, 7
	s_sub_u32 s0, s0, s2
	s_subb_u32 s1, s1, s3
	s_mov_b32 s7, 0
	v_cmp_lt_u64_e64 s12, s[0:1], -7
	s_and_b32 s2, s4, -8
	s_cmp_lg_u64 s[6:7], 0
	s_mov_b32 s3, s5
	s_cselect_b32 s13, -1, 0
	s_mov_b32 s14, s7
	s_branch .LBB119_74
.LBB119_73:                             ;   in Loop: Header=BB119_74 Depth=1
	s_waitcnt lgkmcnt(0)
	v_add_co_u32 v2, vcc_lo, v2, s22
	v_lshlrev_b64 v[6:7], 3, v[6:7]
	v_add_co_ci_u32_e32 v3, vcc_lo, 0, v3, vcc_lo
	v_add_co_u32 v0, vcc_lo, 0x200, v0
	v_add_co_ci_u32_e32 v1, vcc_lo, 0, v1, vcc_lo
	s_delay_alu instid0(VALU_DEP_4) | instskip(SKIP_1) | instid1(VALU_DEP_3)
	v_add_co_u32 v8, vcc_lo, s24, v6
	v_add_co_ci_u32_e32 v9, vcc_lo, s25, v7, vcc_lo
	v_cmp_le_i64_e32 vcc_lo, s[4:5], v[0:1]
	v_add_co_u32 v6, s0, s26, v6
	s_delay_alu instid0(VALU_DEP_1) | instskip(SKIP_3) | instid1(SALU_CYCLE_1)
	v_add_co_ci_u32_e64 v7, s0, s27, v7, s0
	global_store_b64 v[8:9], v[2:3], off
	global_store_b64 v[6:7], v[4:5], off
	s_or_b32 s14, vcc_lo, s14
	s_and_not1_b32 exec_lo, exec_lo, s14
	s_cbranch_execz .LBB119_81
.LBB119_74:                             ; =>This Loop Header: Depth=1
                                        ;     Child Loop BB119_76 Depth 2
                                        ;     Child Loop BB119_80 Depth 2
	v_lshl_add_u32 v2, v0, 3, 0
	v_dual_mov_b32 v6, s8 :: v_dual_mov_b32 v7, s9
	s_and_not1_b32 vcc_lo, exec_lo, s12
	s_mov_b64 s[0:1], 0
	ds_load_2addr_stride64_b64 v[2:5], v2 offset1:16
	s_cbranch_vccnz .LBB119_78
; %bb.75:                               ;   in Loop: Header=BB119_74 Depth=1
	v_dual_mov_b32 v6, s8 :: v_dual_mov_b32 v7, s9
	s_mov_b64 s[10:11], 0
	s_mov_b32 s1, 0
.LBB119_76:                             ;   Parent Loop BB119_74 Depth=1
                                        ; =>  This Inner Loop Header: Depth=2
	s_delay_alu instid0(SALU_CYCLE_1)
	v_mov_b32_e32 v20, s1
	s_add_u32 s10, s10, 8
	s_addc_u32 s11, s11, 0
	s_add_i32 s1, s1, 64
	s_cmp_eq_u64 s[2:3], s[10:11]
	ds_load_2addr_b64 v[8:11], v20 offset1:1
	ds_load_2addr_b64 v[12:15], v20 offset0:2 offset1:3
	ds_load_2addr_b64 v[16:19], v20 offset0:4 offset1:5
	;; [unrolled: 1-line block ×3, first 2 shown]
	s_waitcnt lgkmcnt(3)
	v_cmp_gt_i64_e32 vcc_lo, v[2:3], v[8:9]
	v_cndmask_b32_e64 v8, 0, 1, vcc_lo
	v_cmp_gt_i64_e32 vcc_lo, v[2:3], v[10:11]
	v_cndmask_b32_e64 v9, 0, 1, vcc_lo
	s_waitcnt lgkmcnt(2)
	v_cmp_gt_i64_e32 vcc_lo, v[2:3], v[12:13]
	v_cndmask_b32_e64 v10, 0, 1, vcc_lo
	v_cmp_gt_i64_e32 vcc_lo, v[2:3], v[14:15]
	v_cndmask_b32_e64 v11, 0, 1, vcc_lo
	s_waitcnt lgkmcnt(1)
	v_cmp_gt_i64_e32 vcc_lo, v[2:3], v[16:17]
	v_cndmask_b32_e64 v12, 0, 1, vcc_lo
	v_add_co_u32 v6, vcc_lo, v6, v8
	v_add_co_ci_u32_e32 v7, vcc_lo, 0, v7, vcc_lo
	v_cmp_gt_i64_e32 vcc_lo, v[2:3], v[18:19]
	s_delay_alu instid0(VALU_DEP_3) | instskip(NEXT) | instid1(VALU_DEP_1)
	v_add_co_u32 v6, s0, v6, v9
	v_add_co_ci_u32_e64 v7, s0, 0, v7, s0
	v_cndmask_b32_e64 v8, 0, 1, vcc_lo
	s_delay_alu instid0(VALU_DEP_3) | instskip(NEXT) | instid1(VALU_DEP_3)
	v_add_co_u32 v6, vcc_lo, v6, v10
	v_add_co_ci_u32_e32 v7, vcc_lo, 0, v7, vcc_lo
	s_waitcnt lgkmcnt(0)
	v_cmp_gt_i64_e32 vcc_lo, v[2:3], v[20:21]
	s_delay_alu instid0(VALU_DEP_3) | instskip(NEXT) | instid1(VALU_DEP_1)
	v_add_co_u32 v6, s0, v6, v11
	v_add_co_ci_u32_e64 v7, s0, 0, v7, s0
	v_cndmask_b32_e64 v9, 0, 1, vcc_lo
	s_delay_alu instid0(VALU_DEP_3) | instskip(NEXT) | instid1(VALU_DEP_3)
	v_add_co_u32 v6, vcc_lo, v6, v12
	v_add_co_ci_u32_e32 v7, vcc_lo, 0, v7, vcc_lo
	v_cmp_gt_i64_e32 vcc_lo, v[2:3], v[22:23]
	s_delay_alu instid0(VALU_DEP_3) | instskip(NEXT) | instid1(VALU_DEP_1)
	v_add_co_u32 v6, s0, v6, v8
	v_add_co_ci_u32_e64 v7, s0, 0, v7, s0
	v_cndmask_b32_e64 v8, 0, 1, vcc_lo
	s_delay_alu instid0(VALU_DEP_3) | instskip(NEXT) | instid1(VALU_DEP_3)
	v_add_co_u32 v6, vcc_lo, v6, v9
	v_add_co_ci_u32_e32 v7, vcc_lo, 0, v7, vcc_lo
	s_delay_alu instid0(VALU_DEP_2) | instskip(NEXT) | instid1(VALU_DEP_2)
	v_add_co_u32 v6, vcc_lo, v6, v8
	v_add_co_ci_u32_e32 v7, vcc_lo, 0, v7, vcc_lo
	s_cbranch_scc0 .LBB119_76
; %bb.77:                               ;   in Loop: Header=BB119_74 Depth=1
	s_mov_b64 s[0:1], s[2:3]
.LBB119_78:                             ;   in Loop: Header=BB119_74 Depth=1
	s_and_not1_b32 vcc_lo, exec_lo, s13
	s_cbranch_vccnz .LBB119_73
; %bb.79:                               ;   in Loop: Header=BB119_74 Depth=1
	s_lshl_b32 s0, s0, 3
	s_delay_alu instid0(SALU_CYCLE_1)
	s_add_i32 s10, s0, 0
	s_mov_b64 s[0:1], s[6:7]
.LBB119_80:                             ;   Parent Loop BB119_74 Depth=1
                                        ; =>  This Inner Loop Header: Depth=2
	v_mov_b32_e32 v8, s10
	s_add_i32 s10, s10, 8
	s_add_u32 s0, s0, -1
	s_addc_u32 s1, s1, -1
	s_delay_alu instid0(SALU_CYCLE_1) | instskip(SKIP_4) | instid1(VALU_DEP_1)
	s_cmp_lg_u64 s[0:1], 0
	ds_load_b64 v[8:9], v8
	s_waitcnt lgkmcnt(0)
	v_cmp_gt_i64_e32 vcc_lo, v[2:3], v[8:9]
	v_cndmask_b32_e64 v8, 0, 1, vcc_lo
	v_add_co_u32 v6, vcc_lo, v6, v8
	v_add_co_ci_u32_e32 v7, vcc_lo, 0, v7, vcc_lo
	s_cbranch_scc1 .LBB119_80
	s_branch .LBB119_73
.LBB119_81:
	s_nop 0
	s_sendmsg sendmsg(MSG_DEALLOC_VGPRS)
	s_endpgm
	.section	.rodata,"a",@progbits
	.p2align	6, 0x0
	.amdhsa_kernel _ZN9rocsparseL26csrgemm_fill_block_per_rowILj512ELj32ELj1024ELj137ELj64ElldEEvT5_PKS1_S3_NS_24const_host_device_scalarIT6_EEPKT4_S3_PKS5_S9_S3_SB_S6_S9_S3_SB_S9_PS1_PS5_21rocsparse_index_base_SE_SE_SE_bbb
		.amdhsa_group_segment_fixed_size 0
		.amdhsa_private_segment_fixed_size 0
		.amdhsa_kernarg_size 156
		.amdhsa_user_sgpr_count 15
		.amdhsa_user_sgpr_dispatch_ptr 0
		.amdhsa_user_sgpr_queue_ptr 0
		.amdhsa_user_sgpr_kernarg_segment_ptr 1
		.amdhsa_user_sgpr_dispatch_id 0
		.amdhsa_user_sgpr_private_segment_size 0
		.amdhsa_wavefront_size32 1
		.amdhsa_uses_dynamic_stack 0
		.amdhsa_enable_private_segment 0
		.amdhsa_system_sgpr_workgroup_id_x 1
		.amdhsa_system_sgpr_workgroup_id_y 0
		.amdhsa_system_sgpr_workgroup_id_z 0
		.amdhsa_system_sgpr_workgroup_info 0
		.amdhsa_system_vgpr_workitem_id 0
		.amdhsa_next_free_vgpr 27
		.amdhsa_next_free_sgpr 44
		.amdhsa_reserve_vcc 1
		.amdhsa_float_round_mode_32 0
		.amdhsa_float_round_mode_16_64 0
		.amdhsa_float_denorm_mode_32 3
		.amdhsa_float_denorm_mode_16_64 3
		.amdhsa_dx10_clamp 1
		.amdhsa_ieee_mode 1
		.amdhsa_fp16_overflow 0
		.amdhsa_workgroup_processor_mode 1
		.amdhsa_memory_ordered 1
		.amdhsa_forward_progress 0
		.amdhsa_shared_vgpr_count 0
		.amdhsa_exception_fp_ieee_invalid_op 0
		.amdhsa_exception_fp_denorm_src 0
		.amdhsa_exception_fp_ieee_div_zero 0
		.amdhsa_exception_fp_ieee_overflow 0
		.amdhsa_exception_fp_ieee_underflow 0
		.amdhsa_exception_fp_ieee_inexact 0
		.amdhsa_exception_int_div_zero 0
	.end_amdhsa_kernel
	.section	.text._ZN9rocsparseL26csrgemm_fill_block_per_rowILj512ELj32ELj1024ELj137ELj64ElldEEvT5_PKS1_S3_NS_24const_host_device_scalarIT6_EEPKT4_S3_PKS5_S9_S3_SB_S6_S9_S3_SB_S9_PS1_PS5_21rocsparse_index_base_SE_SE_SE_bbb,"axG",@progbits,_ZN9rocsparseL26csrgemm_fill_block_per_rowILj512ELj32ELj1024ELj137ELj64ElldEEvT5_PKS1_S3_NS_24const_host_device_scalarIT6_EEPKT4_S3_PKS5_S9_S3_SB_S6_S9_S3_SB_S9_PS1_PS5_21rocsparse_index_base_SE_SE_SE_bbb,comdat
.Lfunc_end119:
	.size	_ZN9rocsparseL26csrgemm_fill_block_per_rowILj512ELj32ELj1024ELj137ELj64ElldEEvT5_PKS1_S3_NS_24const_host_device_scalarIT6_EEPKT4_S3_PKS5_S9_S3_SB_S6_S9_S3_SB_S9_PS1_PS5_21rocsparse_index_base_SE_SE_SE_bbb, .Lfunc_end119-_ZN9rocsparseL26csrgemm_fill_block_per_rowILj512ELj32ELj1024ELj137ELj64ElldEEvT5_PKS1_S3_NS_24const_host_device_scalarIT6_EEPKT4_S3_PKS5_S9_S3_SB_S6_S9_S3_SB_S9_PS1_PS5_21rocsparse_index_base_SE_SE_SE_bbb
                                        ; -- End function
	.section	.AMDGPU.csdata,"",@progbits
; Kernel info:
; codeLenInByte = 3300
; NumSgprs: 46
; NumVgprs: 27
; ScratchSize: 0
; MemoryBound: 0
; FloatMode: 240
; IeeeMode: 1
; LDSByteSize: 0 bytes/workgroup (compile time only)
; SGPRBlocks: 5
; VGPRBlocks: 3
; NumSGPRsForWavesPerEU: 46
; NumVGPRsForWavesPerEU: 27
; Occupancy: 16
; WaveLimiterHint : 1
; COMPUTE_PGM_RSRC2:SCRATCH_EN: 0
; COMPUTE_PGM_RSRC2:USER_SGPR: 15
; COMPUTE_PGM_RSRC2:TRAP_HANDLER: 0
; COMPUTE_PGM_RSRC2:TGID_X_EN: 1
; COMPUTE_PGM_RSRC2:TGID_Y_EN: 0
; COMPUTE_PGM_RSRC2:TGID_Z_EN: 0
; COMPUTE_PGM_RSRC2:TIDIG_COMP_CNT: 0
	.section	.text._ZN9rocsparseL26csrgemm_fill_block_per_rowILj1024ELj32ELj2048ELj137ELj32ElldEEvT5_PKS1_S3_NS_24const_host_device_scalarIT6_EEPKT4_S3_PKS5_S9_S3_SB_S6_S9_S3_SB_S9_PS1_PS5_21rocsparse_index_base_SE_SE_SE_bbb,"axG",@progbits,_ZN9rocsparseL26csrgemm_fill_block_per_rowILj1024ELj32ELj2048ELj137ELj32ElldEEvT5_PKS1_S3_NS_24const_host_device_scalarIT6_EEPKT4_S3_PKS5_S9_S3_SB_S6_S9_S3_SB_S9_PS1_PS5_21rocsparse_index_base_SE_SE_SE_bbb,comdat
	.globl	_ZN9rocsparseL26csrgemm_fill_block_per_rowILj1024ELj32ELj2048ELj137ELj32ElldEEvT5_PKS1_S3_NS_24const_host_device_scalarIT6_EEPKT4_S3_PKS5_S9_S3_SB_S6_S9_S3_SB_S9_PS1_PS5_21rocsparse_index_base_SE_SE_SE_bbb ; -- Begin function _ZN9rocsparseL26csrgemm_fill_block_per_rowILj1024ELj32ELj2048ELj137ELj32ElldEEvT5_PKS1_S3_NS_24const_host_device_scalarIT6_EEPKT4_S3_PKS5_S9_S3_SB_S6_S9_S3_SB_S9_PS1_PS5_21rocsparse_index_base_SE_SE_SE_bbb
	.p2align	8
	.type	_ZN9rocsparseL26csrgemm_fill_block_per_rowILj1024ELj32ELj2048ELj137ELj32ElldEEvT5_PKS1_S3_NS_24const_host_device_scalarIT6_EEPKT4_S3_PKS5_S9_S3_SB_S6_S9_S3_SB_S9_PS1_PS5_21rocsparse_index_base_SE_SE_SE_bbb,@function
_ZN9rocsparseL26csrgemm_fill_block_per_rowILj1024ELj32ELj2048ELj137ELj32ElldEEvT5_PKS1_S3_NS_24const_host_device_scalarIT6_EEPKT4_S3_PKS5_S9_S3_SB_S6_S9_S3_SB_S9_PS1_PS5_21rocsparse_index_base_SE_SE_SE_bbb: ; @_ZN9rocsparseL26csrgemm_fill_block_per_rowILj1024ELj32ELj2048ELj137ELj32ElldEEvT5_PKS1_S3_NS_24const_host_device_scalarIT6_EEPKT4_S3_PKS5_S9_S3_SB_S6_S9_S3_SB_S9_PS1_PS5_21rocsparse_index_base_SE_SE_SE_bbb
; %bb.0:
	s_clause 0x3
	s_load_b32 s3, s[0:1], 0x98
	s_load_b64 s[4:5], s[0:1], 0x18
	s_load_b128 s[44:47], s[0:1], 0x88
	s_load_b64 s[20:21], s[0:1], 0x50
	s_mov_b32 s2, s15
	s_waitcnt lgkmcnt(0)
	s_and_b32 s6, 1, s3
	s_bitcmp1_b32 s3, 16
	s_cselect_b32 s24, -1, 0
	s_cmp_eq_u32 s6, 1
	s_cselect_b32 s23, -1, 0
	s_delay_alu instid0(SALU_CYCLE_1)
	s_and_b32 s6, s23, exec_lo
	s_cselect_b32 s7, s5, 0
	s_cselect_b32 s6, s4, 0
	s_xor_b32 s8, s23, -1
	v_dual_mov_b32 v3, s6 :: v_dual_mov_b32 v4, s7
	s_or_b32 s8, s8, s24
	s_delay_alu instid0(SALU_CYCLE_1)
	s_and_b32 vcc_lo, exec_lo, s8
	s_cbranch_vccnz .LBB120_2
; %bb.1:
	v_dual_mov_b32 v1, s4 :: v_dual_mov_b32 v2, s5
	flat_load_b64 v[3:4], v[1:2]
.LBB120_2:
	s_clause 0x4
	s_load_b128 s[48:51], s[0:1], 0x78
	s_load_b256 s[36:43], s[0:1], 0x58
	s_load_b128 s[12:15], s[0:1], 0x40
	s_load_b128 s[16:19], s[0:1], 0x8
	s_load_b256 s[4:11], s[0:1], 0x20
	s_bitcmp1_b32 s3, 8
	s_cselect_b32 s22, -1, 0
	s_delay_alu instid0(SALU_CYCLE_1)
	s_and_b32 s3, s22, exec_lo
	s_cselect_b32 s27, s21, 0
	s_cselect_b32 s26, s20, 0
	s_xor_b32 s3, s22, -1
	v_dual_mov_b32 v1, s26 :: v_dual_mov_b32 v2, s27
	s_or_b32 s3, s3, s24
	s_delay_alu instid0(SALU_CYCLE_1)
	s_and_b32 vcc_lo, exec_lo, s3
	s_cbranch_vccnz .LBB120_4
; %bb.3:
	v_dual_mov_b32 v1, s20 :: v_dual_mov_b32 v2, s21
	flat_load_b64 v[1:2], v[1:2]
.LBB120_4:
	s_load_b64 s[34:35], s[0:1], 0x0
	v_mov_b32_e32 v5, 0
	v_lshl_add_u32 v19, v0, 3, 0
	v_or_b32_e32 v20, 0xfffffc00, v0
	s_mov_b32 s0, 0
	s_delay_alu instid0(VALU_DEP_1)
	v_dual_mov_b32 v9, v19 :: v_dual_mov_b32 v10, v20
	s_waitcnt lgkmcnt(0)
	v_dual_mov_b32 v7, s34 :: v_dual_mov_b32 v8, s35
	v_mov_b32_e32 v6, v5
.LBB120_5:                              ; =>This Inner Loop Header: Depth=1
	s_delay_alu instid0(VALU_DEP_3) | instskip(NEXT) | instid1(VALU_DEP_1)
	v_add_co_u32 v10, s1, 0x400, v10
	s_xor_b32 s1, s1, -1
	ds_store_2addr_stride64_b64 v9, v[7:8], v[5:6] offset1:32
	v_add_nc_u32_e32 v9, 0x2000, v9
	s_and_b32 s1, exec_lo, s1
	s_delay_alu instid0(SALU_CYCLE_1) | instskip(NEXT) | instid1(SALU_CYCLE_1)
	s_or_b32 s0, s1, s0
	s_and_not1_b32 exec_lo, exec_lo, s0
	s_cbranch_execnz .LBB120_5
; %bb.6:
	s_or_b32 exec_lo, exec_lo, s0
	s_waitcnt vmcnt(0) lgkmcnt(0)
	s_barrier
	buffer_gl0_inv
	s_load_b64 s[0:1], s[16:17], 0x0
	s_mov_b32 s3, 0
	v_lshrrev_b32_e32 v21, 5, v0
	s_waitcnt lgkmcnt(0)
	s_lshl_b64 s[0:1], s[0:1], 3
	s_delay_alu instid0(SALU_CYCLE_1) | instskip(SKIP_2) | instid1(SALU_CYCLE_1)
	s_add_u32 s16, s18, s0
	s_addc_u32 s17, s19, s1
	s_lshl_b64 s[0:1], s[2:3], 3
	s_add_u32 s0, s16, s0
	s_addc_u32 s1, s17, s1
	s_and_b32 vcc_lo, exec_lo, s23
	s_load_b64 s[52:53], s[0:1], 0x0
	s_cbranch_vccz .LBB120_30
; %bb.7:
	s_waitcnt lgkmcnt(0)
	s_lshl_b64 s[0:1], s[52:53], 3
	s_delay_alu instid0(SALU_CYCLE_1)
	s_add_u32 s0, s4, s0
	s_addc_u32 s1, s5, s1
	v_sub_co_u32 v5, s4, v21, s44
	s_load_b128 s[0:3], s[0:1], 0x0
	v_sub_co_ci_u32_e64 v6, null, 0, 0, s4
	s_waitcnt lgkmcnt(0)
	s_delay_alu instid0(VALU_DEP_2) | instskip(NEXT) | instid1(VALU_DEP_2)
	v_add_co_u32 v5, vcc_lo, s0, v5
	v_add_co_ci_u32_e32 v6, vcc_lo, s1, v6, vcc_lo
	s_sub_u32 s0, s2, s44
	s_subb_u32 s1, s3, 0
	s_mov_b32 s2, exec_lo
	s_delay_alu instid0(VALU_DEP_1)
	v_cmpx_gt_i64_e64 s[0:1], v[5:6]
	s_cbranch_execz .LBB120_29
; %bb.8:
	v_and_b32_e32 v7, 31, v0
	s_mov_b32 s4, s45
	s_delay_alu instid0(VALU_DEP_1) | instskip(NEXT) | instid1(VALU_DEP_1)
	v_sub_co_u32 v22, s3, v7, s45
	v_sub_co_ci_u32_e64 v23, null, 0, 0, s3
	s_mov_b32 s3, 0
	s_branch .LBB120_10
.LBB120_9:                              ;   in Loop: Header=BB120_10 Depth=1
	s_or_b32 exec_lo, exec_lo, s5
	v_add_co_u32 v5, vcc_lo, v5, 32
	v_add_co_ci_u32_e32 v6, vcc_lo, 0, v6, vcc_lo
	s_delay_alu instid0(VALU_DEP_1) | instskip(SKIP_1) | instid1(SALU_CYCLE_1)
	v_cmp_le_i64_e32 vcc_lo, s[0:1], v[5:6]
	s_or_b32 s3, vcc_lo, s3
	s_and_not1_b32 exec_lo, exec_lo, s3
	s_cbranch_execz .LBB120_29
.LBB120_10:                             ; =>This Loop Header: Depth=1
                                        ;     Child Loop BB120_13 Depth 2
                                        ;       Child Loop BB120_15 Depth 3
                                        ;         Child Loop BB120_21 Depth 4
                                        ;         Child Loop BB120_27 Depth 4
	v_lshlrev_b64 v[11:12], 3, v[5:6]
	s_mov_b32 s5, exec_lo
	s_delay_alu instid0(VALU_DEP_1) | instskip(NEXT) | instid1(VALU_DEP_2)
	v_add_co_u32 v7, vcc_lo, s6, v11
	v_add_co_ci_u32_e32 v8, vcc_lo, s7, v12, vcc_lo
	global_load_b64 v[7:8], v[7:8], off
	s_waitcnt vmcnt(0)
	v_sub_co_u32 v7, vcc_lo, v7, s44
	v_subrev_co_ci_u32_e32 v8, vcc_lo, 0, v8, vcc_lo
	s_delay_alu instid0(VALU_DEP_1) | instskip(NEXT) | instid1(VALU_DEP_1)
	v_lshlrev_b64 v[7:8], 3, v[7:8]
	v_add_co_u32 v7, vcc_lo, s10, v7
	s_delay_alu instid0(VALU_DEP_2)
	v_add_co_ci_u32_e32 v8, vcc_lo, s11, v8, vcc_lo
	global_load_b128 v[13:16], v[7:8], off
	s_waitcnt vmcnt(0)
	v_sub_co_u32 v7, vcc_lo, v15, s4
	v_subrev_co_ci_u32_e32 v8, vcc_lo, 0, v16, vcc_lo
	v_add_co_u32 v9, vcc_lo, v13, v22
	v_add_co_ci_u32_e32 v10, vcc_lo, v14, v23, vcc_lo
	s_delay_alu instid0(VALU_DEP_1)
	v_cmpx_lt_i64_e64 v[9:10], v[7:8]
	s_cbranch_execz .LBB120_9
; %bb.11:                               ;   in Loop: Header=BB120_10 Depth=1
	v_add_co_u32 v11, vcc_lo, s8, v11
	v_add_co_ci_u32_e32 v12, vcc_lo, s9, v12, vcc_lo
	s_mov_b32 s16, 0
	global_load_b64 v[11:12], v[11:12], off
	s_waitcnt vmcnt(0)
	v_mul_f64 v[11:12], v[3:4], v[11:12]
	s_branch .LBB120_13
.LBB120_12:                             ;   in Loop: Header=BB120_13 Depth=2
	s_or_b32 exec_lo, exec_lo, s17
	v_add_co_u32 v9, vcc_lo, v9, 32
	v_add_co_ci_u32_e32 v10, vcc_lo, 0, v10, vcc_lo
	s_delay_alu instid0(VALU_DEP_1) | instskip(SKIP_1) | instid1(SALU_CYCLE_1)
	v_cmp_ge_i64_e32 vcc_lo, v[9:10], v[7:8]
	s_or_b32 s16, vcc_lo, s16
	s_and_not1_b32 exec_lo, exec_lo, s16
	s_cbranch_execz .LBB120_9
.LBB120_13:                             ;   Parent Loop BB120_10 Depth=1
                                        ; =>  This Loop Header: Depth=2
                                        ;       Child Loop BB120_15 Depth 3
                                        ;         Child Loop BB120_21 Depth 4
                                        ;         Child Loop BB120_27 Depth 4
	v_lshlrev_b64 v[13:14], 3, v[9:10]
	s_mov_b32 s17, 0
	s_delay_alu instid0(VALU_DEP_1) | instskip(NEXT) | instid1(VALU_DEP_2)
	v_add_co_u32 v15, vcc_lo, s14, v13
	v_add_co_ci_u32_e32 v16, vcc_lo, s15, v14, vcc_lo
	v_add_co_u32 v13, vcc_lo, s12, v13
	v_add_co_ci_u32_e32 v14, vcc_lo, s13, v14, vcc_lo
	global_load_b64 v[15:16], v[15:16], off
	global_load_b64 v[17:18], v[13:14], off
	s_waitcnt vmcnt(1)
	v_mul_f64 v[13:14], v[11:12], v[15:16]
	s_waitcnt vmcnt(0)
	v_sub_co_u32 v15, vcc_lo, v17, s4
	v_subrev_co_ci_u32_e32 v16, vcc_lo, 0, v18, vcc_lo
	s_delay_alu instid0(VALU_DEP_2) | instskip(NEXT) | instid1(VALU_DEP_1)
	v_mul_lo_u32 v17, 0x89, v15
	v_and_b32_e32 v24, 0x7ff, v17
	s_branch .LBB120_15
.LBB120_14:                             ;   in Loop: Header=BB120_15 Depth=3
	s_or_b32 exec_lo, exec_lo, s18
	s_xor_b32 s18, s19, -1
	s_delay_alu instid0(SALU_CYCLE_1) | instskip(NEXT) | instid1(SALU_CYCLE_1)
	s_and_b32 s18, exec_lo, s18
	s_or_b32 s17, s18, s17
	s_delay_alu instid0(SALU_CYCLE_1)
	s_and_not1_b32 exec_lo, exec_lo, s17
	s_cbranch_execz .LBB120_12
.LBB120_15:                             ;   Parent Loop BB120_10 Depth=1
                                        ;     Parent Loop BB120_13 Depth=2
                                        ; =>    This Loop Header: Depth=3
                                        ;         Child Loop BB120_21 Depth 4
                                        ;         Child Loop BB120_27 Depth 4
	s_delay_alu instid0(VALU_DEP_1)
	v_lshl_add_u32 v25, v24, 3, 0
	s_mov_b32 s18, exec_lo
                                        ; implicit-def: $sgpr19
	ds_load_b64 v[17:18], v25
	s_waitcnt lgkmcnt(0)
	v_cmpx_ne_u64_e64 v[17:18], v[15:16]
	s_xor_b32 s18, exec_lo, s18
	s_cbranch_execz .LBB120_25
; %bb.16:                               ;   in Loop: Header=BB120_15 Depth=3
	s_mov_b32 s20, exec_lo
                                        ; implicit-def: $sgpr19
	v_cmpx_ne_u64_e64 s[34:35], v[17:18]
	s_xor_b32 s20, exec_lo, s20
; %bb.17:                               ;   in Loop: Header=BB120_15 Depth=3
	v_add_nc_u32_e32 v17, 1, v24
	s_mov_b32 s19, -1
                                        ; implicit-def: $vgpr25
	s_delay_alu instid0(VALU_DEP_1)
	v_and_b32_e32 v24, 0x7ff, v17
; %bb.18:                               ;   in Loop: Header=BB120_15 Depth=3
	s_and_not1_saveexec_b32 s20, s20
	s_cbranch_execz .LBB120_24
; %bb.19:                               ;   in Loop: Header=BB120_15 Depth=3
	v_dual_mov_b32 v17, s34 :: v_dual_mov_b32 v18, s35
	s_mov_b32 s23, -1
	s_mov_b32 s21, exec_lo
	ds_cmpstore_rtn_b64 v[17:18], v25, v[15:16], v[17:18]
	s_waitcnt lgkmcnt(0)
	v_cmpx_eq_u64_e64 s[34:35], v[17:18]
	s_cbranch_execz .LBB120_23
; %bb.20:                               ;   in Loop: Header=BB120_15 Depth=3
	ds_load_b64 v[17:18], v25 offset:16384
	s_mov_b32 s23, 0
.LBB120_21:                             ;   Parent Loop BB120_10 Depth=1
                                        ;     Parent Loop BB120_13 Depth=2
                                        ;       Parent Loop BB120_15 Depth=3
                                        ; =>      This Inner Loop Header: Depth=4
	s_waitcnt lgkmcnt(0)
	v_add_f64 v[26:27], v[17:18], v[13:14]
	ds_cmpstore_rtn_b64 v[26:27], v25, v[26:27], v[17:18] offset:16384
	s_waitcnt lgkmcnt(0)
	v_cmp_eq_u64_e32 vcc_lo, v[26:27], v[17:18]
	v_dual_mov_b32 v17, v26 :: v_dual_mov_b32 v18, v27
	s_or_b32 s23, vcc_lo, s23
	s_delay_alu instid0(SALU_CYCLE_1)
	s_and_not1_b32 exec_lo, exec_lo, s23
	s_cbranch_execnz .LBB120_21
; %bb.22:                               ;   in Loop: Header=BB120_15 Depth=3
	s_or_b32 exec_lo, exec_lo, s23
	s_delay_alu instid0(SALU_CYCLE_1)
	s_xor_b32 s23, exec_lo, -1
.LBB120_23:                             ;   in Loop: Header=BB120_15 Depth=3
	s_or_b32 exec_lo, exec_lo, s21
	s_delay_alu instid0(SALU_CYCLE_1) | instskip(SKIP_1) | instid1(SALU_CYCLE_1)
	s_and_not1_b32 s19, s19, exec_lo
	s_and_b32 s21, s23, exec_lo
	s_or_b32 s19, s19, s21
.LBB120_24:                             ;   in Loop: Header=BB120_15 Depth=3
	s_or_b32 exec_lo, exec_lo, s20
	s_delay_alu instid0(SALU_CYCLE_1)
	s_and_b32 s19, s19, exec_lo
                                        ; implicit-def: $vgpr25
.LBB120_25:                             ;   in Loop: Header=BB120_15 Depth=3
	s_and_not1_saveexec_b32 s18, s18
	s_cbranch_execz .LBB120_14
; %bb.26:                               ;   in Loop: Header=BB120_15 Depth=3
	ds_load_b64 v[17:18], v25 offset:16384
	s_mov_b32 s20, 0
.LBB120_27:                             ;   Parent Loop BB120_10 Depth=1
                                        ;     Parent Loop BB120_13 Depth=2
                                        ;       Parent Loop BB120_15 Depth=3
                                        ; =>      This Inner Loop Header: Depth=4
	s_waitcnt lgkmcnt(0)
	v_add_f64 v[26:27], v[17:18], v[13:14]
	ds_cmpstore_rtn_b64 v[26:27], v25, v[26:27], v[17:18] offset:16384
	s_waitcnt lgkmcnt(0)
	v_cmp_eq_u64_e32 vcc_lo, v[26:27], v[17:18]
	v_dual_mov_b32 v17, v26 :: v_dual_mov_b32 v18, v27
	s_or_b32 s20, vcc_lo, s20
	s_delay_alu instid0(SALU_CYCLE_1)
	s_and_not1_b32 exec_lo, exec_lo, s20
	s_cbranch_execnz .LBB120_27
; %bb.28:                               ;   in Loop: Header=BB120_15 Depth=3
	s_or_b32 exec_lo, exec_lo, s20
	s_delay_alu instid0(SALU_CYCLE_1)
	s_and_not1_b32 s19, s19, exec_lo
	s_branch .LBB120_14
.LBB120_29:
	s_or_b32 exec_lo, exec_lo, s2
.LBB120_30:
	s_delay_alu instid0(SALU_CYCLE_1)
	s_and_not1_b32 vcc_lo, exec_lo, s22
	s_cbranch_vccnz .LBB120_51
; %bb.31:
	s_waitcnt lgkmcnt(0)
	s_lshl_b64 s[0:1], s[52:53], 3
	v_sub_co_u32 v3, s4, v0, s47
	s_add_u32 s0, s36, s0
	s_addc_u32 s1, s37, s1
	v_sub_co_ci_u32_e64 v4, null, 0, 0, s4
	s_load_b128 s[0:3], s[0:1], 0x0
	s_waitcnt lgkmcnt(0)
	v_add_co_u32 v3, vcc_lo, s0, v3
	s_delay_alu instid0(VALU_DEP_2)
	v_add_co_ci_u32_e32 v4, vcc_lo, s1, v4, vcc_lo
	s_sub_u32 s0, s2, s47
	s_subb_u32 s1, s3, 0
	s_mov_b32 s2, 0
	s_mov_b32 s3, exec_lo
	v_cmpx_gt_i64_e64 s[0:1], v[3:4]
	s_cbranch_execz .LBB120_50
; %bb.32:
	s_mov_b32 s4, s47
	s_branch .LBB120_34
.LBB120_33:                             ;   in Loop: Header=BB120_34 Depth=1
	s_or_b32 exec_lo, exec_lo, s5
	v_add_co_u32 v3, vcc_lo, 0x400, v3
	v_add_co_ci_u32_e32 v4, vcc_lo, 0, v4, vcc_lo
	s_delay_alu instid0(VALU_DEP_1) | instskip(SKIP_1) | instid1(SALU_CYCLE_1)
	v_cmp_le_i64_e32 vcc_lo, s[0:1], v[3:4]
	s_or_b32 s2, vcc_lo, s2
	s_and_not1_b32 exec_lo, exec_lo, s2
	s_cbranch_execz .LBB120_50
.LBB120_34:                             ; =>This Loop Header: Depth=1
                                        ;     Child Loop BB120_36 Depth 2
                                        ;       Child Loop BB120_42 Depth 3
                                        ;       Child Loop BB120_48 Depth 3
	v_lshlrev_b64 v[5:6], 3, v[3:4]
	s_mov_b32 s5, 0
	s_delay_alu instid0(VALU_DEP_1) | instskip(NEXT) | instid1(VALU_DEP_2)
	v_add_co_u32 v7, vcc_lo, s40, v5
	v_add_co_ci_u32_e32 v8, vcc_lo, s41, v6, vcc_lo
	v_add_co_u32 v5, vcc_lo, s38, v5
	v_add_co_ci_u32_e32 v6, vcc_lo, s39, v6, vcc_lo
	global_load_b64 v[7:8], v[7:8], off
	global_load_b64 v[9:10], v[5:6], off
	s_waitcnt vmcnt(1)
	v_mul_f64 v[5:6], v[1:2], v[7:8]
	s_waitcnt vmcnt(0)
	v_sub_co_u32 v7, vcc_lo, v9, s4
	v_subrev_co_ci_u32_e32 v8, vcc_lo, 0, v10, vcc_lo
	s_delay_alu instid0(VALU_DEP_2) | instskip(NEXT) | instid1(VALU_DEP_1)
	v_mul_lo_u32 v9, 0x89, v7
	v_and_b32_e32 v11, 0x7ff, v9
	s_branch .LBB120_36
.LBB120_35:                             ;   in Loop: Header=BB120_36 Depth=2
	s_or_b32 exec_lo, exec_lo, s6
	s_xor_b32 s6, s7, -1
	s_delay_alu instid0(SALU_CYCLE_1) | instskip(NEXT) | instid1(SALU_CYCLE_1)
	s_and_b32 s6, exec_lo, s6
	s_or_b32 s5, s6, s5
	s_delay_alu instid0(SALU_CYCLE_1)
	s_and_not1_b32 exec_lo, exec_lo, s5
	s_cbranch_execz .LBB120_33
.LBB120_36:                             ;   Parent Loop BB120_34 Depth=1
                                        ; =>  This Loop Header: Depth=2
                                        ;       Child Loop BB120_42 Depth 3
                                        ;       Child Loop BB120_48 Depth 3
	s_delay_alu instid0(VALU_DEP_1)
	v_lshl_add_u32 v12, v11, 3, 0
	s_mov_b32 s6, exec_lo
                                        ; implicit-def: $sgpr7
	ds_load_b64 v[9:10], v12
	s_waitcnt lgkmcnt(0)
	v_cmpx_ne_u64_e64 v[9:10], v[7:8]
	s_xor_b32 s6, exec_lo, s6
	s_cbranch_execz .LBB120_46
; %bb.37:                               ;   in Loop: Header=BB120_36 Depth=2
	s_mov_b32 s8, exec_lo
                                        ; implicit-def: $sgpr7
	v_cmpx_ne_u64_e64 s[34:35], v[9:10]
	s_xor_b32 s8, exec_lo, s8
; %bb.38:                               ;   in Loop: Header=BB120_36 Depth=2
	v_add_nc_u32_e32 v9, 1, v11
	s_mov_b32 s7, -1
                                        ; implicit-def: $vgpr12
	s_delay_alu instid0(VALU_DEP_1)
	v_and_b32_e32 v11, 0x7ff, v9
; %bb.39:                               ;   in Loop: Header=BB120_36 Depth=2
	s_and_not1_saveexec_b32 s8, s8
	s_cbranch_execz .LBB120_45
; %bb.40:                               ;   in Loop: Header=BB120_36 Depth=2
	v_dual_mov_b32 v9, s34 :: v_dual_mov_b32 v10, s35
	s_mov_b32 s10, -1
	s_mov_b32 s9, exec_lo
	ds_cmpstore_rtn_b64 v[9:10], v12, v[7:8], v[9:10]
	s_waitcnt lgkmcnt(0)
	v_cmpx_eq_u64_e64 s[34:35], v[9:10]
	s_cbranch_execz .LBB120_44
; %bb.41:                               ;   in Loop: Header=BB120_36 Depth=2
	ds_load_b64 v[9:10], v12 offset:16384
	s_mov_b32 s10, 0
.LBB120_42:                             ;   Parent Loop BB120_34 Depth=1
                                        ;     Parent Loop BB120_36 Depth=2
                                        ; =>    This Inner Loop Header: Depth=3
	s_waitcnt lgkmcnt(0)
	v_add_f64 v[13:14], v[9:10], v[5:6]
	ds_cmpstore_rtn_b64 v[13:14], v12, v[13:14], v[9:10] offset:16384
	s_waitcnt lgkmcnt(0)
	v_cmp_eq_u64_e32 vcc_lo, v[13:14], v[9:10]
	v_dual_mov_b32 v9, v13 :: v_dual_mov_b32 v10, v14
	s_or_b32 s10, vcc_lo, s10
	s_delay_alu instid0(SALU_CYCLE_1)
	s_and_not1_b32 exec_lo, exec_lo, s10
	s_cbranch_execnz .LBB120_42
; %bb.43:                               ;   in Loop: Header=BB120_36 Depth=2
	s_or_b32 exec_lo, exec_lo, s10
	s_delay_alu instid0(SALU_CYCLE_1)
	s_xor_b32 s10, exec_lo, -1
.LBB120_44:                             ;   in Loop: Header=BB120_36 Depth=2
	s_or_b32 exec_lo, exec_lo, s9
	s_delay_alu instid0(SALU_CYCLE_1) | instskip(SKIP_1) | instid1(SALU_CYCLE_1)
	s_and_not1_b32 s7, s7, exec_lo
	s_and_b32 s9, s10, exec_lo
	s_or_b32 s7, s7, s9
.LBB120_45:                             ;   in Loop: Header=BB120_36 Depth=2
	s_or_b32 exec_lo, exec_lo, s8
	s_delay_alu instid0(SALU_CYCLE_1)
	s_and_b32 s7, s7, exec_lo
                                        ; implicit-def: $vgpr12
.LBB120_46:                             ;   in Loop: Header=BB120_36 Depth=2
	s_and_not1_saveexec_b32 s6, s6
	s_cbranch_execz .LBB120_35
; %bb.47:                               ;   in Loop: Header=BB120_36 Depth=2
	ds_load_b64 v[9:10], v12 offset:16384
	s_mov_b32 s8, 0
.LBB120_48:                             ;   Parent Loop BB120_34 Depth=1
                                        ;     Parent Loop BB120_36 Depth=2
                                        ; =>    This Inner Loop Header: Depth=3
	s_waitcnt lgkmcnt(0)
	v_add_f64 v[13:14], v[9:10], v[5:6]
	ds_cmpstore_rtn_b64 v[13:14], v12, v[13:14], v[9:10] offset:16384
	s_waitcnt lgkmcnt(0)
	v_cmp_eq_u64_e32 vcc_lo, v[13:14], v[9:10]
	v_dual_mov_b32 v9, v13 :: v_dual_mov_b32 v10, v14
	s_or_b32 s8, vcc_lo, s8
	s_delay_alu instid0(SALU_CYCLE_1)
	s_and_not1_b32 exec_lo, exec_lo, s8
	s_cbranch_execnz .LBB120_48
; %bb.49:                               ;   in Loop: Header=BB120_36 Depth=2
	s_or_b32 exec_lo, exec_lo, s8
	s_delay_alu instid0(SALU_CYCLE_1)
	s_and_not1_b32 s7, s7, exec_lo
	s_branch .LBB120_35
.LBB120_50:
	s_or_b32 exec_lo, exec_lo, s3
.LBB120_51:
	v_mbcnt_lo_u32_b32 v1, -1, 0
	v_lshl_add_u32 v12, v21, 3, 0
	v_cmp_eq_u32_e32 vcc_lo, 0x3ff, v0
	v_cmp_lt_u32_e64 s0, 31, v0
	v_cmp_lt_u32_e64 s1, 63, v0
	v_xor_b32_e32 v1, 63, v1
	v_cmp_lt_u32_e64 s2, 0x5f, v0
	v_cmp_lt_u32_e64 s3, 0x7f, v0
	;; [unrolled: 1-line block ×4, first 2 shown]
	v_lshrrev_b64 v[5:6], v1, -1
	v_dual_mov_b32 v6, 0 :: v_dual_mov_b32 v9, 0
	v_cmp_lt_u32_e64 s6, 0xdf, v0
	v_cmp_lt_u32_e64 s7, 0xff, v0
	;; [unrolled: 1-line block ×25, first 2 shown]
	v_mov_b32_e32 v7, 0
	s_mov_b32 s33, 0
	s_waitcnt lgkmcnt(0)
	s_barrier
	buffer_gl0_inv
	s_branch .LBB120_53
.LBB120_52:                             ;   in Loop: Header=BB120_53 Depth=1
	s_or_b32 exec_lo, exec_lo, s31
	s_waitcnt lgkmcnt(0)
	s_barrier
	buffer_gl0_inv
	ds_load_b64 v[1:2], v9 offset:33016
	v_add_co_u32 v20, s31, 0x400, v20
	s_delay_alu instid0(VALU_DEP_1) | instskip(SKIP_3) | instid1(VALU_DEP_1)
	s_xor_b32 s36, s31, -1
	v_add_nc_u32_e32 v19, 0x2000, v19
	s_waitcnt lgkmcnt(0)
	v_add_co_u32 v6, s31, v1, v6
	v_add_co_ci_u32_e64 v7, s31, v2, v7, s31
	s_and_b32 s31, exec_lo, s36
	s_delay_alu instid0(SALU_CYCLE_1) | instskip(NEXT) | instid1(SALU_CYCLE_1)
	s_or_b32 s33, s31, s33
	s_and_not1_b32 exec_lo, exec_lo, s33
	s_cbranch_execz .LBB120_119
.LBB120_53:                             ; =>This Inner Loop Header: Depth=1
	ds_load_2addr_stride64_b64 v[1:4], v19 offset1:32
	s_waitcnt lgkmcnt(0)
	s_barrier
	buffer_gl0_inv
	v_cmp_gt_i64_e64 s31, s[34:35], v[1:2]
	s_delay_alu instid0(VALU_DEP_1) | instskip(SKIP_1) | instid1(SALU_CYCLE_1)
	v_and_b32_e32 v10, s31, v5
	s_bcnt1_i32_b32 s36, s31
	v_mov_b32_e32 v8, s36
	s_delay_alu instid0(VALU_DEP_2)
	v_bcnt_u32_b32 v10, v10, 0
	ds_store_b64 v12, v[8:9] offset:32768
	s_waitcnt lgkmcnt(0)
	s_barrier
	buffer_gl0_inv
	s_and_saveexec_b32 s36, s0
	s_cbranch_execnz .LBB120_86
; %bb.54:                               ;   in Loop: Header=BB120_53 Depth=1
	s_or_b32 exec_lo, exec_lo, s36
	s_and_saveexec_b32 s36, s1
	s_cbranch_execnz .LBB120_87
.LBB120_55:                             ;   in Loop: Header=BB120_53 Depth=1
	s_or_b32 exec_lo, exec_lo, s36
	s_and_saveexec_b32 s36, s2
	s_cbranch_execnz .LBB120_88
.LBB120_56:                             ;   in Loop: Header=BB120_53 Depth=1
	s_or_b32 exec_lo, exec_lo, s36
	s_and_saveexec_b32 s36, s3
	s_cbranch_execnz .LBB120_89
.LBB120_57:                             ;   in Loop: Header=BB120_53 Depth=1
	s_or_b32 exec_lo, exec_lo, s36
	s_and_saveexec_b32 s36, s4
	s_cbranch_execnz .LBB120_90
.LBB120_58:                             ;   in Loop: Header=BB120_53 Depth=1
	s_or_b32 exec_lo, exec_lo, s36
	s_and_saveexec_b32 s36, s5
	s_cbranch_execnz .LBB120_91
.LBB120_59:                             ;   in Loop: Header=BB120_53 Depth=1
	s_or_b32 exec_lo, exec_lo, s36
	s_and_saveexec_b32 s36, s6
	s_cbranch_execnz .LBB120_92
.LBB120_60:                             ;   in Loop: Header=BB120_53 Depth=1
	s_or_b32 exec_lo, exec_lo, s36
	s_and_saveexec_b32 s36, s7
	s_cbranch_execnz .LBB120_93
.LBB120_61:                             ;   in Loop: Header=BB120_53 Depth=1
	s_or_b32 exec_lo, exec_lo, s36
	s_and_saveexec_b32 s36, s8
	s_cbranch_execnz .LBB120_94
.LBB120_62:                             ;   in Loop: Header=BB120_53 Depth=1
	s_or_b32 exec_lo, exec_lo, s36
	s_and_saveexec_b32 s36, s9
	s_cbranch_execnz .LBB120_95
.LBB120_63:                             ;   in Loop: Header=BB120_53 Depth=1
	s_or_b32 exec_lo, exec_lo, s36
	s_and_saveexec_b32 s36, s10
	s_cbranch_execnz .LBB120_96
.LBB120_64:                             ;   in Loop: Header=BB120_53 Depth=1
	s_or_b32 exec_lo, exec_lo, s36
	s_and_saveexec_b32 s36, s11
	s_cbranch_execnz .LBB120_97
.LBB120_65:                             ;   in Loop: Header=BB120_53 Depth=1
	s_or_b32 exec_lo, exec_lo, s36
	s_and_saveexec_b32 s36, s12
	s_cbranch_execnz .LBB120_98
.LBB120_66:                             ;   in Loop: Header=BB120_53 Depth=1
	s_or_b32 exec_lo, exec_lo, s36
	s_and_saveexec_b32 s36, s13
	s_cbranch_execnz .LBB120_99
.LBB120_67:                             ;   in Loop: Header=BB120_53 Depth=1
	s_or_b32 exec_lo, exec_lo, s36
	s_and_saveexec_b32 s36, s14
	s_cbranch_execnz .LBB120_100
.LBB120_68:                             ;   in Loop: Header=BB120_53 Depth=1
	s_or_b32 exec_lo, exec_lo, s36
	s_and_saveexec_b32 s36, s15
	s_cbranch_execnz .LBB120_101
.LBB120_69:                             ;   in Loop: Header=BB120_53 Depth=1
	s_or_b32 exec_lo, exec_lo, s36
	s_and_saveexec_b32 s36, s16
	s_cbranch_execnz .LBB120_102
.LBB120_70:                             ;   in Loop: Header=BB120_53 Depth=1
	s_or_b32 exec_lo, exec_lo, s36
	s_and_saveexec_b32 s36, s17
	s_cbranch_execnz .LBB120_103
.LBB120_71:                             ;   in Loop: Header=BB120_53 Depth=1
	s_or_b32 exec_lo, exec_lo, s36
	s_and_saveexec_b32 s36, s18
	s_cbranch_execnz .LBB120_104
.LBB120_72:                             ;   in Loop: Header=BB120_53 Depth=1
	s_or_b32 exec_lo, exec_lo, s36
	s_and_saveexec_b32 s36, s19
	s_cbranch_execnz .LBB120_105
.LBB120_73:                             ;   in Loop: Header=BB120_53 Depth=1
	s_or_b32 exec_lo, exec_lo, s36
	s_and_saveexec_b32 s36, s20
	s_cbranch_execnz .LBB120_106
.LBB120_74:                             ;   in Loop: Header=BB120_53 Depth=1
	s_or_b32 exec_lo, exec_lo, s36
	s_and_saveexec_b32 s36, s21
	s_cbranch_execnz .LBB120_107
.LBB120_75:                             ;   in Loop: Header=BB120_53 Depth=1
	s_or_b32 exec_lo, exec_lo, s36
	s_and_saveexec_b32 s36, s22
	s_cbranch_execnz .LBB120_108
.LBB120_76:                             ;   in Loop: Header=BB120_53 Depth=1
	s_or_b32 exec_lo, exec_lo, s36
	s_and_saveexec_b32 s36, s23
	s_cbranch_execnz .LBB120_109
.LBB120_77:                             ;   in Loop: Header=BB120_53 Depth=1
	s_or_b32 exec_lo, exec_lo, s36
	s_and_saveexec_b32 s36, s24
	s_cbranch_execnz .LBB120_110
.LBB120_78:                             ;   in Loop: Header=BB120_53 Depth=1
	s_or_b32 exec_lo, exec_lo, s36
	s_and_saveexec_b32 s36, s25
	s_cbranch_execnz .LBB120_111
.LBB120_79:                             ;   in Loop: Header=BB120_53 Depth=1
	s_or_b32 exec_lo, exec_lo, s36
	s_and_saveexec_b32 s36, s26
	s_cbranch_execnz .LBB120_112
.LBB120_80:                             ;   in Loop: Header=BB120_53 Depth=1
	s_or_b32 exec_lo, exec_lo, s36
	s_and_saveexec_b32 s36, s27
	s_cbranch_execnz .LBB120_113
.LBB120_81:                             ;   in Loop: Header=BB120_53 Depth=1
	s_or_b32 exec_lo, exec_lo, s36
	s_and_saveexec_b32 s36, s28
	s_cbranch_execnz .LBB120_114
.LBB120_82:                             ;   in Loop: Header=BB120_53 Depth=1
	s_or_b32 exec_lo, exec_lo, s36
	s_and_saveexec_b32 s36, s29
	s_cbranch_execnz .LBB120_115
.LBB120_83:                             ;   in Loop: Header=BB120_53 Depth=1
	s_or_b32 exec_lo, exec_lo, s36
	s_and_saveexec_b32 s36, s30
	s_cbranch_execnz .LBB120_116
.LBB120_84:                             ;   in Loop: Header=BB120_53 Depth=1
	s_or_b32 exec_lo, exec_lo, s36
	v_ashrrev_i32_e32 v11, 31, v10
	s_and_saveexec_b32 s36, s31
	s_cbranch_execnz .LBB120_117
.LBB120_85:                             ;   in Loop: Header=BB120_53 Depth=1
	s_or_b32 exec_lo, exec_lo, s36
	s_and_saveexec_b32 s31, vcc_lo
	s_cbranch_execz .LBB120_52
	s_branch .LBB120_118
.LBB120_86:                             ;   in Loop: Header=BB120_53 Depth=1
	ds_load_b32 v8, v9 offset:32768
	s_waitcnt lgkmcnt(0)
	v_add_nc_u32_e32 v10, v8, v10
	s_or_b32 exec_lo, exec_lo, s36
	s_and_saveexec_b32 s36, s1
	s_cbranch_execz .LBB120_55
.LBB120_87:                             ;   in Loop: Header=BB120_53 Depth=1
	ds_load_b32 v8, v9 offset:32776
	s_waitcnt lgkmcnt(0)
	v_add_nc_u32_e32 v10, v10, v8
	s_or_b32 exec_lo, exec_lo, s36
	s_and_saveexec_b32 s36, s2
	s_cbranch_execz .LBB120_56
.LBB120_88:                             ;   in Loop: Header=BB120_53 Depth=1
	ds_load_b32 v8, v9 offset:32784
	s_waitcnt lgkmcnt(0)
	v_add_nc_u32_e32 v10, v10, v8
	s_or_b32 exec_lo, exec_lo, s36
	s_and_saveexec_b32 s36, s3
	s_cbranch_execz .LBB120_57
.LBB120_89:                             ;   in Loop: Header=BB120_53 Depth=1
	ds_load_b32 v8, v9 offset:32792
	s_waitcnt lgkmcnt(0)
	v_add_nc_u32_e32 v10, v10, v8
	s_or_b32 exec_lo, exec_lo, s36
	s_and_saveexec_b32 s36, s4
	s_cbranch_execz .LBB120_58
.LBB120_90:                             ;   in Loop: Header=BB120_53 Depth=1
	ds_load_b32 v8, v9 offset:32800
	s_waitcnt lgkmcnt(0)
	v_add_nc_u32_e32 v10, v10, v8
	s_or_b32 exec_lo, exec_lo, s36
	s_and_saveexec_b32 s36, s5
	s_cbranch_execz .LBB120_59
.LBB120_91:                             ;   in Loop: Header=BB120_53 Depth=1
	ds_load_b32 v8, v9 offset:32808
	s_waitcnt lgkmcnt(0)
	v_add_nc_u32_e32 v10, v10, v8
	s_or_b32 exec_lo, exec_lo, s36
	s_and_saveexec_b32 s36, s6
	s_cbranch_execz .LBB120_60
.LBB120_92:                             ;   in Loop: Header=BB120_53 Depth=1
	ds_load_b32 v8, v9 offset:32816
	s_waitcnt lgkmcnt(0)
	v_add_nc_u32_e32 v10, v10, v8
	s_or_b32 exec_lo, exec_lo, s36
	s_and_saveexec_b32 s36, s7
	s_cbranch_execz .LBB120_61
.LBB120_93:                             ;   in Loop: Header=BB120_53 Depth=1
	ds_load_b32 v8, v9 offset:32824
	s_waitcnt lgkmcnt(0)
	v_add_nc_u32_e32 v10, v10, v8
	s_or_b32 exec_lo, exec_lo, s36
	s_and_saveexec_b32 s36, s8
	s_cbranch_execz .LBB120_62
.LBB120_94:                             ;   in Loop: Header=BB120_53 Depth=1
	ds_load_b32 v8, v9 offset:32832
	s_waitcnt lgkmcnt(0)
	v_add_nc_u32_e32 v10, v10, v8
	s_or_b32 exec_lo, exec_lo, s36
	s_and_saveexec_b32 s36, s9
	s_cbranch_execz .LBB120_63
.LBB120_95:                             ;   in Loop: Header=BB120_53 Depth=1
	ds_load_b32 v8, v9 offset:32840
	s_waitcnt lgkmcnt(0)
	v_add_nc_u32_e32 v10, v10, v8
	s_or_b32 exec_lo, exec_lo, s36
	s_and_saveexec_b32 s36, s10
	s_cbranch_execz .LBB120_64
.LBB120_96:                             ;   in Loop: Header=BB120_53 Depth=1
	ds_load_b32 v8, v9 offset:32848
	s_waitcnt lgkmcnt(0)
	v_add_nc_u32_e32 v10, v10, v8
	s_or_b32 exec_lo, exec_lo, s36
	s_and_saveexec_b32 s36, s11
	s_cbranch_execz .LBB120_65
.LBB120_97:                             ;   in Loop: Header=BB120_53 Depth=1
	ds_load_b32 v8, v9 offset:32856
	s_waitcnt lgkmcnt(0)
	v_add_nc_u32_e32 v10, v10, v8
	s_or_b32 exec_lo, exec_lo, s36
	s_and_saveexec_b32 s36, s12
	s_cbranch_execz .LBB120_66
.LBB120_98:                             ;   in Loop: Header=BB120_53 Depth=1
	ds_load_b32 v8, v9 offset:32864
	s_waitcnt lgkmcnt(0)
	v_add_nc_u32_e32 v10, v10, v8
	s_or_b32 exec_lo, exec_lo, s36
	s_and_saveexec_b32 s36, s13
	s_cbranch_execz .LBB120_67
.LBB120_99:                             ;   in Loop: Header=BB120_53 Depth=1
	ds_load_b32 v8, v9 offset:32872
	s_waitcnt lgkmcnt(0)
	v_add_nc_u32_e32 v10, v10, v8
	s_or_b32 exec_lo, exec_lo, s36
	s_and_saveexec_b32 s36, s14
	s_cbranch_execz .LBB120_68
.LBB120_100:                            ;   in Loop: Header=BB120_53 Depth=1
	ds_load_b32 v8, v9 offset:32880
	s_waitcnt lgkmcnt(0)
	v_add_nc_u32_e32 v10, v10, v8
	s_or_b32 exec_lo, exec_lo, s36
	s_and_saveexec_b32 s36, s15
	s_cbranch_execz .LBB120_69
.LBB120_101:                            ;   in Loop: Header=BB120_53 Depth=1
	ds_load_b32 v8, v9 offset:32888
	s_waitcnt lgkmcnt(0)
	v_add_nc_u32_e32 v10, v10, v8
	s_or_b32 exec_lo, exec_lo, s36
	s_and_saveexec_b32 s36, s16
	s_cbranch_execz .LBB120_70
.LBB120_102:                            ;   in Loop: Header=BB120_53 Depth=1
	ds_load_b32 v8, v9 offset:32896
	s_waitcnt lgkmcnt(0)
	v_add_nc_u32_e32 v10, v10, v8
	s_or_b32 exec_lo, exec_lo, s36
	s_and_saveexec_b32 s36, s17
	s_cbranch_execz .LBB120_71
.LBB120_103:                            ;   in Loop: Header=BB120_53 Depth=1
	ds_load_b32 v8, v9 offset:32904
	s_waitcnt lgkmcnt(0)
	v_add_nc_u32_e32 v10, v10, v8
	s_or_b32 exec_lo, exec_lo, s36
	s_and_saveexec_b32 s36, s18
	s_cbranch_execz .LBB120_72
.LBB120_104:                            ;   in Loop: Header=BB120_53 Depth=1
	ds_load_b32 v8, v9 offset:32912
	s_waitcnt lgkmcnt(0)
	v_add_nc_u32_e32 v10, v10, v8
	s_or_b32 exec_lo, exec_lo, s36
	s_and_saveexec_b32 s36, s19
	s_cbranch_execz .LBB120_73
.LBB120_105:                            ;   in Loop: Header=BB120_53 Depth=1
	ds_load_b32 v8, v9 offset:32920
	s_waitcnt lgkmcnt(0)
	v_add_nc_u32_e32 v10, v10, v8
	s_or_b32 exec_lo, exec_lo, s36
	s_and_saveexec_b32 s36, s20
	s_cbranch_execz .LBB120_74
.LBB120_106:                            ;   in Loop: Header=BB120_53 Depth=1
	ds_load_b32 v8, v9 offset:32928
	s_waitcnt lgkmcnt(0)
	v_add_nc_u32_e32 v10, v10, v8
	s_or_b32 exec_lo, exec_lo, s36
	s_and_saveexec_b32 s36, s21
	s_cbranch_execz .LBB120_75
.LBB120_107:                            ;   in Loop: Header=BB120_53 Depth=1
	ds_load_b32 v8, v9 offset:32936
	s_waitcnt lgkmcnt(0)
	v_add_nc_u32_e32 v10, v10, v8
	s_or_b32 exec_lo, exec_lo, s36
	s_and_saveexec_b32 s36, s22
	s_cbranch_execz .LBB120_76
.LBB120_108:                            ;   in Loop: Header=BB120_53 Depth=1
	ds_load_b32 v8, v9 offset:32944
	s_waitcnt lgkmcnt(0)
	v_add_nc_u32_e32 v10, v10, v8
	s_or_b32 exec_lo, exec_lo, s36
	s_and_saveexec_b32 s36, s23
	s_cbranch_execz .LBB120_77
.LBB120_109:                            ;   in Loop: Header=BB120_53 Depth=1
	ds_load_b32 v8, v9 offset:32952
	s_waitcnt lgkmcnt(0)
	v_add_nc_u32_e32 v10, v10, v8
	s_or_b32 exec_lo, exec_lo, s36
	s_and_saveexec_b32 s36, s24
	s_cbranch_execz .LBB120_78
.LBB120_110:                            ;   in Loop: Header=BB120_53 Depth=1
	ds_load_b32 v8, v9 offset:32960
	s_waitcnt lgkmcnt(0)
	v_add_nc_u32_e32 v10, v10, v8
	s_or_b32 exec_lo, exec_lo, s36
	s_and_saveexec_b32 s36, s25
	s_cbranch_execz .LBB120_79
.LBB120_111:                            ;   in Loop: Header=BB120_53 Depth=1
	ds_load_b32 v8, v9 offset:32968
	s_waitcnt lgkmcnt(0)
	v_add_nc_u32_e32 v10, v10, v8
	s_or_b32 exec_lo, exec_lo, s36
	s_and_saveexec_b32 s36, s26
	s_cbranch_execz .LBB120_80
.LBB120_112:                            ;   in Loop: Header=BB120_53 Depth=1
	ds_load_b32 v8, v9 offset:32976
	s_waitcnt lgkmcnt(0)
	v_add_nc_u32_e32 v10, v10, v8
	s_or_b32 exec_lo, exec_lo, s36
	s_and_saveexec_b32 s36, s27
	s_cbranch_execz .LBB120_81
.LBB120_113:                            ;   in Loop: Header=BB120_53 Depth=1
	ds_load_b32 v8, v9 offset:32984
	s_waitcnt lgkmcnt(0)
	v_add_nc_u32_e32 v10, v10, v8
	s_or_b32 exec_lo, exec_lo, s36
	s_and_saveexec_b32 s36, s28
	s_cbranch_execz .LBB120_82
.LBB120_114:                            ;   in Loop: Header=BB120_53 Depth=1
	ds_load_b32 v8, v9 offset:32992
	s_waitcnt lgkmcnt(0)
	v_add_nc_u32_e32 v10, v10, v8
	s_or_b32 exec_lo, exec_lo, s36
	s_and_saveexec_b32 s36, s29
	s_cbranch_execz .LBB120_83
.LBB120_115:                            ;   in Loop: Header=BB120_53 Depth=1
	ds_load_b32 v8, v9 offset:33000
	s_waitcnt lgkmcnt(0)
	v_add_nc_u32_e32 v10, v10, v8
	s_or_b32 exec_lo, exec_lo, s36
	s_and_saveexec_b32 s36, s30
	s_cbranch_execz .LBB120_84
.LBB120_116:                            ;   in Loop: Header=BB120_53 Depth=1
	ds_load_b32 v8, v9 offset:33008
	s_waitcnt lgkmcnt(0)
	v_add_nc_u32_e32 v10, v10, v8
	s_or_b32 exec_lo, exec_lo, s36
	s_delay_alu instid0(VALU_DEP_1)
	v_ashrrev_i32_e32 v11, 31, v10
	s_and_saveexec_b32 s36, s31
	s_cbranch_execz .LBB120_85
.LBB120_117:                            ;   in Loop: Header=BB120_53 Depth=1
	v_add3_u32 v8, v6, -1, v10
	s_delay_alu instid0(VALU_DEP_1)
	v_lshl_add_u32 v8, v8, 3, 0
	ds_store_2addr_stride64_b64 v8, v[1:2], v[3:4] offset1:32
	s_or_b32 exec_lo, exec_lo, s36
	s_and_saveexec_b32 s31, vcc_lo
	s_cbranch_execz .LBB120_52
.LBB120_118:                            ;   in Loop: Header=BB120_53 Depth=1
	ds_store_b64 v9, v[10:11] offset:33016
	s_branch .LBB120_52
.LBB120_119:
	s_or_b32 exec_lo, exec_lo, s33
	s_lshl_b64 s[0:1], s[52:53], 3
	v_mov_b32_e32 v1, 0
	s_add_u32 s0, s42, s0
	s_addc_u32 s1, s43, s1
	s_mov_b32 s6, exec_lo
	s_load_b128 s[0:3], s[0:1], 0x0
	s_waitcnt lgkmcnt(0)
	s_sub_u32 s4, s2, s0
	s_subb_u32 s5, s3, s1
	s_delay_alu instid0(SALU_CYCLE_1)
	v_cmpx_gt_i64_e64 s[4:5], v[0:1]
	s_cbranch_execz .LBB120_129
; %bb.120:
	s_sub_u32 s8, s0, s46
	s_subb_u32 s9, s1, 0
	s_and_b32 s6, s4, 7
	s_sub_u32 s0, s0, s2
	s_subb_u32 s1, s1, s3
	s_mov_b32 s7, 0
	v_cmp_lt_u64_e64 s12, s[0:1], -7
	s_and_b32 s2, s4, -8
	s_cmp_lg_u64 s[6:7], 0
	s_mov_b32 s3, s5
	s_cselect_b32 s13, -1, 0
	s_mov_b32 s14, s7
	s_branch .LBB120_122
.LBB120_121:                            ;   in Loop: Header=BB120_122 Depth=1
	s_waitcnt lgkmcnt(0)
	v_add_co_u32 v2, vcc_lo, v2, s46
	v_lshlrev_b64 v[6:7], 3, v[6:7]
	v_add_co_ci_u32_e32 v3, vcc_lo, 0, v3, vcc_lo
	v_add_co_u32 v0, vcc_lo, 0x400, v0
	v_add_co_ci_u32_e32 v1, vcc_lo, 0, v1, vcc_lo
	s_delay_alu instid0(VALU_DEP_4) | instskip(SKIP_1) | instid1(VALU_DEP_3)
	v_add_co_u32 v8, vcc_lo, s48, v6
	v_add_co_ci_u32_e32 v9, vcc_lo, s49, v7, vcc_lo
	v_cmp_le_i64_e32 vcc_lo, s[4:5], v[0:1]
	v_add_co_u32 v6, s0, s50, v6
	s_delay_alu instid0(VALU_DEP_1) | instskip(SKIP_3) | instid1(SALU_CYCLE_1)
	v_add_co_ci_u32_e64 v7, s0, s51, v7, s0
	global_store_b64 v[8:9], v[2:3], off
	global_store_b64 v[6:7], v[4:5], off
	s_or_b32 s14, vcc_lo, s14
	s_and_not1_b32 exec_lo, exec_lo, s14
	s_cbranch_execz .LBB120_129
.LBB120_122:                            ; =>This Loop Header: Depth=1
                                        ;     Child Loop BB120_124 Depth 2
                                        ;     Child Loop BB120_128 Depth 2
	v_lshl_add_u32 v2, v0, 3, 0
	v_dual_mov_b32 v6, s8 :: v_dual_mov_b32 v7, s9
	s_and_not1_b32 vcc_lo, exec_lo, s12
	s_mov_b64 s[0:1], 0
	ds_load_2addr_stride64_b64 v[2:5], v2 offset1:32
	s_cbranch_vccnz .LBB120_126
; %bb.123:                              ;   in Loop: Header=BB120_122 Depth=1
	v_dual_mov_b32 v6, s8 :: v_dual_mov_b32 v7, s9
	s_mov_b64 s[10:11], 0
	s_mov_b32 s1, 0
.LBB120_124:                            ;   Parent Loop BB120_122 Depth=1
                                        ; =>  This Inner Loop Header: Depth=2
	s_delay_alu instid0(SALU_CYCLE_1)
	v_mov_b32_e32 v20, s1
	s_add_u32 s10, s10, 8
	s_addc_u32 s11, s11, 0
	s_add_i32 s1, s1, 64
	s_cmp_eq_u64 s[2:3], s[10:11]
	ds_load_2addr_b64 v[8:11], v20 offset1:1
	ds_load_2addr_b64 v[12:15], v20 offset0:2 offset1:3
	ds_load_2addr_b64 v[16:19], v20 offset0:4 offset1:5
	ds_load_2addr_b64 v[20:23], v20 offset0:6 offset1:7
	s_waitcnt lgkmcnt(3)
	v_cmp_gt_i64_e32 vcc_lo, v[2:3], v[8:9]
	v_cndmask_b32_e64 v8, 0, 1, vcc_lo
	v_cmp_gt_i64_e32 vcc_lo, v[2:3], v[10:11]
	v_cndmask_b32_e64 v9, 0, 1, vcc_lo
	s_waitcnt lgkmcnt(2)
	v_cmp_gt_i64_e32 vcc_lo, v[2:3], v[12:13]
	v_cndmask_b32_e64 v10, 0, 1, vcc_lo
	v_cmp_gt_i64_e32 vcc_lo, v[2:3], v[14:15]
	v_cndmask_b32_e64 v11, 0, 1, vcc_lo
	s_waitcnt lgkmcnt(1)
	v_cmp_gt_i64_e32 vcc_lo, v[2:3], v[16:17]
	v_cndmask_b32_e64 v12, 0, 1, vcc_lo
	v_add_co_u32 v6, vcc_lo, v6, v8
	v_add_co_ci_u32_e32 v7, vcc_lo, 0, v7, vcc_lo
	v_cmp_gt_i64_e32 vcc_lo, v[2:3], v[18:19]
	s_delay_alu instid0(VALU_DEP_3) | instskip(NEXT) | instid1(VALU_DEP_1)
	v_add_co_u32 v6, s0, v6, v9
	v_add_co_ci_u32_e64 v7, s0, 0, v7, s0
	v_cndmask_b32_e64 v8, 0, 1, vcc_lo
	s_delay_alu instid0(VALU_DEP_3) | instskip(NEXT) | instid1(VALU_DEP_3)
	v_add_co_u32 v6, vcc_lo, v6, v10
	v_add_co_ci_u32_e32 v7, vcc_lo, 0, v7, vcc_lo
	s_waitcnt lgkmcnt(0)
	v_cmp_gt_i64_e32 vcc_lo, v[2:3], v[20:21]
	s_delay_alu instid0(VALU_DEP_3) | instskip(NEXT) | instid1(VALU_DEP_1)
	v_add_co_u32 v6, s0, v6, v11
	v_add_co_ci_u32_e64 v7, s0, 0, v7, s0
	v_cndmask_b32_e64 v9, 0, 1, vcc_lo
	s_delay_alu instid0(VALU_DEP_3) | instskip(NEXT) | instid1(VALU_DEP_3)
	v_add_co_u32 v6, vcc_lo, v6, v12
	v_add_co_ci_u32_e32 v7, vcc_lo, 0, v7, vcc_lo
	v_cmp_gt_i64_e32 vcc_lo, v[2:3], v[22:23]
	s_delay_alu instid0(VALU_DEP_3) | instskip(NEXT) | instid1(VALU_DEP_1)
	v_add_co_u32 v6, s0, v6, v8
	v_add_co_ci_u32_e64 v7, s0, 0, v7, s0
	v_cndmask_b32_e64 v8, 0, 1, vcc_lo
	s_delay_alu instid0(VALU_DEP_3) | instskip(NEXT) | instid1(VALU_DEP_3)
	v_add_co_u32 v6, vcc_lo, v6, v9
	v_add_co_ci_u32_e32 v7, vcc_lo, 0, v7, vcc_lo
	s_delay_alu instid0(VALU_DEP_2) | instskip(NEXT) | instid1(VALU_DEP_2)
	v_add_co_u32 v6, vcc_lo, v6, v8
	v_add_co_ci_u32_e32 v7, vcc_lo, 0, v7, vcc_lo
	s_cbranch_scc0 .LBB120_124
; %bb.125:                              ;   in Loop: Header=BB120_122 Depth=1
	s_mov_b64 s[0:1], s[2:3]
.LBB120_126:                            ;   in Loop: Header=BB120_122 Depth=1
	s_and_not1_b32 vcc_lo, exec_lo, s13
	s_cbranch_vccnz .LBB120_121
; %bb.127:                              ;   in Loop: Header=BB120_122 Depth=1
	s_lshl_b32 s0, s0, 3
	s_delay_alu instid0(SALU_CYCLE_1)
	s_add_i32 s10, s0, 0
	s_mov_b64 s[0:1], s[6:7]
.LBB120_128:                            ;   Parent Loop BB120_122 Depth=1
                                        ; =>  This Inner Loop Header: Depth=2
	v_mov_b32_e32 v8, s10
	s_add_i32 s10, s10, 8
	s_add_u32 s0, s0, -1
	s_addc_u32 s1, s1, -1
	s_delay_alu instid0(SALU_CYCLE_1) | instskip(SKIP_4) | instid1(VALU_DEP_1)
	s_cmp_lg_u64 s[0:1], 0
	ds_load_b64 v[8:9], v8
	s_waitcnt lgkmcnt(0)
	v_cmp_gt_i64_e32 vcc_lo, v[2:3], v[8:9]
	v_cndmask_b32_e64 v8, 0, 1, vcc_lo
	v_add_co_u32 v6, vcc_lo, v6, v8
	v_add_co_ci_u32_e32 v7, vcc_lo, 0, v7, vcc_lo
	s_cbranch_scc1 .LBB120_128
	s_branch .LBB120_121
.LBB120_129:
	s_nop 0
	s_sendmsg sendmsg(MSG_DEALLOC_VGPRS)
	s_endpgm
	.section	.rodata,"a",@progbits
	.p2align	6, 0x0
	.amdhsa_kernel _ZN9rocsparseL26csrgemm_fill_block_per_rowILj1024ELj32ELj2048ELj137ELj32ElldEEvT5_PKS1_S3_NS_24const_host_device_scalarIT6_EEPKT4_S3_PKS5_S9_S3_SB_S6_S9_S3_SB_S9_PS1_PS5_21rocsparse_index_base_SE_SE_SE_bbb
		.amdhsa_group_segment_fixed_size 0
		.amdhsa_private_segment_fixed_size 0
		.amdhsa_kernarg_size 156
		.amdhsa_user_sgpr_count 15
		.amdhsa_user_sgpr_dispatch_ptr 0
		.amdhsa_user_sgpr_queue_ptr 0
		.amdhsa_user_sgpr_kernarg_segment_ptr 1
		.amdhsa_user_sgpr_dispatch_id 0
		.amdhsa_user_sgpr_private_segment_size 0
		.amdhsa_wavefront_size32 1
		.amdhsa_uses_dynamic_stack 0
		.amdhsa_enable_private_segment 0
		.amdhsa_system_sgpr_workgroup_id_x 1
		.amdhsa_system_sgpr_workgroup_id_y 0
		.amdhsa_system_sgpr_workgroup_id_z 0
		.amdhsa_system_sgpr_workgroup_info 0
		.amdhsa_system_vgpr_workitem_id 0
		.amdhsa_next_free_vgpr 28
		.amdhsa_next_free_sgpr 54
		.amdhsa_reserve_vcc 1
		.amdhsa_float_round_mode_32 0
		.amdhsa_float_round_mode_16_64 0
		.amdhsa_float_denorm_mode_32 3
		.amdhsa_float_denorm_mode_16_64 3
		.amdhsa_dx10_clamp 1
		.amdhsa_ieee_mode 1
		.amdhsa_fp16_overflow 0
		.amdhsa_workgroup_processor_mode 1
		.amdhsa_memory_ordered 1
		.amdhsa_forward_progress 0
		.amdhsa_shared_vgpr_count 0
		.amdhsa_exception_fp_ieee_invalid_op 0
		.amdhsa_exception_fp_denorm_src 0
		.amdhsa_exception_fp_ieee_div_zero 0
		.amdhsa_exception_fp_ieee_overflow 0
		.amdhsa_exception_fp_ieee_underflow 0
		.amdhsa_exception_fp_ieee_inexact 0
		.amdhsa_exception_int_div_zero 0
	.end_amdhsa_kernel
	.section	.text._ZN9rocsparseL26csrgemm_fill_block_per_rowILj1024ELj32ELj2048ELj137ELj32ElldEEvT5_PKS1_S3_NS_24const_host_device_scalarIT6_EEPKT4_S3_PKS5_S9_S3_SB_S6_S9_S3_SB_S9_PS1_PS5_21rocsparse_index_base_SE_SE_SE_bbb,"axG",@progbits,_ZN9rocsparseL26csrgemm_fill_block_per_rowILj1024ELj32ELj2048ELj137ELj32ElldEEvT5_PKS1_S3_NS_24const_host_device_scalarIT6_EEPKT4_S3_PKS5_S9_S3_SB_S6_S9_S3_SB_S9_PS1_PS5_21rocsparse_index_base_SE_SE_SE_bbb,comdat
.Lfunc_end120:
	.size	_ZN9rocsparseL26csrgemm_fill_block_per_rowILj1024ELj32ELj2048ELj137ELj32ElldEEvT5_PKS1_S3_NS_24const_host_device_scalarIT6_EEPKT4_S3_PKS5_S9_S3_SB_S6_S9_S3_SB_S9_PS1_PS5_21rocsparse_index_base_SE_SE_SE_bbb, .Lfunc_end120-_ZN9rocsparseL26csrgemm_fill_block_per_rowILj1024ELj32ELj2048ELj137ELj32ElldEEvT5_PKS1_S3_NS_24const_host_device_scalarIT6_EEPKT4_S3_PKS5_S9_S3_SB_S6_S9_S3_SB_S9_PS1_PS5_21rocsparse_index_base_SE_SE_SE_bbb
                                        ; -- End function
	.section	.AMDGPU.csdata,"",@progbits
; Kernel info:
; codeLenInByte = 4536
; NumSgprs: 56
; NumVgprs: 28
; ScratchSize: 0
; MemoryBound: 0
; FloatMode: 240
; IeeeMode: 1
; LDSByteSize: 0 bytes/workgroup (compile time only)
; SGPRBlocks: 6
; VGPRBlocks: 3
; NumSGPRsForWavesPerEU: 56
; NumVGPRsForWavesPerEU: 28
; Occupancy: 16
; WaveLimiterHint : 1
; COMPUTE_PGM_RSRC2:SCRATCH_EN: 0
; COMPUTE_PGM_RSRC2:USER_SGPR: 15
; COMPUTE_PGM_RSRC2:TRAP_HANDLER: 0
; COMPUTE_PGM_RSRC2:TGID_X_EN: 1
; COMPUTE_PGM_RSRC2:TGID_Y_EN: 0
; COMPUTE_PGM_RSRC2:TGID_Z_EN: 0
; COMPUTE_PGM_RSRC2:TIDIG_COMP_CNT: 0
	.section	.text._ZN9rocsparseL26csrgemm_fill_block_per_rowILj1024ELj32ELj2048ELj137ELj64ElldEEvT5_PKS1_S3_NS_24const_host_device_scalarIT6_EEPKT4_S3_PKS5_S9_S3_SB_S6_S9_S3_SB_S9_PS1_PS5_21rocsparse_index_base_SE_SE_SE_bbb,"axG",@progbits,_ZN9rocsparseL26csrgemm_fill_block_per_rowILj1024ELj32ELj2048ELj137ELj64ElldEEvT5_PKS1_S3_NS_24const_host_device_scalarIT6_EEPKT4_S3_PKS5_S9_S3_SB_S6_S9_S3_SB_S9_PS1_PS5_21rocsparse_index_base_SE_SE_SE_bbb,comdat
	.globl	_ZN9rocsparseL26csrgemm_fill_block_per_rowILj1024ELj32ELj2048ELj137ELj64ElldEEvT5_PKS1_S3_NS_24const_host_device_scalarIT6_EEPKT4_S3_PKS5_S9_S3_SB_S6_S9_S3_SB_S9_PS1_PS5_21rocsparse_index_base_SE_SE_SE_bbb ; -- Begin function _ZN9rocsparseL26csrgemm_fill_block_per_rowILj1024ELj32ELj2048ELj137ELj64ElldEEvT5_PKS1_S3_NS_24const_host_device_scalarIT6_EEPKT4_S3_PKS5_S9_S3_SB_S6_S9_S3_SB_S9_PS1_PS5_21rocsparse_index_base_SE_SE_SE_bbb
	.p2align	8
	.type	_ZN9rocsparseL26csrgemm_fill_block_per_rowILj1024ELj32ELj2048ELj137ELj64ElldEEvT5_PKS1_S3_NS_24const_host_device_scalarIT6_EEPKT4_S3_PKS5_S9_S3_SB_S6_S9_S3_SB_S9_PS1_PS5_21rocsparse_index_base_SE_SE_SE_bbb,@function
_ZN9rocsparseL26csrgemm_fill_block_per_rowILj1024ELj32ELj2048ELj137ELj64ElldEEvT5_PKS1_S3_NS_24const_host_device_scalarIT6_EEPKT4_S3_PKS5_S9_S3_SB_S6_S9_S3_SB_S9_PS1_PS5_21rocsparse_index_base_SE_SE_SE_bbb: ; @_ZN9rocsparseL26csrgemm_fill_block_per_rowILj1024ELj32ELj2048ELj137ELj64ElldEEvT5_PKS1_S3_NS_24const_host_device_scalarIT6_EEPKT4_S3_PKS5_S9_S3_SB_S6_S9_S3_SB_S9_PS1_PS5_21rocsparse_index_base_SE_SE_SE_bbb
; %bb.0:
	s_clause 0x3
	s_load_b32 s3, s[0:1], 0x98
	s_load_b64 s[4:5], s[0:1], 0x18
	s_load_b128 s[20:23], s[0:1], 0x88
	s_load_b64 s[34:35], s[0:1], 0x50
	s_mov_b32 s2, s15
	s_waitcnt lgkmcnt(0)
	s_and_b32 s6, 1, s3
	s_bitcmp1_b32 s3, 16
	s_cselect_b32 s41, -1, 0
	s_cmp_eq_u32 s6, 1
	s_cselect_b32 s40, -1, 0
	s_delay_alu instid0(SALU_CYCLE_1)
	s_and_b32 s6, s40, exec_lo
	s_cselect_b32 s7, s5, 0
	s_cselect_b32 s6, s4, 0
	s_xor_b32 s8, s40, -1
	v_dual_mov_b32 v3, s6 :: v_dual_mov_b32 v4, s7
	s_or_b32 s8, s8, s41
	s_delay_alu instid0(SALU_CYCLE_1)
	s_and_b32 vcc_lo, exec_lo, s8
	s_cbranch_vccnz .LBB121_2
; %bb.1:
	v_dual_mov_b32 v1, s4 :: v_dual_mov_b32 v2, s5
	flat_load_b64 v[3:4], v[1:2]
.LBB121_2:
	s_clause 0x4
	s_load_b128 s[24:27], s[0:1], 0x78
	s_load_b256 s[12:19], s[0:1], 0x58
	s_load_b128 s[28:31], s[0:1], 0x40
	s_load_b128 s[36:39], s[0:1], 0x8
	s_load_b256 s[4:11], s[0:1], 0x20
	s_bitcmp1_b32 s3, 8
	s_cselect_b32 s33, -1, 0
	s_delay_alu instid0(SALU_CYCLE_1)
	s_and_b32 s3, s33, exec_lo
	s_cselect_b32 s43, s35, 0
	s_cselect_b32 s42, s34, 0
	s_xor_b32 s3, s33, -1
	v_dual_mov_b32 v1, s42 :: v_dual_mov_b32 v2, s43
	s_or_b32 s3, s3, s41
	s_delay_alu instid0(SALU_CYCLE_1)
	s_and_b32 vcc_lo, exec_lo, s3
	s_cbranch_vccnz .LBB121_4
; %bb.3:
	v_dual_mov_b32 v1, s34 :: v_dual_mov_b32 v2, s35
	flat_load_b64 v[1:2], v[1:2]
.LBB121_4:
	s_load_b64 s[34:35], s[0:1], 0x0
	v_mov_b32_e32 v5, 0
	v_lshl_add_u32 v19, v0, 3, 0
	v_or_b32_e32 v20, 0xfffffc00, v0
	s_mov_b32 s0, 0
	s_delay_alu instid0(VALU_DEP_1)
	v_dual_mov_b32 v9, v19 :: v_dual_mov_b32 v10, v20
	s_waitcnt lgkmcnt(0)
	v_dual_mov_b32 v7, s34 :: v_dual_mov_b32 v8, s35
	v_mov_b32_e32 v6, v5
.LBB121_5:                              ; =>This Inner Loop Header: Depth=1
	s_delay_alu instid0(VALU_DEP_3) | instskip(NEXT) | instid1(VALU_DEP_1)
	v_add_co_u32 v10, s1, 0x400, v10
	s_xor_b32 s1, s1, -1
	ds_store_2addr_stride64_b64 v9, v[7:8], v[5:6] offset1:32
	v_add_nc_u32_e32 v9, 0x2000, v9
	s_and_b32 s1, exec_lo, s1
	s_delay_alu instid0(SALU_CYCLE_1) | instskip(NEXT) | instid1(SALU_CYCLE_1)
	s_or_b32 s0, s1, s0
	s_and_not1_b32 exec_lo, exec_lo, s0
	s_cbranch_execnz .LBB121_5
; %bb.6:
	s_or_b32 exec_lo, exec_lo, s0
	s_waitcnt vmcnt(0) lgkmcnt(0)
	s_barrier
	buffer_gl0_inv
	s_load_b64 s[0:1], s[36:37], 0x0
	s_mov_b32 s3, 0
	s_waitcnt lgkmcnt(0)
	s_lshl_b64 s[0:1], s[0:1], 3
	s_delay_alu instid0(SALU_CYCLE_1) | instskip(SKIP_2) | instid1(SALU_CYCLE_1)
	s_add_u32 s36, s38, s0
	s_addc_u32 s37, s39, s1
	s_lshl_b64 s[0:1], s[2:3], 3
	s_add_u32 s0, s36, s0
	s_addc_u32 s1, s37, s1
	s_and_b32 vcc_lo, exec_lo, s40
	s_load_b64 s[36:37], s[0:1], 0x0
	s_cbranch_vccz .LBB121_30
; %bb.7:
	s_waitcnt lgkmcnt(0)
	s_lshl_b64 s[0:1], s[36:37], 3
	v_lshrrev_b32_e32 v5, 5, v0
	s_add_u32 s0, s4, s0
	s_addc_u32 s1, s5, s1
	s_load_b128 s[0:3], s[0:1], 0x0
	s_delay_alu instid0(VALU_DEP_1) | instskip(NEXT) | instid1(VALU_DEP_1)
	v_sub_co_u32 v5, s4, v5, s20
	v_sub_co_ci_u32_e64 v6, null, 0, 0, s4
	s_waitcnt lgkmcnt(0)
	s_delay_alu instid0(VALU_DEP_2) | instskip(NEXT) | instid1(VALU_DEP_2)
	v_add_co_u32 v5, vcc_lo, s0, v5
	v_add_co_ci_u32_e32 v6, vcc_lo, s1, v6, vcc_lo
	s_sub_u32 s0, s2, s20
	s_subb_u32 s1, s3, 0
	s_mov_b32 s2, exec_lo
	s_delay_alu instid0(VALU_DEP_1)
	v_cmpx_gt_i64_e64 s[0:1], v[5:6]
	s_cbranch_execz .LBB121_29
; %bb.8:
	v_and_b32_e32 v7, 31, v0
	s_mov_b32 s4, s21
	s_delay_alu instid0(VALU_DEP_1) | instskip(NEXT) | instid1(VALU_DEP_1)
	v_sub_co_u32 v21, s3, v7, s21
	v_sub_co_ci_u32_e64 v22, null, 0, 0, s3
	s_mov_b32 s3, 0
	s_branch .LBB121_10
.LBB121_9:                              ;   in Loop: Header=BB121_10 Depth=1
	s_or_b32 exec_lo, exec_lo, s5
	v_add_co_u32 v5, vcc_lo, v5, 32
	v_add_co_ci_u32_e32 v6, vcc_lo, 0, v6, vcc_lo
	s_delay_alu instid0(VALU_DEP_1) | instskip(SKIP_1) | instid1(SALU_CYCLE_1)
	v_cmp_le_i64_e32 vcc_lo, s[0:1], v[5:6]
	s_or_b32 s3, vcc_lo, s3
	s_and_not1_b32 exec_lo, exec_lo, s3
	s_cbranch_execz .LBB121_29
.LBB121_10:                             ; =>This Loop Header: Depth=1
                                        ;     Child Loop BB121_13 Depth 2
                                        ;       Child Loop BB121_15 Depth 3
                                        ;         Child Loop BB121_21 Depth 4
                                        ;         Child Loop BB121_27 Depth 4
	v_lshlrev_b64 v[11:12], 3, v[5:6]
	s_mov_b32 s5, exec_lo
	s_delay_alu instid0(VALU_DEP_1) | instskip(NEXT) | instid1(VALU_DEP_2)
	v_add_co_u32 v7, vcc_lo, s6, v11
	v_add_co_ci_u32_e32 v8, vcc_lo, s7, v12, vcc_lo
	global_load_b64 v[7:8], v[7:8], off
	s_waitcnt vmcnt(0)
	v_sub_co_u32 v7, vcc_lo, v7, s20
	v_subrev_co_ci_u32_e32 v8, vcc_lo, 0, v8, vcc_lo
	s_delay_alu instid0(VALU_DEP_1) | instskip(NEXT) | instid1(VALU_DEP_1)
	v_lshlrev_b64 v[7:8], 3, v[7:8]
	v_add_co_u32 v7, vcc_lo, s10, v7
	s_delay_alu instid0(VALU_DEP_2)
	v_add_co_ci_u32_e32 v8, vcc_lo, s11, v8, vcc_lo
	global_load_b128 v[13:16], v[7:8], off
	s_waitcnt vmcnt(0)
	v_sub_co_u32 v7, vcc_lo, v15, s4
	v_subrev_co_ci_u32_e32 v8, vcc_lo, 0, v16, vcc_lo
	v_add_co_u32 v9, vcc_lo, v13, v21
	v_add_co_ci_u32_e32 v10, vcc_lo, v14, v22, vcc_lo
	s_delay_alu instid0(VALU_DEP_1)
	v_cmpx_lt_i64_e64 v[9:10], v[7:8]
	s_cbranch_execz .LBB121_9
; %bb.11:                               ;   in Loop: Header=BB121_10 Depth=1
	v_add_co_u32 v11, vcc_lo, s8, v11
	v_add_co_ci_u32_e32 v12, vcc_lo, s9, v12, vcc_lo
	s_mov_b32 s21, 0
	global_load_b64 v[11:12], v[11:12], off
	s_waitcnt vmcnt(0)
	v_mul_f64 v[11:12], v[3:4], v[11:12]
	s_branch .LBB121_13
.LBB121_12:                             ;   in Loop: Header=BB121_13 Depth=2
	s_or_b32 exec_lo, exec_lo, s38
	v_add_co_u32 v9, vcc_lo, v9, 32
	v_add_co_ci_u32_e32 v10, vcc_lo, 0, v10, vcc_lo
	s_delay_alu instid0(VALU_DEP_1) | instskip(SKIP_1) | instid1(SALU_CYCLE_1)
	v_cmp_ge_i64_e32 vcc_lo, v[9:10], v[7:8]
	s_or_b32 s21, vcc_lo, s21
	s_and_not1_b32 exec_lo, exec_lo, s21
	s_cbranch_execz .LBB121_9
.LBB121_13:                             ;   Parent Loop BB121_10 Depth=1
                                        ; =>  This Loop Header: Depth=2
                                        ;       Child Loop BB121_15 Depth 3
                                        ;         Child Loop BB121_21 Depth 4
                                        ;         Child Loop BB121_27 Depth 4
	v_lshlrev_b64 v[13:14], 3, v[9:10]
	s_mov_b32 s38, 0
	s_delay_alu instid0(VALU_DEP_1) | instskip(NEXT) | instid1(VALU_DEP_2)
	v_add_co_u32 v15, vcc_lo, s30, v13
	v_add_co_ci_u32_e32 v16, vcc_lo, s31, v14, vcc_lo
	v_add_co_u32 v13, vcc_lo, s28, v13
	v_add_co_ci_u32_e32 v14, vcc_lo, s29, v14, vcc_lo
	global_load_b64 v[15:16], v[15:16], off
	global_load_b64 v[17:18], v[13:14], off
	s_waitcnt vmcnt(1)
	v_mul_f64 v[13:14], v[11:12], v[15:16]
	s_waitcnt vmcnt(0)
	v_sub_co_u32 v15, vcc_lo, v17, s4
	v_subrev_co_ci_u32_e32 v16, vcc_lo, 0, v18, vcc_lo
	s_delay_alu instid0(VALU_DEP_2) | instskip(NEXT) | instid1(VALU_DEP_1)
	v_mul_lo_u32 v17, 0x89, v15
	v_and_b32_e32 v23, 0x7ff, v17
	s_branch .LBB121_15
.LBB121_14:                             ;   in Loop: Header=BB121_15 Depth=3
	s_or_b32 exec_lo, exec_lo, s39
	s_xor_b32 s39, s40, -1
	s_delay_alu instid0(SALU_CYCLE_1) | instskip(NEXT) | instid1(SALU_CYCLE_1)
	s_and_b32 s39, exec_lo, s39
	s_or_b32 s38, s39, s38
	s_delay_alu instid0(SALU_CYCLE_1)
	s_and_not1_b32 exec_lo, exec_lo, s38
	s_cbranch_execz .LBB121_12
.LBB121_15:                             ;   Parent Loop BB121_10 Depth=1
                                        ;     Parent Loop BB121_13 Depth=2
                                        ; =>    This Loop Header: Depth=3
                                        ;         Child Loop BB121_21 Depth 4
                                        ;         Child Loop BB121_27 Depth 4
	s_delay_alu instid0(VALU_DEP_1)
	v_lshl_add_u32 v24, v23, 3, 0
	s_mov_b32 s39, exec_lo
                                        ; implicit-def: $sgpr40
	ds_load_b64 v[17:18], v24
	s_waitcnt lgkmcnt(0)
	v_cmpx_ne_u64_e64 v[17:18], v[15:16]
	s_xor_b32 s39, exec_lo, s39
	s_cbranch_execz .LBB121_25
; %bb.16:                               ;   in Loop: Header=BB121_15 Depth=3
	s_mov_b32 s41, exec_lo
                                        ; implicit-def: $sgpr40
	v_cmpx_ne_u64_e64 s[34:35], v[17:18]
	s_xor_b32 s41, exec_lo, s41
; %bb.17:                               ;   in Loop: Header=BB121_15 Depth=3
	v_add_nc_u32_e32 v17, 1, v23
	s_mov_b32 s40, -1
                                        ; implicit-def: $vgpr24
	s_delay_alu instid0(VALU_DEP_1)
	v_and_b32_e32 v23, 0x7ff, v17
; %bb.18:                               ;   in Loop: Header=BB121_15 Depth=3
	s_and_not1_saveexec_b32 s41, s41
	s_cbranch_execz .LBB121_24
; %bb.19:                               ;   in Loop: Header=BB121_15 Depth=3
	v_dual_mov_b32 v17, s34 :: v_dual_mov_b32 v18, s35
	s_mov_b32 s43, -1
	s_mov_b32 s42, exec_lo
	ds_cmpstore_rtn_b64 v[17:18], v24, v[15:16], v[17:18]
	s_waitcnt lgkmcnt(0)
	v_cmpx_eq_u64_e64 s[34:35], v[17:18]
	s_cbranch_execz .LBB121_23
; %bb.20:                               ;   in Loop: Header=BB121_15 Depth=3
	ds_load_b64 v[17:18], v24 offset:16384
	s_mov_b32 s43, 0
.LBB121_21:                             ;   Parent Loop BB121_10 Depth=1
                                        ;     Parent Loop BB121_13 Depth=2
                                        ;       Parent Loop BB121_15 Depth=3
                                        ; =>      This Inner Loop Header: Depth=4
	s_waitcnt lgkmcnt(0)
	v_add_f64 v[25:26], v[17:18], v[13:14]
	ds_cmpstore_rtn_b64 v[25:26], v24, v[25:26], v[17:18] offset:16384
	s_waitcnt lgkmcnt(0)
	v_cmp_eq_u64_e32 vcc_lo, v[25:26], v[17:18]
	v_dual_mov_b32 v17, v25 :: v_dual_mov_b32 v18, v26
	s_or_b32 s43, vcc_lo, s43
	s_delay_alu instid0(SALU_CYCLE_1)
	s_and_not1_b32 exec_lo, exec_lo, s43
	s_cbranch_execnz .LBB121_21
; %bb.22:                               ;   in Loop: Header=BB121_15 Depth=3
	s_or_b32 exec_lo, exec_lo, s43
	s_delay_alu instid0(SALU_CYCLE_1)
	s_xor_b32 s43, exec_lo, -1
.LBB121_23:                             ;   in Loop: Header=BB121_15 Depth=3
	s_or_b32 exec_lo, exec_lo, s42
	s_delay_alu instid0(SALU_CYCLE_1) | instskip(SKIP_1) | instid1(SALU_CYCLE_1)
	s_and_not1_b32 s40, s40, exec_lo
	s_and_b32 s42, s43, exec_lo
	s_or_b32 s40, s40, s42
.LBB121_24:                             ;   in Loop: Header=BB121_15 Depth=3
	s_or_b32 exec_lo, exec_lo, s41
	s_delay_alu instid0(SALU_CYCLE_1)
	s_and_b32 s40, s40, exec_lo
                                        ; implicit-def: $vgpr24
.LBB121_25:                             ;   in Loop: Header=BB121_15 Depth=3
	s_and_not1_saveexec_b32 s39, s39
	s_cbranch_execz .LBB121_14
; %bb.26:                               ;   in Loop: Header=BB121_15 Depth=3
	ds_load_b64 v[17:18], v24 offset:16384
	s_mov_b32 s41, 0
.LBB121_27:                             ;   Parent Loop BB121_10 Depth=1
                                        ;     Parent Loop BB121_13 Depth=2
                                        ;       Parent Loop BB121_15 Depth=3
                                        ; =>      This Inner Loop Header: Depth=4
	s_waitcnt lgkmcnt(0)
	v_add_f64 v[25:26], v[17:18], v[13:14]
	ds_cmpstore_rtn_b64 v[25:26], v24, v[25:26], v[17:18] offset:16384
	s_waitcnt lgkmcnt(0)
	v_cmp_eq_u64_e32 vcc_lo, v[25:26], v[17:18]
	v_dual_mov_b32 v17, v25 :: v_dual_mov_b32 v18, v26
	s_or_b32 s41, vcc_lo, s41
	s_delay_alu instid0(SALU_CYCLE_1)
	s_and_not1_b32 exec_lo, exec_lo, s41
	s_cbranch_execnz .LBB121_27
; %bb.28:                               ;   in Loop: Header=BB121_15 Depth=3
	s_or_b32 exec_lo, exec_lo, s41
	s_delay_alu instid0(SALU_CYCLE_1)
	s_and_not1_b32 s40, s40, exec_lo
	s_branch .LBB121_14
.LBB121_29:
	s_or_b32 exec_lo, exec_lo, s2
.LBB121_30:
	s_delay_alu instid0(SALU_CYCLE_1)
	s_and_not1_b32 vcc_lo, exec_lo, s33
	s_cbranch_vccnz .LBB121_51
; %bb.31:
	s_waitcnt lgkmcnt(0)
	s_lshl_b64 s[0:1], s[36:37], 3
	v_sub_co_u32 v3, s4, v0, s23
	s_add_u32 s0, s12, s0
	s_addc_u32 s1, s13, s1
	v_sub_co_ci_u32_e64 v4, null, 0, 0, s4
	s_load_b128 s[0:3], s[0:1], 0x0
	s_waitcnt lgkmcnt(0)
	v_add_co_u32 v3, vcc_lo, s0, v3
	s_delay_alu instid0(VALU_DEP_2)
	v_add_co_ci_u32_e32 v4, vcc_lo, s1, v4, vcc_lo
	s_sub_u32 s0, s2, s23
	s_subb_u32 s1, s3, 0
	s_mov_b32 s2, 0
	s_mov_b32 s3, exec_lo
	v_cmpx_gt_i64_e64 s[0:1], v[3:4]
	s_cbranch_execz .LBB121_50
; %bb.32:
	s_mov_b32 s4, s23
	s_branch .LBB121_34
.LBB121_33:                             ;   in Loop: Header=BB121_34 Depth=1
	s_or_b32 exec_lo, exec_lo, s5
	v_add_co_u32 v3, vcc_lo, 0x400, v3
	v_add_co_ci_u32_e32 v4, vcc_lo, 0, v4, vcc_lo
	s_delay_alu instid0(VALU_DEP_1) | instskip(SKIP_1) | instid1(SALU_CYCLE_1)
	v_cmp_le_i64_e32 vcc_lo, s[0:1], v[3:4]
	s_or_b32 s2, vcc_lo, s2
	s_and_not1_b32 exec_lo, exec_lo, s2
	s_cbranch_execz .LBB121_50
.LBB121_34:                             ; =>This Loop Header: Depth=1
                                        ;     Child Loop BB121_36 Depth 2
                                        ;       Child Loop BB121_42 Depth 3
                                        ;       Child Loop BB121_48 Depth 3
	v_lshlrev_b64 v[5:6], 3, v[3:4]
	s_mov_b32 s5, 0
	s_delay_alu instid0(VALU_DEP_1) | instskip(NEXT) | instid1(VALU_DEP_2)
	v_add_co_u32 v7, vcc_lo, s16, v5
	v_add_co_ci_u32_e32 v8, vcc_lo, s17, v6, vcc_lo
	v_add_co_u32 v5, vcc_lo, s14, v5
	v_add_co_ci_u32_e32 v6, vcc_lo, s15, v6, vcc_lo
	global_load_b64 v[7:8], v[7:8], off
	global_load_b64 v[9:10], v[5:6], off
	s_waitcnt vmcnt(1)
	v_mul_f64 v[5:6], v[1:2], v[7:8]
	s_waitcnt vmcnt(0)
	v_sub_co_u32 v7, vcc_lo, v9, s4
	v_subrev_co_ci_u32_e32 v8, vcc_lo, 0, v10, vcc_lo
	s_delay_alu instid0(VALU_DEP_2) | instskip(NEXT) | instid1(VALU_DEP_1)
	v_mul_lo_u32 v9, 0x89, v7
	v_and_b32_e32 v11, 0x7ff, v9
	s_branch .LBB121_36
.LBB121_35:                             ;   in Loop: Header=BB121_36 Depth=2
	s_or_b32 exec_lo, exec_lo, s6
	s_xor_b32 s6, s7, -1
	s_delay_alu instid0(SALU_CYCLE_1) | instskip(NEXT) | instid1(SALU_CYCLE_1)
	s_and_b32 s6, exec_lo, s6
	s_or_b32 s5, s6, s5
	s_delay_alu instid0(SALU_CYCLE_1)
	s_and_not1_b32 exec_lo, exec_lo, s5
	s_cbranch_execz .LBB121_33
.LBB121_36:                             ;   Parent Loop BB121_34 Depth=1
                                        ; =>  This Loop Header: Depth=2
                                        ;       Child Loop BB121_42 Depth 3
                                        ;       Child Loop BB121_48 Depth 3
	s_delay_alu instid0(VALU_DEP_1)
	v_lshl_add_u32 v12, v11, 3, 0
	s_mov_b32 s6, exec_lo
                                        ; implicit-def: $sgpr7
	ds_load_b64 v[9:10], v12
	s_waitcnt lgkmcnt(0)
	v_cmpx_ne_u64_e64 v[9:10], v[7:8]
	s_xor_b32 s6, exec_lo, s6
	s_cbranch_execz .LBB121_46
; %bb.37:                               ;   in Loop: Header=BB121_36 Depth=2
	s_mov_b32 s8, exec_lo
                                        ; implicit-def: $sgpr7
	v_cmpx_ne_u64_e64 s[34:35], v[9:10]
	s_xor_b32 s8, exec_lo, s8
; %bb.38:                               ;   in Loop: Header=BB121_36 Depth=2
	v_add_nc_u32_e32 v9, 1, v11
	s_mov_b32 s7, -1
                                        ; implicit-def: $vgpr12
	s_delay_alu instid0(VALU_DEP_1)
	v_and_b32_e32 v11, 0x7ff, v9
; %bb.39:                               ;   in Loop: Header=BB121_36 Depth=2
	s_and_not1_saveexec_b32 s8, s8
	s_cbranch_execz .LBB121_45
; %bb.40:                               ;   in Loop: Header=BB121_36 Depth=2
	v_dual_mov_b32 v9, s34 :: v_dual_mov_b32 v10, s35
	s_mov_b32 s10, -1
	s_mov_b32 s9, exec_lo
	ds_cmpstore_rtn_b64 v[9:10], v12, v[7:8], v[9:10]
	s_waitcnt lgkmcnt(0)
	v_cmpx_eq_u64_e64 s[34:35], v[9:10]
	s_cbranch_execz .LBB121_44
; %bb.41:                               ;   in Loop: Header=BB121_36 Depth=2
	ds_load_b64 v[9:10], v12 offset:16384
	s_mov_b32 s10, 0
.LBB121_42:                             ;   Parent Loop BB121_34 Depth=1
                                        ;     Parent Loop BB121_36 Depth=2
                                        ; =>    This Inner Loop Header: Depth=3
	s_waitcnt lgkmcnt(0)
	v_add_f64 v[13:14], v[9:10], v[5:6]
	ds_cmpstore_rtn_b64 v[13:14], v12, v[13:14], v[9:10] offset:16384
	s_waitcnt lgkmcnt(0)
	v_cmp_eq_u64_e32 vcc_lo, v[13:14], v[9:10]
	v_dual_mov_b32 v9, v13 :: v_dual_mov_b32 v10, v14
	s_or_b32 s10, vcc_lo, s10
	s_delay_alu instid0(SALU_CYCLE_1)
	s_and_not1_b32 exec_lo, exec_lo, s10
	s_cbranch_execnz .LBB121_42
; %bb.43:                               ;   in Loop: Header=BB121_36 Depth=2
	s_or_b32 exec_lo, exec_lo, s10
	s_delay_alu instid0(SALU_CYCLE_1)
	s_xor_b32 s10, exec_lo, -1
.LBB121_44:                             ;   in Loop: Header=BB121_36 Depth=2
	s_or_b32 exec_lo, exec_lo, s9
	s_delay_alu instid0(SALU_CYCLE_1) | instskip(SKIP_1) | instid1(SALU_CYCLE_1)
	s_and_not1_b32 s7, s7, exec_lo
	s_and_b32 s9, s10, exec_lo
	s_or_b32 s7, s7, s9
.LBB121_45:                             ;   in Loop: Header=BB121_36 Depth=2
	s_or_b32 exec_lo, exec_lo, s8
	s_delay_alu instid0(SALU_CYCLE_1)
	s_and_b32 s7, s7, exec_lo
                                        ; implicit-def: $vgpr12
.LBB121_46:                             ;   in Loop: Header=BB121_36 Depth=2
	s_and_not1_saveexec_b32 s6, s6
	s_cbranch_execz .LBB121_35
; %bb.47:                               ;   in Loop: Header=BB121_36 Depth=2
	ds_load_b64 v[9:10], v12 offset:16384
	s_mov_b32 s8, 0
.LBB121_48:                             ;   Parent Loop BB121_34 Depth=1
                                        ;     Parent Loop BB121_36 Depth=2
                                        ; =>    This Inner Loop Header: Depth=3
	s_waitcnt lgkmcnt(0)
	v_add_f64 v[13:14], v[9:10], v[5:6]
	ds_cmpstore_rtn_b64 v[13:14], v12, v[13:14], v[9:10] offset:16384
	s_waitcnt lgkmcnt(0)
	v_cmp_eq_u64_e32 vcc_lo, v[13:14], v[9:10]
	v_dual_mov_b32 v9, v13 :: v_dual_mov_b32 v10, v14
	s_or_b32 s8, vcc_lo, s8
	s_delay_alu instid0(SALU_CYCLE_1)
	s_and_not1_b32 exec_lo, exec_lo, s8
	s_cbranch_execnz .LBB121_48
; %bb.49:                               ;   in Loop: Header=BB121_36 Depth=2
	s_or_b32 exec_lo, exec_lo, s8
	s_delay_alu instid0(SALU_CYCLE_1)
	s_and_not1_b32 s7, s7, exec_lo
	s_branch .LBB121_35
.LBB121_50:
	s_or_b32 exec_lo, exec_lo, s3
.LBB121_51:
	v_mbcnt_lo_u32_b32 v1, -1, 0
	v_lshrrev_b32_e32 v2, 3, v0
	v_cmp_eq_u32_e32 vcc_lo, 0x3ff, v0
	v_cmp_lt_u32_e64 s0, 63, v0
	v_cmp_lt_u32_e64 s1, 0x7f, v0
	v_xor_b32_e32 v1, 63, v1
	v_and_b32_e32 v2, 0x78, v2
	v_cmp_lt_u32_e64 s2, 0xbf, v0
	v_cmp_lt_u32_e64 s3, 0xff, v0
	v_cmp_lt_u32_e64 s4, 0x13f, v0
	v_lshrrev_b64 v[5:6], v1, -1
	v_mov_b32_e32 v6, 0
	v_dual_mov_b32 v7, 0 :: v_dual_add_nc_u32 v12, 0, v2
	v_mov_b32_e32 v9, 0
	v_cmp_lt_u32_e64 s5, 0x17f, v0
	v_cmp_lt_u32_e64 s6, 0x1bf, v0
	;; [unrolled: 1-line block ×10, first 2 shown]
	s_mov_b32 s16, 0
	s_waitcnt lgkmcnt(0)
	s_barrier
	buffer_gl0_inv
	s_branch .LBB121_53
.LBB121_52:                             ;   in Loop: Header=BB121_53 Depth=1
	s_or_b32 exec_lo, exec_lo, s15
	s_waitcnt lgkmcnt(0)
	s_barrier
	buffer_gl0_inv
	ds_load_b64 v[1:2], v9 offset:32888
	v_add_co_u32 v20, s15, 0x400, v20
	s_delay_alu instid0(VALU_DEP_1) | instskip(SKIP_3) | instid1(VALU_DEP_1)
	s_xor_b32 s17, s15, -1
	v_add_nc_u32_e32 v19, 0x2000, v19
	s_waitcnt lgkmcnt(0)
	v_add_co_u32 v6, s15, v1, v6
	v_add_co_ci_u32_e64 v7, s15, v2, v7, s15
	s_and_b32 s15, exec_lo, s17
	s_delay_alu instid0(SALU_CYCLE_1) | instskip(NEXT) | instid1(SALU_CYCLE_1)
	s_or_b32 s16, s15, s16
	s_and_not1_b32 exec_lo, exec_lo, s16
	s_cbranch_execz .LBB121_87
.LBB121_53:                             ; =>This Inner Loop Header: Depth=1
	ds_load_2addr_stride64_b64 v[1:4], v19 offset1:32
	s_waitcnt lgkmcnt(0)
	s_barrier
	buffer_gl0_inv
	v_cmp_gt_i64_e64 s15, s[34:35], v[1:2]
	s_delay_alu instid0(VALU_DEP_1) | instskip(SKIP_1) | instid1(SALU_CYCLE_1)
	v_and_b32_e32 v10, s15, v5
	s_bcnt1_i32_b32 s17, s15
	v_mov_b32_e32 v8, s17
	s_delay_alu instid0(VALU_DEP_2)
	v_bcnt_u32_b32 v10, v10, 0
	ds_store_b64 v12, v[8:9] offset:32768
	s_waitcnt lgkmcnt(0)
	s_barrier
	buffer_gl0_inv
	s_and_saveexec_b32 s17, s0
	s_cbranch_execnz .LBB121_70
; %bb.54:                               ;   in Loop: Header=BB121_53 Depth=1
	s_or_b32 exec_lo, exec_lo, s17
	s_and_saveexec_b32 s17, s1
	s_cbranch_execnz .LBB121_71
.LBB121_55:                             ;   in Loop: Header=BB121_53 Depth=1
	s_or_b32 exec_lo, exec_lo, s17
	s_and_saveexec_b32 s17, s2
	s_cbranch_execnz .LBB121_72
.LBB121_56:                             ;   in Loop: Header=BB121_53 Depth=1
	s_or_b32 exec_lo, exec_lo, s17
	s_and_saveexec_b32 s17, s3
	s_cbranch_execnz .LBB121_73
.LBB121_57:                             ;   in Loop: Header=BB121_53 Depth=1
	s_or_b32 exec_lo, exec_lo, s17
	s_and_saveexec_b32 s17, s4
	s_cbranch_execnz .LBB121_74
.LBB121_58:                             ;   in Loop: Header=BB121_53 Depth=1
	s_or_b32 exec_lo, exec_lo, s17
	s_and_saveexec_b32 s17, s5
	s_cbranch_execnz .LBB121_75
.LBB121_59:                             ;   in Loop: Header=BB121_53 Depth=1
	s_or_b32 exec_lo, exec_lo, s17
	s_and_saveexec_b32 s17, s6
	s_cbranch_execnz .LBB121_76
.LBB121_60:                             ;   in Loop: Header=BB121_53 Depth=1
	s_or_b32 exec_lo, exec_lo, s17
	s_and_saveexec_b32 s17, s7
	s_cbranch_execnz .LBB121_77
.LBB121_61:                             ;   in Loop: Header=BB121_53 Depth=1
	s_or_b32 exec_lo, exec_lo, s17
	s_and_saveexec_b32 s17, s8
	s_cbranch_execnz .LBB121_78
.LBB121_62:                             ;   in Loop: Header=BB121_53 Depth=1
	s_or_b32 exec_lo, exec_lo, s17
	s_and_saveexec_b32 s17, s9
	s_cbranch_execnz .LBB121_79
.LBB121_63:                             ;   in Loop: Header=BB121_53 Depth=1
	s_or_b32 exec_lo, exec_lo, s17
	s_and_saveexec_b32 s17, s10
	s_cbranch_execnz .LBB121_80
.LBB121_64:                             ;   in Loop: Header=BB121_53 Depth=1
	s_or_b32 exec_lo, exec_lo, s17
	s_and_saveexec_b32 s17, s11
	s_cbranch_execnz .LBB121_81
.LBB121_65:                             ;   in Loop: Header=BB121_53 Depth=1
	s_or_b32 exec_lo, exec_lo, s17
	s_and_saveexec_b32 s17, s12
	s_cbranch_execnz .LBB121_82
.LBB121_66:                             ;   in Loop: Header=BB121_53 Depth=1
	s_or_b32 exec_lo, exec_lo, s17
	s_and_saveexec_b32 s17, s13
	s_cbranch_execnz .LBB121_83
.LBB121_67:                             ;   in Loop: Header=BB121_53 Depth=1
	s_or_b32 exec_lo, exec_lo, s17
	s_and_saveexec_b32 s17, s14
	s_cbranch_execnz .LBB121_84
.LBB121_68:                             ;   in Loop: Header=BB121_53 Depth=1
	s_or_b32 exec_lo, exec_lo, s17
	v_ashrrev_i32_e32 v11, 31, v10
	s_and_saveexec_b32 s17, s15
	s_cbranch_execnz .LBB121_85
.LBB121_69:                             ;   in Loop: Header=BB121_53 Depth=1
	s_or_b32 exec_lo, exec_lo, s17
	s_and_saveexec_b32 s15, vcc_lo
	s_cbranch_execz .LBB121_52
	s_branch .LBB121_86
.LBB121_70:                             ;   in Loop: Header=BB121_53 Depth=1
	ds_load_b32 v8, v9 offset:32768
	s_waitcnt lgkmcnt(0)
	v_add_nc_u32_e32 v10, v8, v10
	s_or_b32 exec_lo, exec_lo, s17
	s_and_saveexec_b32 s17, s1
	s_cbranch_execz .LBB121_55
.LBB121_71:                             ;   in Loop: Header=BB121_53 Depth=1
	ds_load_b32 v8, v9 offset:32776
	s_waitcnt lgkmcnt(0)
	v_add_nc_u32_e32 v10, v10, v8
	s_or_b32 exec_lo, exec_lo, s17
	s_and_saveexec_b32 s17, s2
	s_cbranch_execz .LBB121_56
.LBB121_72:                             ;   in Loop: Header=BB121_53 Depth=1
	ds_load_b32 v8, v9 offset:32784
	s_waitcnt lgkmcnt(0)
	v_add_nc_u32_e32 v10, v10, v8
	s_or_b32 exec_lo, exec_lo, s17
	s_and_saveexec_b32 s17, s3
	s_cbranch_execz .LBB121_57
.LBB121_73:                             ;   in Loop: Header=BB121_53 Depth=1
	ds_load_b32 v8, v9 offset:32792
	s_waitcnt lgkmcnt(0)
	v_add_nc_u32_e32 v10, v10, v8
	s_or_b32 exec_lo, exec_lo, s17
	s_and_saveexec_b32 s17, s4
	s_cbranch_execz .LBB121_58
.LBB121_74:                             ;   in Loop: Header=BB121_53 Depth=1
	ds_load_b32 v8, v9 offset:32800
	s_waitcnt lgkmcnt(0)
	v_add_nc_u32_e32 v10, v10, v8
	s_or_b32 exec_lo, exec_lo, s17
	s_and_saveexec_b32 s17, s5
	s_cbranch_execz .LBB121_59
.LBB121_75:                             ;   in Loop: Header=BB121_53 Depth=1
	ds_load_b32 v8, v9 offset:32808
	s_waitcnt lgkmcnt(0)
	v_add_nc_u32_e32 v10, v10, v8
	s_or_b32 exec_lo, exec_lo, s17
	s_and_saveexec_b32 s17, s6
	s_cbranch_execz .LBB121_60
.LBB121_76:                             ;   in Loop: Header=BB121_53 Depth=1
	ds_load_b32 v8, v9 offset:32816
	s_waitcnt lgkmcnt(0)
	v_add_nc_u32_e32 v10, v10, v8
	s_or_b32 exec_lo, exec_lo, s17
	s_and_saveexec_b32 s17, s7
	s_cbranch_execz .LBB121_61
.LBB121_77:                             ;   in Loop: Header=BB121_53 Depth=1
	ds_load_b32 v8, v9 offset:32824
	s_waitcnt lgkmcnt(0)
	v_add_nc_u32_e32 v10, v10, v8
	s_or_b32 exec_lo, exec_lo, s17
	s_and_saveexec_b32 s17, s8
	s_cbranch_execz .LBB121_62
.LBB121_78:                             ;   in Loop: Header=BB121_53 Depth=1
	ds_load_b32 v8, v9 offset:32832
	s_waitcnt lgkmcnt(0)
	v_add_nc_u32_e32 v10, v10, v8
	s_or_b32 exec_lo, exec_lo, s17
	s_and_saveexec_b32 s17, s9
	s_cbranch_execz .LBB121_63
.LBB121_79:                             ;   in Loop: Header=BB121_53 Depth=1
	ds_load_b32 v8, v9 offset:32840
	s_waitcnt lgkmcnt(0)
	v_add_nc_u32_e32 v10, v10, v8
	s_or_b32 exec_lo, exec_lo, s17
	s_and_saveexec_b32 s17, s10
	s_cbranch_execz .LBB121_64
.LBB121_80:                             ;   in Loop: Header=BB121_53 Depth=1
	ds_load_b32 v8, v9 offset:32848
	s_waitcnt lgkmcnt(0)
	v_add_nc_u32_e32 v10, v10, v8
	s_or_b32 exec_lo, exec_lo, s17
	s_and_saveexec_b32 s17, s11
	s_cbranch_execz .LBB121_65
.LBB121_81:                             ;   in Loop: Header=BB121_53 Depth=1
	ds_load_b32 v8, v9 offset:32856
	s_waitcnt lgkmcnt(0)
	v_add_nc_u32_e32 v10, v10, v8
	s_or_b32 exec_lo, exec_lo, s17
	s_and_saveexec_b32 s17, s12
	s_cbranch_execz .LBB121_66
.LBB121_82:                             ;   in Loop: Header=BB121_53 Depth=1
	ds_load_b32 v8, v9 offset:32864
	s_waitcnt lgkmcnt(0)
	v_add_nc_u32_e32 v10, v10, v8
	s_or_b32 exec_lo, exec_lo, s17
	s_and_saveexec_b32 s17, s13
	s_cbranch_execz .LBB121_67
.LBB121_83:                             ;   in Loop: Header=BB121_53 Depth=1
	ds_load_b32 v8, v9 offset:32872
	s_waitcnt lgkmcnt(0)
	v_add_nc_u32_e32 v10, v10, v8
	s_or_b32 exec_lo, exec_lo, s17
	s_and_saveexec_b32 s17, s14
	s_cbranch_execz .LBB121_68
.LBB121_84:                             ;   in Loop: Header=BB121_53 Depth=1
	ds_load_b32 v8, v9 offset:32880
	s_waitcnt lgkmcnt(0)
	v_add_nc_u32_e32 v10, v10, v8
	s_or_b32 exec_lo, exec_lo, s17
	s_delay_alu instid0(VALU_DEP_1)
	v_ashrrev_i32_e32 v11, 31, v10
	s_and_saveexec_b32 s17, s15
	s_cbranch_execz .LBB121_69
.LBB121_85:                             ;   in Loop: Header=BB121_53 Depth=1
	v_add3_u32 v8, v6, -1, v10
	s_delay_alu instid0(VALU_DEP_1)
	v_lshl_add_u32 v8, v8, 3, 0
	ds_store_2addr_stride64_b64 v8, v[1:2], v[3:4] offset1:32
	s_or_b32 exec_lo, exec_lo, s17
	s_and_saveexec_b32 s15, vcc_lo
	s_cbranch_execz .LBB121_52
.LBB121_86:                             ;   in Loop: Header=BB121_53 Depth=1
	ds_store_b64 v9, v[10:11] offset:32888
	s_branch .LBB121_52
.LBB121_87:
	s_or_b32 exec_lo, exec_lo, s16
	s_lshl_b64 s[0:1], s[36:37], 3
	v_mov_b32_e32 v1, 0
	s_add_u32 s0, s18, s0
	s_addc_u32 s1, s19, s1
	s_mov_b32 s6, exec_lo
	s_load_b128 s[0:3], s[0:1], 0x0
	s_waitcnt lgkmcnt(0)
	s_sub_u32 s4, s2, s0
	s_subb_u32 s5, s3, s1
	s_delay_alu instid0(SALU_CYCLE_1)
	v_cmpx_gt_i64_e64 s[4:5], v[0:1]
	s_cbranch_execz .LBB121_97
; %bb.88:
	s_sub_u32 s8, s0, s22
	s_subb_u32 s9, s1, 0
	s_and_b32 s6, s4, 7
	s_sub_u32 s0, s0, s2
	s_subb_u32 s1, s1, s3
	s_mov_b32 s7, 0
	v_cmp_lt_u64_e64 s12, s[0:1], -7
	s_and_b32 s2, s4, -8
	s_cmp_lg_u64 s[6:7], 0
	s_mov_b32 s3, s5
	s_cselect_b32 s13, -1, 0
	s_mov_b32 s14, s7
	s_branch .LBB121_90
.LBB121_89:                             ;   in Loop: Header=BB121_90 Depth=1
	s_waitcnt lgkmcnt(0)
	v_add_co_u32 v2, vcc_lo, v2, s22
	v_lshlrev_b64 v[6:7], 3, v[6:7]
	v_add_co_ci_u32_e32 v3, vcc_lo, 0, v3, vcc_lo
	v_add_co_u32 v0, vcc_lo, 0x400, v0
	v_add_co_ci_u32_e32 v1, vcc_lo, 0, v1, vcc_lo
	s_delay_alu instid0(VALU_DEP_4) | instskip(SKIP_1) | instid1(VALU_DEP_3)
	v_add_co_u32 v8, vcc_lo, s24, v6
	v_add_co_ci_u32_e32 v9, vcc_lo, s25, v7, vcc_lo
	v_cmp_le_i64_e32 vcc_lo, s[4:5], v[0:1]
	v_add_co_u32 v6, s0, s26, v6
	s_delay_alu instid0(VALU_DEP_1) | instskip(SKIP_3) | instid1(SALU_CYCLE_1)
	v_add_co_ci_u32_e64 v7, s0, s27, v7, s0
	global_store_b64 v[8:9], v[2:3], off
	global_store_b64 v[6:7], v[4:5], off
	s_or_b32 s14, vcc_lo, s14
	s_and_not1_b32 exec_lo, exec_lo, s14
	s_cbranch_execz .LBB121_97
.LBB121_90:                             ; =>This Loop Header: Depth=1
                                        ;     Child Loop BB121_92 Depth 2
                                        ;     Child Loop BB121_96 Depth 2
	v_lshl_add_u32 v2, v0, 3, 0
	v_dual_mov_b32 v6, s8 :: v_dual_mov_b32 v7, s9
	s_and_not1_b32 vcc_lo, exec_lo, s12
	s_mov_b64 s[0:1], 0
	ds_load_2addr_stride64_b64 v[2:5], v2 offset1:32
	s_cbranch_vccnz .LBB121_94
; %bb.91:                               ;   in Loop: Header=BB121_90 Depth=1
	v_dual_mov_b32 v6, s8 :: v_dual_mov_b32 v7, s9
	s_mov_b64 s[10:11], 0
	s_mov_b32 s1, 0
.LBB121_92:                             ;   Parent Loop BB121_90 Depth=1
                                        ; =>  This Inner Loop Header: Depth=2
	s_delay_alu instid0(SALU_CYCLE_1)
	v_mov_b32_e32 v20, s1
	s_add_u32 s10, s10, 8
	s_addc_u32 s11, s11, 0
	s_add_i32 s1, s1, 64
	s_cmp_eq_u64 s[2:3], s[10:11]
	ds_load_2addr_b64 v[8:11], v20 offset1:1
	ds_load_2addr_b64 v[12:15], v20 offset0:2 offset1:3
	ds_load_2addr_b64 v[16:19], v20 offset0:4 offset1:5
	ds_load_2addr_b64 v[20:23], v20 offset0:6 offset1:7
	s_waitcnt lgkmcnt(3)
	v_cmp_gt_i64_e32 vcc_lo, v[2:3], v[8:9]
	v_cndmask_b32_e64 v8, 0, 1, vcc_lo
	v_cmp_gt_i64_e32 vcc_lo, v[2:3], v[10:11]
	v_cndmask_b32_e64 v9, 0, 1, vcc_lo
	s_waitcnt lgkmcnt(2)
	v_cmp_gt_i64_e32 vcc_lo, v[2:3], v[12:13]
	v_cndmask_b32_e64 v10, 0, 1, vcc_lo
	v_cmp_gt_i64_e32 vcc_lo, v[2:3], v[14:15]
	v_cndmask_b32_e64 v11, 0, 1, vcc_lo
	s_waitcnt lgkmcnt(1)
	v_cmp_gt_i64_e32 vcc_lo, v[2:3], v[16:17]
	v_cndmask_b32_e64 v12, 0, 1, vcc_lo
	v_add_co_u32 v6, vcc_lo, v6, v8
	v_add_co_ci_u32_e32 v7, vcc_lo, 0, v7, vcc_lo
	v_cmp_gt_i64_e32 vcc_lo, v[2:3], v[18:19]
	s_delay_alu instid0(VALU_DEP_3) | instskip(NEXT) | instid1(VALU_DEP_1)
	v_add_co_u32 v6, s0, v6, v9
	v_add_co_ci_u32_e64 v7, s0, 0, v7, s0
	v_cndmask_b32_e64 v8, 0, 1, vcc_lo
	s_delay_alu instid0(VALU_DEP_3) | instskip(NEXT) | instid1(VALU_DEP_3)
	v_add_co_u32 v6, vcc_lo, v6, v10
	v_add_co_ci_u32_e32 v7, vcc_lo, 0, v7, vcc_lo
	s_waitcnt lgkmcnt(0)
	v_cmp_gt_i64_e32 vcc_lo, v[2:3], v[20:21]
	s_delay_alu instid0(VALU_DEP_3) | instskip(NEXT) | instid1(VALU_DEP_1)
	v_add_co_u32 v6, s0, v6, v11
	v_add_co_ci_u32_e64 v7, s0, 0, v7, s0
	v_cndmask_b32_e64 v9, 0, 1, vcc_lo
	s_delay_alu instid0(VALU_DEP_3) | instskip(NEXT) | instid1(VALU_DEP_3)
	v_add_co_u32 v6, vcc_lo, v6, v12
	v_add_co_ci_u32_e32 v7, vcc_lo, 0, v7, vcc_lo
	v_cmp_gt_i64_e32 vcc_lo, v[2:3], v[22:23]
	s_delay_alu instid0(VALU_DEP_3) | instskip(NEXT) | instid1(VALU_DEP_1)
	v_add_co_u32 v6, s0, v6, v8
	v_add_co_ci_u32_e64 v7, s0, 0, v7, s0
	v_cndmask_b32_e64 v8, 0, 1, vcc_lo
	s_delay_alu instid0(VALU_DEP_3) | instskip(NEXT) | instid1(VALU_DEP_3)
	v_add_co_u32 v6, vcc_lo, v6, v9
	v_add_co_ci_u32_e32 v7, vcc_lo, 0, v7, vcc_lo
	s_delay_alu instid0(VALU_DEP_2) | instskip(NEXT) | instid1(VALU_DEP_2)
	v_add_co_u32 v6, vcc_lo, v6, v8
	v_add_co_ci_u32_e32 v7, vcc_lo, 0, v7, vcc_lo
	s_cbranch_scc0 .LBB121_92
; %bb.93:                               ;   in Loop: Header=BB121_90 Depth=1
	s_mov_b64 s[0:1], s[2:3]
.LBB121_94:                             ;   in Loop: Header=BB121_90 Depth=1
	s_and_not1_b32 vcc_lo, exec_lo, s13
	s_cbranch_vccnz .LBB121_89
; %bb.95:                               ;   in Loop: Header=BB121_90 Depth=1
	s_lshl_b32 s0, s0, 3
	s_delay_alu instid0(SALU_CYCLE_1)
	s_add_i32 s10, s0, 0
	s_mov_b64 s[0:1], s[6:7]
.LBB121_96:                             ;   Parent Loop BB121_90 Depth=1
                                        ; =>  This Inner Loop Header: Depth=2
	v_mov_b32_e32 v8, s10
	s_add_i32 s10, s10, 8
	s_add_u32 s0, s0, -1
	s_addc_u32 s1, s1, -1
	s_delay_alu instid0(SALU_CYCLE_1) | instskip(SKIP_4) | instid1(VALU_DEP_1)
	s_cmp_lg_u64 s[0:1], 0
	ds_load_b64 v[8:9], v8
	s_waitcnt lgkmcnt(0)
	v_cmp_gt_i64_e32 vcc_lo, v[2:3], v[8:9]
	v_cndmask_b32_e64 v8, 0, 1, vcc_lo
	v_add_co_u32 v6, vcc_lo, v6, v8
	v_add_co_ci_u32_e32 v7, vcc_lo, 0, v7, vcc_lo
	s_cbranch_scc1 .LBB121_96
	s_branch .LBB121_89
.LBB121_97:
	s_nop 0
	s_sendmsg sendmsg(MSG_DEALLOC_VGPRS)
	s_endpgm
	.section	.rodata,"a",@progbits
	.p2align	6, 0x0
	.amdhsa_kernel _ZN9rocsparseL26csrgemm_fill_block_per_rowILj1024ELj32ELj2048ELj137ELj64ElldEEvT5_PKS1_S3_NS_24const_host_device_scalarIT6_EEPKT4_S3_PKS5_S9_S3_SB_S6_S9_S3_SB_S9_PS1_PS5_21rocsparse_index_base_SE_SE_SE_bbb
		.amdhsa_group_segment_fixed_size 0
		.amdhsa_private_segment_fixed_size 0
		.amdhsa_kernarg_size 156
		.amdhsa_user_sgpr_count 15
		.amdhsa_user_sgpr_dispatch_ptr 0
		.amdhsa_user_sgpr_queue_ptr 0
		.amdhsa_user_sgpr_kernarg_segment_ptr 1
		.amdhsa_user_sgpr_dispatch_id 0
		.amdhsa_user_sgpr_private_segment_size 0
		.amdhsa_wavefront_size32 1
		.amdhsa_uses_dynamic_stack 0
		.amdhsa_enable_private_segment 0
		.amdhsa_system_sgpr_workgroup_id_x 1
		.amdhsa_system_sgpr_workgroup_id_y 0
		.amdhsa_system_sgpr_workgroup_id_z 0
		.amdhsa_system_sgpr_workgroup_info 0
		.amdhsa_system_vgpr_workitem_id 0
		.amdhsa_next_free_vgpr 27
		.amdhsa_next_free_sgpr 44
		.amdhsa_reserve_vcc 1
		.amdhsa_float_round_mode_32 0
		.amdhsa_float_round_mode_16_64 0
		.amdhsa_float_denorm_mode_32 3
		.amdhsa_float_denorm_mode_16_64 3
		.amdhsa_dx10_clamp 1
		.amdhsa_ieee_mode 1
		.amdhsa_fp16_overflow 0
		.amdhsa_workgroup_processor_mode 1
		.amdhsa_memory_ordered 1
		.amdhsa_forward_progress 0
		.amdhsa_shared_vgpr_count 0
		.amdhsa_exception_fp_ieee_invalid_op 0
		.amdhsa_exception_fp_denorm_src 0
		.amdhsa_exception_fp_ieee_div_zero 0
		.amdhsa_exception_fp_ieee_overflow 0
		.amdhsa_exception_fp_ieee_underflow 0
		.amdhsa_exception_fp_ieee_inexact 0
		.amdhsa_exception_int_div_zero 0
	.end_amdhsa_kernel
	.section	.text._ZN9rocsparseL26csrgemm_fill_block_per_rowILj1024ELj32ELj2048ELj137ELj64ElldEEvT5_PKS1_S3_NS_24const_host_device_scalarIT6_EEPKT4_S3_PKS5_S9_S3_SB_S6_S9_S3_SB_S9_PS1_PS5_21rocsparse_index_base_SE_SE_SE_bbb,"axG",@progbits,_ZN9rocsparseL26csrgemm_fill_block_per_rowILj1024ELj32ELj2048ELj137ELj64ElldEEvT5_PKS1_S3_NS_24const_host_device_scalarIT6_EEPKT4_S3_PKS5_S9_S3_SB_S6_S9_S3_SB_S9_PS1_PS5_21rocsparse_index_base_SE_SE_SE_bbb,comdat
.Lfunc_end121:
	.size	_ZN9rocsparseL26csrgemm_fill_block_per_rowILj1024ELj32ELj2048ELj137ELj64ElldEEvT5_PKS1_S3_NS_24const_host_device_scalarIT6_EEPKT4_S3_PKS5_S9_S3_SB_S6_S9_S3_SB_S9_PS1_PS5_21rocsparse_index_base_SE_SE_SE_bbb, .Lfunc_end121-_ZN9rocsparseL26csrgemm_fill_block_per_rowILj1024ELj32ELj2048ELj137ELj64ElldEEvT5_PKS1_S3_NS_24const_host_device_scalarIT6_EEPKT4_S3_PKS5_S9_S3_SB_S6_S9_S3_SB_S9_PS1_PS5_21rocsparse_index_base_SE_SE_SE_bbb
                                        ; -- End function
	.section	.AMDGPU.csdata,"",@progbits
; Kernel info:
; codeLenInByte = 3716
; NumSgprs: 46
; NumVgprs: 27
; ScratchSize: 0
; MemoryBound: 0
; FloatMode: 240
; IeeeMode: 1
; LDSByteSize: 0 bytes/workgroup (compile time only)
; SGPRBlocks: 5
; VGPRBlocks: 3
; NumSGPRsForWavesPerEU: 46
; NumVGPRsForWavesPerEU: 27
; Occupancy: 16
; WaveLimiterHint : 1
; COMPUTE_PGM_RSRC2:SCRATCH_EN: 0
; COMPUTE_PGM_RSRC2:USER_SGPR: 15
; COMPUTE_PGM_RSRC2:TRAP_HANDLER: 0
; COMPUTE_PGM_RSRC2:TGID_X_EN: 1
; COMPUTE_PGM_RSRC2:TGID_Y_EN: 0
; COMPUTE_PGM_RSRC2:TGID_Z_EN: 0
; COMPUTE_PGM_RSRC2:TIDIG_COMP_CNT: 0
	.section	.text._ZN9rocsparseL26csrgemm_fill_block_per_rowILj1024ELj64ELj4096ELj137ELj32ElldEEvT5_PKS1_S3_NS_24const_host_device_scalarIT6_EEPKT4_S3_PKS5_S9_S3_SB_S6_S9_S3_SB_S9_PS1_PS5_21rocsparse_index_base_SE_SE_SE_bbb,"axG",@progbits,_ZN9rocsparseL26csrgemm_fill_block_per_rowILj1024ELj64ELj4096ELj137ELj32ElldEEvT5_PKS1_S3_NS_24const_host_device_scalarIT6_EEPKT4_S3_PKS5_S9_S3_SB_S6_S9_S3_SB_S9_PS1_PS5_21rocsparse_index_base_SE_SE_SE_bbb,comdat
	.globl	_ZN9rocsparseL26csrgemm_fill_block_per_rowILj1024ELj64ELj4096ELj137ELj32ElldEEvT5_PKS1_S3_NS_24const_host_device_scalarIT6_EEPKT4_S3_PKS5_S9_S3_SB_S6_S9_S3_SB_S9_PS1_PS5_21rocsparse_index_base_SE_SE_SE_bbb ; -- Begin function _ZN9rocsparseL26csrgemm_fill_block_per_rowILj1024ELj64ELj4096ELj137ELj32ElldEEvT5_PKS1_S3_NS_24const_host_device_scalarIT6_EEPKT4_S3_PKS5_S9_S3_SB_S6_S9_S3_SB_S9_PS1_PS5_21rocsparse_index_base_SE_SE_SE_bbb
	.p2align	8
	.type	_ZN9rocsparseL26csrgemm_fill_block_per_rowILj1024ELj64ELj4096ELj137ELj32ElldEEvT5_PKS1_S3_NS_24const_host_device_scalarIT6_EEPKT4_S3_PKS5_S9_S3_SB_S6_S9_S3_SB_S9_PS1_PS5_21rocsparse_index_base_SE_SE_SE_bbb,@function
_ZN9rocsparseL26csrgemm_fill_block_per_rowILj1024ELj64ELj4096ELj137ELj32ElldEEvT5_PKS1_S3_NS_24const_host_device_scalarIT6_EEPKT4_S3_PKS5_S9_S3_SB_S6_S9_S3_SB_S9_PS1_PS5_21rocsparse_index_base_SE_SE_SE_bbb: ; @_ZN9rocsparseL26csrgemm_fill_block_per_rowILj1024ELj64ELj4096ELj137ELj32ElldEEvT5_PKS1_S3_NS_24const_host_device_scalarIT6_EEPKT4_S3_PKS5_S9_S3_SB_S6_S9_S3_SB_S9_PS1_PS5_21rocsparse_index_base_SE_SE_SE_bbb
; %bb.0:
	s_clause 0x3
	s_load_b32 s3, s[0:1], 0x98
	s_load_b64 s[4:5], s[0:1], 0x18
	s_load_b128 s[44:47], s[0:1], 0x88
	s_load_b64 s[20:21], s[0:1], 0x50
	s_mov_b32 s2, s15
	s_waitcnt lgkmcnt(0)
	s_and_b32 s6, 1, s3
	s_bitcmp1_b32 s3, 16
	s_cselect_b32 s24, -1, 0
	s_cmp_eq_u32 s6, 1
	s_cselect_b32 s23, -1, 0
	s_delay_alu instid0(SALU_CYCLE_1)
	s_and_b32 s6, s23, exec_lo
	s_cselect_b32 s7, s5, 0
	s_cselect_b32 s6, s4, 0
	s_xor_b32 s8, s23, -1
	v_dual_mov_b32 v3, s6 :: v_dual_mov_b32 v4, s7
	s_or_b32 s8, s8, s24
	s_delay_alu instid0(SALU_CYCLE_1)
	s_and_b32 vcc_lo, exec_lo, s8
	s_cbranch_vccnz .LBB122_2
; %bb.1:
	v_dual_mov_b32 v1, s4 :: v_dual_mov_b32 v2, s5
	flat_load_b64 v[3:4], v[1:2]
.LBB122_2:
	s_clause 0x4
	s_load_b128 s[48:51], s[0:1], 0x78
	s_load_b256 s[36:43], s[0:1], 0x58
	s_load_b128 s[12:15], s[0:1], 0x40
	s_load_b128 s[16:19], s[0:1], 0x8
	s_load_b256 s[4:11], s[0:1], 0x20
	s_bitcmp1_b32 s3, 8
	s_cselect_b32 s22, -1, 0
	s_delay_alu instid0(SALU_CYCLE_1)
	s_and_b32 s3, s22, exec_lo
	s_cselect_b32 s27, s21, 0
	s_cselect_b32 s26, s20, 0
	s_xor_b32 s3, s22, -1
	v_dual_mov_b32 v1, s26 :: v_dual_mov_b32 v2, s27
	s_or_b32 s3, s3, s24
	s_delay_alu instid0(SALU_CYCLE_1)
	s_and_b32 vcc_lo, exec_lo, s3
	s_cbranch_vccnz .LBB122_4
; %bb.3:
	v_dual_mov_b32 v1, s20 :: v_dual_mov_b32 v2, s21
	flat_load_b64 v[1:2], v[1:2]
.LBB122_4:
	s_load_b64 s[34:35], s[0:1], 0x0
	v_mov_b32_e32 v5, 0
	v_lshl_add_u32 v19, v0, 3, 0
	v_or_b32_e32 v20, 0xfffffc00, v0
	s_mov_b32 s0, 0
	s_delay_alu instid0(VALU_DEP_1)
	v_dual_mov_b32 v9, v19 :: v_dual_mov_b32 v10, v20
	s_waitcnt lgkmcnt(0)
	v_dual_mov_b32 v7, s34 :: v_dual_mov_b32 v8, s35
	v_mov_b32_e32 v6, v5
.LBB122_5:                              ; =>This Inner Loop Header: Depth=1
	s_delay_alu instid0(VALU_DEP_3) | instskip(SKIP_4) | instid1(SALU_CYCLE_1)
	v_add_nc_u32_e32 v10, 0x400, v10
	ds_store_2addr_stride64_b64 v9, v[7:8], v[5:6] offset1:64
	v_add_nc_u32_e32 v9, 0x2000, v9
	v_cmp_lt_u32_e32 vcc_lo, 0xbff, v10
	s_or_b32 s0, vcc_lo, s0
	s_and_not1_b32 exec_lo, exec_lo, s0
	s_cbranch_execnz .LBB122_5
; %bb.6:
	s_or_b32 exec_lo, exec_lo, s0
	s_waitcnt vmcnt(0) lgkmcnt(0)
	s_barrier
	buffer_gl0_inv
	s_load_b64 s[0:1], s[16:17], 0x0
	s_mov_b32 s3, 0
	s_waitcnt lgkmcnt(0)
	s_lshl_b64 s[0:1], s[0:1], 3
	s_delay_alu instid0(SALU_CYCLE_1) | instskip(SKIP_2) | instid1(SALU_CYCLE_1)
	s_add_u32 s16, s18, s0
	s_addc_u32 s17, s19, s1
	s_lshl_b64 s[0:1], s[2:3], 3
	s_add_u32 s0, s16, s0
	s_addc_u32 s1, s17, s1
	s_and_b32 vcc_lo, exec_lo, s23
	s_load_b64 s[52:53], s[0:1], 0x0
	s_cbranch_vccz .LBB122_30
; %bb.7:
	s_waitcnt lgkmcnt(0)
	s_lshl_b64 s[0:1], s[52:53], 3
	v_lshrrev_b32_e32 v5, 6, v0
	s_add_u32 s0, s4, s0
	s_addc_u32 s1, s5, s1
	s_load_b128 s[0:3], s[0:1], 0x0
	s_delay_alu instid0(VALU_DEP_1) | instskip(NEXT) | instid1(VALU_DEP_1)
	v_sub_co_u32 v5, s4, v5, s44
	v_sub_co_ci_u32_e64 v6, null, 0, 0, s4
	s_waitcnt lgkmcnt(0)
	s_delay_alu instid0(VALU_DEP_2) | instskip(NEXT) | instid1(VALU_DEP_2)
	v_add_co_u32 v5, vcc_lo, s0, v5
	v_add_co_ci_u32_e32 v6, vcc_lo, s1, v6, vcc_lo
	s_sub_u32 s0, s2, s44
	s_subb_u32 s1, s3, 0
	s_mov_b32 s2, exec_lo
	s_delay_alu instid0(VALU_DEP_1)
	v_cmpx_gt_i64_e64 s[0:1], v[5:6]
	s_cbranch_execz .LBB122_29
; %bb.8:
	v_and_b32_e32 v7, 63, v0
	s_mov_b32 s4, s45
	s_delay_alu instid0(VALU_DEP_1) | instskip(NEXT) | instid1(VALU_DEP_1)
	v_sub_co_u32 v21, s3, v7, s45
	v_sub_co_ci_u32_e64 v22, null, 0, 0, s3
	s_mov_b32 s3, 0
	s_branch .LBB122_10
.LBB122_9:                              ;   in Loop: Header=BB122_10 Depth=1
	s_or_b32 exec_lo, exec_lo, s5
	v_add_co_u32 v5, vcc_lo, v5, 16
	v_add_co_ci_u32_e32 v6, vcc_lo, 0, v6, vcc_lo
	s_delay_alu instid0(VALU_DEP_1) | instskip(SKIP_1) | instid1(SALU_CYCLE_1)
	v_cmp_le_i64_e32 vcc_lo, s[0:1], v[5:6]
	s_or_b32 s3, vcc_lo, s3
	s_and_not1_b32 exec_lo, exec_lo, s3
	s_cbranch_execz .LBB122_29
.LBB122_10:                             ; =>This Loop Header: Depth=1
                                        ;     Child Loop BB122_13 Depth 2
                                        ;       Child Loop BB122_15 Depth 3
                                        ;         Child Loop BB122_21 Depth 4
                                        ;         Child Loop BB122_27 Depth 4
	v_lshlrev_b64 v[11:12], 3, v[5:6]
	s_mov_b32 s5, exec_lo
	s_delay_alu instid0(VALU_DEP_1) | instskip(NEXT) | instid1(VALU_DEP_2)
	v_add_co_u32 v7, vcc_lo, s6, v11
	v_add_co_ci_u32_e32 v8, vcc_lo, s7, v12, vcc_lo
	global_load_b64 v[7:8], v[7:8], off
	s_waitcnt vmcnt(0)
	v_sub_co_u32 v7, vcc_lo, v7, s44
	v_subrev_co_ci_u32_e32 v8, vcc_lo, 0, v8, vcc_lo
	s_delay_alu instid0(VALU_DEP_1) | instskip(NEXT) | instid1(VALU_DEP_1)
	v_lshlrev_b64 v[7:8], 3, v[7:8]
	v_add_co_u32 v7, vcc_lo, s10, v7
	s_delay_alu instid0(VALU_DEP_2)
	v_add_co_ci_u32_e32 v8, vcc_lo, s11, v8, vcc_lo
	global_load_b128 v[13:16], v[7:8], off
	s_waitcnt vmcnt(0)
	v_sub_co_u32 v7, vcc_lo, v15, s4
	v_subrev_co_ci_u32_e32 v8, vcc_lo, 0, v16, vcc_lo
	v_add_co_u32 v9, vcc_lo, v13, v21
	v_add_co_ci_u32_e32 v10, vcc_lo, v14, v22, vcc_lo
	s_delay_alu instid0(VALU_DEP_1)
	v_cmpx_lt_i64_e64 v[9:10], v[7:8]
	s_cbranch_execz .LBB122_9
; %bb.11:                               ;   in Loop: Header=BB122_10 Depth=1
	v_add_co_u32 v11, vcc_lo, s8, v11
	v_add_co_ci_u32_e32 v12, vcc_lo, s9, v12, vcc_lo
	s_mov_b32 s16, 0
	global_load_b64 v[11:12], v[11:12], off
	s_waitcnt vmcnt(0)
	v_mul_f64 v[11:12], v[3:4], v[11:12]
	s_branch .LBB122_13
.LBB122_12:                             ;   in Loop: Header=BB122_13 Depth=2
	s_or_b32 exec_lo, exec_lo, s17
	v_add_co_u32 v9, vcc_lo, v9, 64
	v_add_co_ci_u32_e32 v10, vcc_lo, 0, v10, vcc_lo
	s_delay_alu instid0(VALU_DEP_1) | instskip(SKIP_1) | instid1(SALU_CYCLE_1)
	v_cmp_ge_i64_e32 vcc_lo, v[9:10], v[7:8]
	s_or_b32 s16, vcc_lo, s16
	s_and_not1_b32 exec_lo, exec_lo, s16
	s_cbranch_execz .LBB122_9
.LBB122_13:                             ;   Parent Loop BB122_10 Depth=1
                                        ; =>  This Loop Header: Depth=2
                                        ;       Child Loop BB122_15 Depth 3
                                        ;         Child Loop BB122_21 Depth 4
                                        ;         Child Loop BB122_27 Depth 4
	v_lshlrev_b64 v[13:14], 3, v[9:10]
	s_mov_b32 s17, 0
	s_delay_alu instid0(VALU_DEP_1) | instskip(NEXT) | instid1(VALU_DEP_2)
	v_add_co_u32 v15, vcc_lo, s14, v13
	v_add_co_ci_u32_e32 v16, vcc_lo, s15, v14, vcc_lo
	v_add_co_u32 v13, vcc_lo, s12, v13
	v_add_co_ci_u32_e32 v14, vcc_lo, s13, v14, vcc_lo
	global_load_b64 v[15:16], v[15:16], off
	global_load_b64 v[17:18], v[13:14], off
	s_waitcnt vmcnt(1)
	v_mul_f64 v[13:14], v[11:12], v[15:16]
	s_waitcnt vmcnt(0)
	v_sub_co_u32 v15, vcc_lo, v17, s4
	v_subrev_co_ci_u32_e32 v16, vcc_lo, 0, v18, vcc_lo
	s_delay_alu instid0(VALU_DEP_2) | instskip(NEXT) | instid1(VALU_DEP_1)
	v_mul_lo_u32 v17, 0x89, v15
	v_and_b32_e32 v23, 0xfff, v17
	s_branch .LBB122_15
.LBB122_14:                             ;   in Loop: Header=BB122_15 Depth=3
	s_or_b32 exec_lo, exec_lo, s18
	s_xor_b32 s18, s19, -1
	s_delay_alu instid0(SALU_CYCLE_1) | instskip(NEXT) | instid1(SALU_CYCLE_1)
	s_and_b32 s18, exec_lo, s18
	s_or_b32 s17, s18, s17
	s_delay_alu instid0(SALU_CYCLE_1)
	s_and_not1_b32 exec_lo, exec_lo, s17
	s_cbranch_execz .LBB122_12
.LBB122_15:                             ;   Parent Loop BB122_10 Depth=1
                                        ;     Parent Loop BB122_13 Depth=2
                                        ; =>    This Loop Header: Depth=3
                                        ;         Child Loop BB122_21 Depth 4
                                        ;         Child Loop BB122_27 Depth 4
	s_delay_alu instid0(VALU_DEP_1)
	v_lshl_add_u32 v24, v23, 3, 0
	s_mov_b32 s18, exec_lo
                                        ; implicit-def: $sgpr19
	ds_load_b64 v[17:18], v24
	s_waitcnt lgkmcnt(0)
	v_cmpx_ne_u64_e64 v[17:18], v[15:16]
	s_xor_b32 s18, exec_lo, s18
	s_cbranch_execz .LBB122_25
; %bb.16:                               ;   in Loop: Header=BB122_15 Depth=3
	s_mov_b32 s20, exec_lo
                                        ; implicit-def: $sgpr19
	v_cmpx_ne_u64_e64 s[34:35], v[17:18]
	s_xor_b32 s20, exec_lo, s20
; %bb.17:                               ;   in Loop: Header=BB122_15 Depth=3
	v_add_nc_u32_e32 v17, 1, v23
	s_mov_b32 s19, -1
                                        ; implicit-def: $vgpr24
	s_delay_alu instid0(VALU_DEP_1)
	v_and_b32_e32 v23, 0xfff, v17
; %bb.18:                               ;   in Loop: Header=BB122_15 Depth=3
	s_and_not1_saveexec_b32 s20, s20
	s_cbranch_execz .LBB122_24
; %bb.19:                               ;   in Loop: Header=BB122_15 Depth=3
	v_dual_mov_b32 v17, s34 :: v_dual_mov_b32 v18, s35
	s_mov_b32 s23, -1
	s_mov_b32 s21, exec_lo
	ds_cmpstore_rtn_b64 v[17:18], v24, v[15:16], v[17:18]
	s_waitcnt lgkmcnt(0)
	v_cmpx_eq_u64_e64 s[34:35], v[17:18]
	s_cbranch_execz .LBB122_23
; %bb.20:                               ;   in Loop: Header=BB122_15 Depth=3
	ds_load_b64 v[17:18], v24 offset:32768
	s_mov_b32 s23, 0
.LBB122_21:                             ;   Parent Loop BB122_10 Depth=1
                                        ;     Parent Loop BB122_13 Depth=2
                                        ;       Parent Loop BB122_15 Depth=3
                                        ; =>      This Inner Loop Header: Depth=4
	s_waitcnt lgkmcnt(0)
	v_add_f64 v[25:26], v[17:18], v[13:14]
	ds_cmpstore_rtn_b64 v[25:26], v24, v[25:26], v[17:18] offset:32768
	s_waitcnt lgkmcnt(0)
	v_cmp_eq_u64_e32 vcc_lo, v[25:26], v[17:18]
	v_dual_mov_b32 v17, v25 :: v_dual_mov_b32 v18, v26
	s_or_b32 s23, vcc_lo, s23
	s_delay_alu instid0(SALU_CYCLE_1)
	s_and_not1_b32 exec_lo, exec_lo, s23
	s_cbranch_execnz .LBB122_21
; %bb.22:                               ;   in Loop: Header=BB122_15 Depth=3
	s_or_b32 exec_lo, exec_lo, s23
	s_delay_alu instid0(SALU_CYCLE_1)
	s_xor_b32 s23, exec_lo, -1
.LBB122_23:                             ;   in Loop: Header=BB122_15 Depth=3
	s_or_b32 exec_lo, exec_lo, s21
	s_delay_alu instid0(SALU_CYCLE_1) | instskip(SKIP_1) | instid1(SALU_CYCLE_1)
	s_and_not1_b32 s19, s19, exec_lo
	s_and_b32 s21, s23, exec_lo
	s_or_b32 s19, s19, s21
.LBB122_24:                             ;   in Loop: Header=BB122_15 Depth=3
	s_or_b32 exec_lo, exec_lo, s20
	s_delay_alu instid0(SALU_CYCLE_1)
	s_and_b32 s19, s19, exec_lo
                                        ; implicit-def: $vgpr24
.LBB122_25:                             ;   in Loop: Header=BB122_15 Depth=3
	s_and_not1_saveexec_b32 s18, s18
	s_cbranch_execz .LBB122_14
; %bb.26:                               ;   in Loop: Header=BB122_15 Depth=3
	ds_load_b64 v[17:18], v24 offset:32768
	s_mov_b32 s20, 0
.LBB122_27:                             ;   Parent Loop BB122_10 Depth=1
                                        ;     Parent Loop BB122_13 Depth=2
                                        ;       Parent Loop BB122_15 Depth=3
                                        ; =>      This Inner Loop Header: Depth=4
	s_waitcnt lgkmcnt(0)
	v_add_f64 v[25:26], v[17:18], v[13:14]
	ds_cmpstore_rtn_b64 v[25:26], v24, v[25:26], v[17:18] offset:32768
	s_waitcnt lgkmcnt(0)
	v_cmp_eq_u64_e32 vcc_lo, v[25:26], v[17:18]
	v_dual_mov_b32 v17, v25 :: v_dual_mov_b32 v18, v26
	s_or_b32 s20, vcc_lo, s20
	s_delay_alu instid0(SALU_CYCLE_1)
	s_and_not1_b32 exec_lo, exec_lo, s20
	s_cbranch_execnz .LBB122_27
; %bb.28:                               ;   in Loop: Header=BB122_15 Depth=3
	s_or_b32 exec_lo, exec_lo, s20
	s_delay_alu instid0(SALU_CYCLE_1)
	s_and_not1_b32 s19, s19, exec_lo
	s_branch .LBB122_14
.LBB122_29:
	s_or_b32 exec_lo, exec_lo, s2
.LBB122_30:
	s_delay_alu instid0(SALU_CYCLE_1)
	s_and_not1_b32 vcc_lo, exec_lo, s22
	s_cbranch_vccnz .LBB122_51
; %bb.31:
	s_waitcnt lgkmcnt(0)
	s_lshl_b64 s[0:1], s[52:53], 3
	v_sub_co_u32 v3, s4, v0, s47
	s_add_u32 s0, s36, s0
	s_addc_u32 s1, s37, s1
	v_sub_co_ci_u32_e64 v4, null, 0, 0, s4
	s_load_b128 s[0:3], s[0:1], 0x0
	s_waitcnt lgkmcnt(0)
	v_add_co_u32 v3, vcc_lo, s0, v3
	s_delay_alu instid0(VALU_DEP_2)
	v_add_co_ci_u32_e32 v4, vcc_lo, s1, v4, vcc_lo
	s_sub_u32 s0, s2, s47
	s_subb_u32 s1, s3, 0
	s_mov_b32 s2, 0
	s_mov_b32 s3, exec_lo
	v_cmpx_gt_i64_e64 s[0:1], v[3:4]
	s_cbranch_execz .LBB122_50
; %bb.32:
	s_mov_b32 s4, s47
	s_branch .LBB122_34
.LBB122_33:                             ;   in Loop: Header=BB122_34 Depth=1
	s_or_b32 exec_lo, exec_lo, s5
	v_add_co_u32 v3, vcc_lo, 0x400, v3
	v_add_co_ci_u32_e32 v4, vcc_lo, 0, v4, vcc_lo
	s_delay_alu instid0(VALU_DEP_1) | instskip(SKIP_1) | instid1(SALU_CYCLE_1)
	v_cmp_le_i64_e32 vcc_lo, s[0:1], v[3:4]
	s_or_b32 s2, vcc_lo, s2
	s_and_not1_b32 exec_lo, exec_lo, s2
	s_cbranch_execz .LBB122_50
.LBB122_34:                             ; =>This Loop Header: Depth=1
                                        ;     Child Loop BB122_36 Depth 2
                                        ;       Child Loop BB122_42 Depth 3
                                        ;       Child Loop BB122_48 Depth 3
	v_lshlrev_b64 v[5:6], 3, v[3:4]
	s_mov_b32 s5, 0
	s_delay_alu instid0(VALU_DEP_1) | instskip(NEXT) | instid1(VALU_DEP_2)
	v_add_co_u32 v7, vcc_lo, s40, v5
	v_add_co_ci_u32_e32 v8, vcc_lo, s41, v6, vcc_lo
	v_add_co_u32 v5, vcc_lo, s38, v5
	v_add_co_ci_u32_e32 v6, vcc_lo, s39, v6, vcc_lo
	global_load_b64 v[7:8], v[7:8], off
	global_load_b64 v[9:10], v[5:6], off
	s_waitcnt vmcnt(1)
	v_mul_f64 v[5:6], v[1:2], v[7:8]
	s_waitcnt vmcnt(0)
	v_sub_co_u32 v7, vcc_lo, v9, s4
	v_subrev_co_ci_u32_e32 v8, vcc_lo, 0, v10, vcc_lo
	s_delay_alu instid0(VALU_DEP_2) | instskip(NEXT) | instid1(VALU_DEP_1)
	v_mul_lo_u32 v9, 0x89, v7
	v_and_b32_e32 v11, 0xfff, v9
	s_branch .LBB122_36
.LBB122_35:                             ;   in Loop: Header=BB122_36 Depth=2
	s_or_b32 exec_lo, exec_lo, s6
	s_xor_b32 s6, s7, -1
	s_delay_alu instid0(SALU_CYCLE_1) | instskip(NEXT) | instid1(SALU_CYCLE_1)
	s_and_b32 s6, exec_lo, s6
	s_or_b32 s5, s6, s5
	s_delay_alu instid0(SALU_CYCLE_1)
	s_and_not1_b32 exec_lo, exec_lo, s5
	s_cbranch_execz .LBB122_33
.LBB122_36:                             ;   Parent Loop BB122_34 Depth=1
                                        ; =>  This Loop Header: Depth=2
                                        ;       Child Loop BB122_42 Depth 3
                                        ;       Child Loop BB122_48 Depth 3
	s_delay_alu instid0(VALU_DEP_1)
	v_lshl_add_u32 v12, v11, 3, 0
	s_mov_b32 s6, exec_lo
                                        ; implicit-def: $sgpr7
	ds_load_b64 v[9:10], v12
	s_waitcnt lgkmcnt(0)
	v_cmpx_ne_u64_e64 v[9:10], v[7:8]
	s_xor_b32 s6, exec_lo, s6
	s_cbranch_execz .LBB122_46
; %bb.37:                               ;   in Loop: Header=BB122_36 Depth=2
	s_mov_b32 s8, exec_lo
                                        ; implicit-def: $sgpr7
	v_cmpx_ne_u64_e64 s[34:35], v[9:10]
	s_xor_b32 s8, exec_lo, s8
; %bb.38:                               ;   in Loop: Header=BB122_36 Depth=2
	v_add_nc_u32_e32 v9, 1, v11
	s_mov_b32 s7, -1
                                        ; implicit-def: $vgpr12
	s_delay_alu instid0(VALU_DEP_1)
	v_and_b32_e32 v11, 0xfff, v9
; %bb.39:                               ;   in Loop: Header=BB122_36 Depth=2
	s_and_not1_saveexec_b32 s8, s8
	s_cbranch_execz .LBB122_45
; %bb.40:                               ;   in Loop: Header=BB122_36 Depth=2
	v_dual_mov_b32 v9, s34 :: v_dual_mov_b32 v10, s35
	s_mov_b32 s10, -1
	s_mov_b32 s9, exec_lo
	ds_cmpstore_rtn_b64 v[9:10], v12, v[7:8], v[9:10]
	s_waitcnt lgkmcnt(0)
	v_cmpx_eq_u64_e64 s[34:35], v[9:10]
	s_cbranch_execz .LBB122_44
; %bb.41:                               ;   in Loop: Header=BB122_36 Depth=2
	ds_load_b64 v[9:10], v12 offset:32768
	s_mov_b32 s10, 0
.LBB122_42:                             ;   Parent Loop BB122_34 Depth=1
                                        ;     Parent Loop BB122_36 Depth=2
                                        ; =>    This Inner Loop Header: Depth=3
	s_waitcnt lgkmcnt(0)
	v_add_f64 v[13:14], v[9:10], v[5:6]
	ds_cmpstore_rtn_b64 v[13:14], v12, v[13:14], v[9:10] offset:32768
	s_waitcnt lgkmcnt(0)
	v_cmp_eq_u64_e32 vcc_lo, v[13:14], v[9:10]
	v_dual_mov_b32 v9, v13 :: v_dual_mov_b32 v10, v14
	s_or_b32 s10, vcc_lo, s10
	s_delay_alu instid0(SALU_CYCLE_1)
	s_and_not1_b32 exec_lo, exec_lo, s10
	s_cbranch_execnz .LBB122_42
; %bb.43:                               ;   in Loop: Header=BB122_36 Depth=2
	s_or_b32 exec_lo, exec_lo, s10
	s_delay_alu instid0(SALU_CYCLE_1)
	s_xor_b32 s10, exec_lo, -1
.LBB122_44:                             ;   in Loop: Header=BB122_36 Depth=2
	s_or_b32 exec_lo, exec_lo, s9
	s_delay_alu instid0(SALU_CYCLE_1) | instskip(SKIP_1) | instid1(SALU_CYCLE_1)
	s_and_not1_b32 s7, s7, exec_lo
	s_and_b32 s9, s10, exec_lo
	s_or_b32 s7, s7, s9
.LBB122_45:                             ;   in Loop: Header=BB122_36 Depth=2
	s_or_b32 exec_lo, exec_lo, s8
	s_delay_alu instid0(SALU_CYCLE_1)
	s_and_b32 s7, s7, exec_lo
                                        ; implicit-def: $vgpr12
.LBB122_46:                             ;   in Loop: Header=BB122_36 Depth=2
	s_and_not1_saveexec_b32 s6, s6
	s_cbranch_execz .LBB122_35
; %bb.47:                               ;   in Loop: Header=BB122_36 Depth=2
	ds_load_b64 v[9:10], v12 offset:32768
	s_mov_b32 s8, 0
.LBB122_48:                             ;   Parent Loop BB122_34 Depth=1
                                        ;     Parent Loop BB122_36 Depth=2
                                        ; =>    This Inner Loop Header: Depth=3
	s_waitcnt lgkmcnt(0)
	v_add_f64 v[13:14], v[9:10], v[5:6]
	ds_cmpstore_rtn_b64 v[13:14], v12, v[13:14], v[9:10] offset:32768
	s_waitcnt lgkmcnt(0)
	v_cmp_eq_u64_e32 vcc_lo, v[13:14], v[9:10]
	v_dual_mov_b32 v9, v13 :: v_dual_mov_b32 v10, v14
	s_or_b32 s8, vcc_lo, s8
	s_delay_alu instid0(SALU_CYCLE_1)
	s_and_not1_b32 exec_lo, exec_lo, s8
	s_cbranch_execnz .LBB122_48
; %bb.49:                               ;   in Loop: Header=BB122_36 Depth=2
	s_or_b32 exec_lo, exec_lo, s8
	s_delay_alu instid0(SALU_CYCLE_1)
	s_and_not1_b32 s7, s7, exec_lo
	s_branch .LBB122_35
.LBB122_50:
	s_or_b32 exec_lo, exec_lo, s3
.LBB122_51:
	v_mbcnt_lo_u32_b32 v1, -1, 0
	v_lshrrev_b32_e32 v2, 2, v0
	s_add_i32 s73, 0, 0x100f8
	v_cmp_eq_u32_e32 vcc_lo, 0x3ff, v0
	v_cmp_lt_u32_e64 s0, 31, v0
	v_xor_b32_e32 v1, 63, v1
	v_and_b32_e32 v2, 0xf8, v2
	v_cmp_lt_u32_e64 s1, 63, v0
	v_cmp_lt_u32_e64 s2, 0x5f, v0
	;; [unrolled: 1-line block ×3, first 2 shown]
	v_lshrrev_b64 v[5:6], v1, -1
	v_dual_mov_b32 v6, 0 :: v_dual_mov_b32 v9, 0
	v_cmp_lt_u32_e64 s4, 0x9f, v0
	v_cmp_lt_u32_e64 s5, 0xbf, v0
	;; [unrolled: 1-line block ×27, first 2 shown]
	v_mov_b32_e32 v7, 0
	v_add3_u32 v12, 0, 0x10000, v2
	v_mov_b32_e32 v13, s73
	s_mov_b32 s36, 0
	s_add_i32 s37, 0, 0x10000
	s_add_i32 s38, 0, 0x10008
	;; [unrolled: 1-line block ×31, first 2 shown]
	s_waitcnt lgkmcnt(0)
	s_barrier
	buffer_gl0_inv
	s_branch .LBB122_53
.LBB122_52:                             ;   in Loop: Header=BB122_53 Depth=1
	s_or_b32 exec_lo, exec_lo, s31
	s_waitcnt lgkmcnt(0)
	s_barrier
	buffer_gl0_inv
	ds_load_b64 v[1:2], v13
	v_add_nc_u32_e32 v20, 0x400, v20
	v_add_nc_u32_e32 v19, 0x2000, v19
	s_delay_alu instid0(VALU_DEP_2) | instskip(NEXT) | instid1(VALU_DEP_1)
	v_cmp_lt_u32_e64 s31, 0xbff, v20
	s_or_b32 s36, s31, s36
	s_waitcnt lgkmcnt(0)
	v_add_co_u32 v6, s33, v1, v6
	s_delay_alu instid0(VALU_DEP_1)
	v_add_co_ci_u32_e64 v7, s33, v2, v7, s33
	s_and_not1_b32 exec_lo, exec_lo, s36
	s_cbranch_execz .LBB122_119
.LBB122_53:                             ; =>This Inner Loop Header: Depth=1
	ds_load_2addr_stride64_b64 v[1:4], v19 offset1:64
	s_waitcnt lgkmcnt(0)
	s_barrier
	buffer_gl0_inv
	v_cmp_gt_i64_e64 s31, s[34:35], v[1:2]
	s_delay_alu instid0(VALU_DEP_1) | instskip(SKIP_1) | instid1(SALU_CYCLE_1)
	v_and_b32_e32 v10, s31, v5
	s_bcnt1_i32_b32 s33, s31
	v_mov_b32_e32 v8, s33
	s_delay_alu instid0(VALU_DEP_2)
	v_bcnt_u32_b32 v10, v10, 0
	ds_store_b64 v12, v[8:9]
	s_waitcnt lgkmcnt(0)
	s_barrier
	buffer_gl0_inv
	s_and_saveexec_b32 s33, s0
	s_cbranch_execnz .LBB122_86
; %bb.54:                               ;   in Loop: Header=BB122_53 Depth=1
	s_or_b32 exec_lo, exec_lo, s33
	s_and_saveexec_b32 s33, s1
	s_cbranch_execnz .LBB122_87
.LBB122_55:                             ;   in Loop: Header=BB122_53 Depth=1
	s_or_b32 exec_lo, exec_lo, s33
	s_and_saveexec_b32 s33, s2
	s_cbranch_execnz .LBB122_88
.LBB122_56:                             ;   in Loop: Header=BB122_53 Depth=1
	s_or_b32 exec_lo, exec_lo, s33
	s_and_saveexec_b32 s33, s3
	s_cbranch_execnz .LBB122_89
.LBB122_57:                             ;   in Loop: Header=BB122_53 Depth=1
	s_or_b32 exec_lo, exec_lo, s33
	s_and_saveexec_b32 s33, s4
	s_cbranch_execnz .LBB122_90
.LBB122_58:                             ;   in Loop: Header=BB122_53 Depth=1
	s_or_b32 exec_lo, exec_lo, s33
	s_and_saveexec_b32 s33, s5
	s_cbranch_execnz .LBB122_91
.LBB122_59:                             ;   in Loop: Header=BB122_53 Depth=1
	s_or_b32 exec_lo, exec_lo, s33
	s_and_saveexec_b32 s33, s6
	s_cbranch_execnz .LBB122_92
.LBB122_60:                             ;   in Loop: Header=BB122_53 Depth=1
	s_or_b32 exec_lo, exec_lo, s33
	s_and_saveexec_b32 s33, s7
	s_cbranch_execnz .LBB122_93
.LBB122_61:                             ;   in Loop: Header=BB122_53 Depth=1
	s_or_b32 exec_lo, exec_lo, s33
	s_and_saveexec_b32 s33, s8
	s_cbranch_execnz .LBB122_94
.LBB122_62:                             ;   in Loop: Header=BB122_53 Depth=1
	s_or_b32 exec_lo, exec_lo, s33
	s_and_saveexec_b32 s33, s9
	s_cbranch_execnz .LBB122_95
.LBB122_63:                             ;   in Loop: Header=BB122_53 Depth=1
	s_or_b32 exec_lo, exec_lo, s33
	s_and_saveexec_b32 s33, s10
	s_cbranch_execnz .LBB122_96
.LBB122_64:                             ;   in Loop: Header=BB122_53 Depth=1
	s_or_b32 exec_lo, exec_lo, s33
	s_and_saveexec_b32 s33, s11
	s_cbranch_execnz .LBB122_97
.LBB122_65:                             ;   in Loop: Header=BB122_53 Depth=1
	s_or_b32 exec_lo, exec_lo, s33
	s_and_saveexec_b32 s33, s12
	s_cbranch_execnz .LBB122_98
.LBB122_66:                             ;   in Loop: Header=BB122_53 Depth=1
	s_or_b32 exec_lo, exec_lo, s33
	s_and_saveexec_b32 s33, s13
	s_cbranch_execnz .LBB122_99
.LBB122_67:                             ;   in Loop: Header=BB122_53 Depth=1
	s_or_b32 exec_lo, exec_lo, s33
	s_and_saveexec_b32 s33, s14
	s_cbranch_execnz .LBB122_100
.LBB122_68:                             ;   in Loop: Header=BB122_53 Depth=1
	s_or_b32 exec_lo, exec_lo, s33
	s_and_saveexec_b32 s33, s15
	s_cbranch_execnz .LBB122_101
.LBB122_69:                             ;   in Loop: Header=BB122_53 Depth=1
	s_or_b32 exec_lo, exec_lo, s33
	s_and_saveexec_b32 s33, s16
	s_cbranch_execnz .LBB122_102
.LBB122_70:                             ;   in Loop: Header=BB122_53 Depth=1
	s_or_b32 exec_lo, exec_lo, s33
	s_and_saveexec_b32 s33, s17
	s_cbranch_execnz .LBB122_103
.LBB122_71:                             ;   in Loop: Header=BB122_53 Depth=1
	s_or_b32 exec_lo, exec_lo, s33
	s_and_saveexec_b32 s33, s18
	s_cbranch_execnz .LBB122_104
.LBB122_72:                             ;   in Loop: Header=BB122_53 Depth=1
	s_or_b32 exec_lo, exec_lo, s33
	s_and_saveexec_b32 s33, s19
	s_cbranch_execnz .LBB122_105
.LBB122_73:                             ;   in Loop: Header=BB122_53 Depth=1
	s_or_b32 exec_lo, exec_lo, s33
	s_and_saveexec_b32 s33, s20
	s_cbranch_execnz .LBB122_106
.LBB122_74:                             ;   in Loop: Header=BB122_53 Depth=1
	s_or_b32 exec_lo, exec_lo, s33
	s_and_saveexec_b32 s33, s21
	s_cbranch_execnz .LBB122_107
.LBB122_75:                             ;   in Loop: Header=BB122_53 Depth=1
	s_or_b32 exec_lo, exec_lo, s33
	s_and_saveexec_b32 s33, s22
	s_cbranch_execnz .LBB122_108
.LBB122_76:                             ;   in Loop: Header=BB122_53 Depth=1
	s_or_b32 exec_lo, exec_lo, s33
	s_and_saveexec_b32 s33, s23
	s_cbranch_execnz .LBB122_109
.LBB122_77:                             ;   in Loop: Header=BB122_53 Depth=1
	s_or_b32 exec_lo, exec_lo, s33
	s_and_saveexec_b32 s33, s24
	s_cbranch_execnz .LBB122_110
.LBB122_78:                             ;   in Loop: Header=BB122_53 Depth=1
	s_or_b32 exec_lo, exec_lo, s33
	s_and_saveexec_b32 s33, s25
	s_cbranch_execnz .LBB122_111
.LBB122_79:                             ;   in Loop: Header=BB122_53 Depth=1
	s_or_b32 exec_lo, exec_lo, s33
	s_and_saveexec_b32 s33, s26
	s_cbranch_execnz .LBB122_112
.LBB122_80:                             ;   in Loop: Header=BB122_53 Depth=1
	s_or_b32 exec_lo, exec_lo, s33
	s_and_saveexec_b32 s33, s27
	s_cbranch_execnz .LBB122_113
.LBB122_81:                             ;   in Loop: Header=BB122_53 Depth=1
	s_or_b32 exec_lo, exec_lo, s33
	s_and_saveexec_b32 s33, s28
	s_cbranch_execnz .LBB122_114
.LBB122_82:                             ;   in Loop: Header=BB122_53 Depth=1
	s_or_b32 exec_lo, exec_lo, s33
	s_and_saveexec_b32 s33, s29
	s_cbranch_execnz .LBB122_115
.LBB122_83:                             ;   in Loop: Header=BB122_53 Depth=1
	s_or_b32 exec_lo, exec_lo, s33
	s_and_saveexec_b32 s33, s30
	s_cbranch_execnz .LBB122_116
.LBB122_84:                             ;   in Loop: Header=BB122_53 Depth=1
	s_or_b32 exec_lo, exec_lo, s33
	v_ashrrev_i32_e32 v11, 31, v10
	s_and_saveexec_b32 s33, s31
	s_cbranch_execnz .LBB122_117
.LBB122_85:                             ;   in Loop: Header=BB122_53 Depth=1
	s_or_b32 exec_lo, exec_lo, s33
	s_and_saveexec_b32 s31, vcc_lo
	s_cbranch_execz .LBB122_52
	s_branch .LBB122_118
.LBB122_86:                             ;   in Loop: Header=BB122_53 Depth=1
	v_mov_b32_e32 v8, s37
	ds_load_b32 v8, v8
	s_waitcnt lgkmcnt(0)
	v_add_nc_u32_e32 v10, v8, v10
	s_or_b32 exec_lo, exec_lo, s33
	s_and_saveexec_b32 s33, s1
	s_cbranch_execz .LBB122_55
.LBB122_87:                             ;   in Loop: Header=BB122_53 Depth=1
	v_mov_b32_e32 v8, s38
	ds_load_b32 v8, v8
	s_waitcnt lgkmcnt(0)
	v_add_nc_u32_e32 v10, v10, v8
	s_or_b32 exec_lo, exec_lo, s33
	s_and_saveexec_b32 s33, s2
	s_cbranch_execz .LBB122_56
.LBB122_88:                             ;   in Loop: Header=BB122_53 Depth=1
	v_mov_b32_e32 v8, s39
	ds_load_b32 v8, v8
	s_waitcnt lgkmcnt(0)
	v_add_nc_u32_e32 v10, v10, v8
	s_or_b32 exec_lo, exec_lo, s33
	s_and_saveexec_b32 s33, s3
	s_cbranch_execz .LBB122_57
.LBB122_89:                             ;   in Loop: Header=BB122_53 Depth=1
	v_mov_b32_e32 v8, s40
	ds_load_b32 v8, v8
	s_waitcnt lgkmcnt(0)
	v_add_nc_u32_e32 v10, v10, v8
	s_or_b32 exec_lo, exec_lo, s33
	s_and_saveexec_b32 s33, s4
	s_cbranch_execz .LBB122_58
.LBB122_90:                             ;   in Loop: Header=BB122_53 Depth=1
	v_mov_b32_e32 v8, s41
	ds_load_b32 v8, v8
	s_waitcnt lgkmcnt(0)
	v_add_nc_u32_e32 v10, v10, v8
	s_or_b32 exec_lo, exec_lo, s33
	s_and_saveexec_b32 s33, s5
	s_cbranch_execz .LBB122_59
.LBB122_91:                             ;   in Loop: Header=BB122_53 Depth=1
	v_mov_b32_e32 v8, s44
	ds_load_b32 v8, v8
	s_waitcnt lgkmcnt(0)
	v_add_nc_u32_e32 v10, v10, v8
	s_or_b32 exec_lo, exec_lo, s33
	s_and_saveexec_b32 s33, s6
	s_cbranch_execz .LBB122_60
.LBB122_92:                             ;   in Loop: Header=BB122_53 Depth=1
	v_mov_b32_e32 v8, s45
	ds_load_b32 v8, v8
	s_waitcnt lgkmcnt(0)
	v_add_nc_u32_e32 v10, v10, v8
	s_or_b32 exec_lo, exec_lo, s33
	s_and_saveexec_b32 s33, s7
	s_cbranch_execz .LBB122_61
.LBB122_93:                             ;   in Loop: Header=BB122_53 Depth=1
	v_mov_b32_e32 v8, s47
	ds_load_b32 v8, v8
	s_waitcnt lgkmcnt(0)
	v_add_nc_u32_e32 v10, v10, v8
	s_or_b32 exec_lo, exec_lo, s33
	s_and_saveexec_b32 s33, s8
	s_cbranch_execz .LBB122_62
.LBB122_94:                             ;   in Loop: Header=BB122_53 Depth=1
	v_mov_b32_e32 v8, s54
	ds_load_b32 v8, v8
	s_waitcnt lgkmcnt(0)
	v_add_nc_u32_e32 v10, v10, v8
	s_or_b32 exec_lo, exec_lo, s33
	s_and_saveexec_b32 s33, s9
	s_cbranch_execz .LBB122_63
.LBB122_95:                             ;   in Loop: Header=BB122_53 Depth=1
	v_mov_b32_e32 v8, s55
	ds_load_b32 v8, v8
	s_waitcnt lgkmcnt(0)
	v_add_nc_u32_e32 v10, v10, v8
	s_or_b32 exec_lo, exec_lo, s33
	s_and_saveexec_b32 s33, s10
	s_cbranch_execz .LBB122_64
.LBB122_96:                             ;   in Loop: Header=BB122_53 Depth=1
	v_mov_b32_e32 v8, s56
	ds_load_b32 v8, v8
	s_waitcnt lgkmcnt(0)
	v_add_nc_u32_e32 v10, v10, v8
	s_or_b32 exec_lo, exec_lo, s33
	s_and_saveexec_b32 s33, s11
	s_cbranch_execz .LBB122_65
.LBB122_97:                             ;   in Loop: Header=BB122_53 Depth=1
	v_mov_b32_e32 v8, s57
	ds_load_b32 v8, v8
	s_waitcnt lgkmcnt(0)
	v_add_nc_u32_e32 v10, v10, v8
	s_or_b32 exec_lo, exec_lo, s33
	s_and_saveexec_b32 s33, s12
	s_cbranch_execz .LBB122_66
.LBB122_98:                             ;   in Loop: Header=BB122_53 Depth=1
	v_mov_b32_e32 v8, s58
	ds_load_b32 v8, v8
	s_waitcnt lgkmcnt(0)
	v_add_nc_u32_e32 v10, v10, v8
	s_or_b32 exec_lo, exec_lo, s33
	s_and_saveexec_b32 s33, s13
	s_cbranch_execz .LBB122_67
.LBB122_99:                             ;   in Loop: Header=BB122_53 Depth=1
	v_mov_b32_e32 v8, s59
	ds_load_b32 v8, v8
	s_waitcnt lgkmcnt(0)
	v_add_nc_u32_e32 v10, v10, v8
	s_or_b32 exec_lo, exec_lo, s33
	s_and_saveexec_b32 s33, s14
	s_cbranch_execz .LBB122_68
.LBB122_100:                            ;   in Loop: Header=BB122_53 Depth=1
	v_mov_b32_e32 v8, s60
	ds_load_b32 v8, v8
	s_waitcnt lgkmcnt(0)
	v_add_nc_u32_e32 v10, v10, v8
	s_or_b32 exec_lo, exec_lo, s33
	s_and_saveexec_b32 s33, s15
	s_cbranch_execz .LBB122_69
.LBB122_101:                            ;   in Loop: Header=BB122_53 Depth=1
	v_mov_b32_e32 v8, s61
	ds_load_b32 v8, v8
	s_waitcnt lgkmcnt(0)
	v_add_nc_u32_e32 v10, v10, v8
	s_or_b32 exec_lo, exec_lo, s33
	s_and_saveexec_b32 s33, s16
	s_cbranch_execz .LBB122_70
.LBB122_102:                            ;   in Loop: Header=BB122_53 Depth=1
	v_mov_b32_e32 v8, s62
	ds_load_b32 v8, v8
	s_waitcnt lgkmcnt(0)
	v_add_nc_u32_e32 v10, v10, v8
	s_or_b32 exec_lo, exec_lo, s33
	s_and_saveexec_b32 s33, s17
	s_cbranch_execz .LBB122_71
.LBB122_103:                            ;   in Loop: Header=BB122_53 Depth=1
	v_mov_b32_e32 v8, s63
	ds_load_b32 v8, v8
	s_waitcnt lgkmcnt(0)
	v_add_nc_u32_e32 v10, v10, v8
	s_or_b32 exec_lo, exec_lo, s33
	s_and_saveexec_b32 s33, s18
	s_cbranch_execz .LBB122_72
.LBB122_104:                            ;   in Loop: Header=BB122_53 Depth=1
	v_mov_b32_e32 v8, s64
	ds_load_b32 v8, v8
	s_waitcnt lgkmcnt(0)
	v_add_nc_u32_e32 v10, v10, v8
	s_or_b32 exec_lo, exec_lo, s33
	s_and_saveexec_b32 s33, s19
	s_cbranch_execz .LBB122_73
.LBB122_105:                            ;   in Loop: Header=BB122_53 Depth=1
	v_mov_b32_e32 v8, s65
	ds_load_b32 v8, v8
	s_waitcnt lgkmcnt(0)
	v_add_nc_u32_e32 v10, v10, v8
	s_or_b32 exec_lo, exec_lo, s33
	s_and_saveexec_b32 s33, s20
	s_cbranch_execz .LBB122_74
.LBB122_106:                            ;   in Loop: Header=BB122_53 Depth=1
	v_mov_b32_e32 v8, s66
	ds_load_b32 v8, v8
	s_waitcnt lgkmcnt(0)
	v_add_nc_u32_e32 v10, v10, v8
	s_or_b32 exec_lo, exec_lo, s33
	s_and_saveexec_b32 s33, s21
	s_cbranch_execz .LBB122_75
.LBB122_107:                            ;   in Loop: Header=BB122_53 Depth=1
	v_mov_b32_e32 v8, s67
	ds_load_b32 v8, v8
	s_waitcnt lgkmcnt(0)
	v_add_nc_u32_e32 v10, v10, v8
	s_or_b32 exec_lo, exec_lo, s33
	s_and_saveexec_b32 s33, s22
	s_cbranch_execz .LBB122_76
.LBB122_108:                            ;   in Loop: Header=BB122_53 Depth=1
	v_mov_b32_e32 v8, s68
	ds_load_b32 v8, v8
	s_waitcnt lgkmcnt(0)
	v_add_nc_u32_e32 v10, v10, v8
	s_or_b32 exec_lo, exec_lo, s33
	s_and_saveexec_b32 s33, s23
	s_cbranch_execz .LBB122_77
.LBB122_109:                            ;   in Loop: Header=BB122_53 Depth=1
	v_mov_b32_e32 v8, s69
	ds_load_b32 v8, v8
	s_waitcnt lgkmcnt(0)
	v_add_nc_u32_e32 v10, v10, v8
	s_or_b32 exec_lo, exec_lo, s33
	s_and_saveexec_b32 s33, s24
	s_cbranch_execz .LBB122_78
.LBB122_110:                            ;   in Loop: Header=BB122_53 Depth=1
	v_mov_b32_e32 v8, s70
	ds_load_b32 v8, v8
	s_waitcnt lgkmcnt(0)
	v_add_nc_u32_e32 v10, v10, v8
	s_or_b32 exec_lo, exec_lo, s33
	s_and_saveexec_b32 s33, s25
	s_cbranch_execz .LBB122_79
.LBB122_111:                            ;   in Loop: Header=BB122_53 Depth=1
	v_mov_b32_e32 v8, s71
	ds_load_b32 v8, v8
	s_waitcnt lgkmcnt(0)
	v_add_nc_u32_e32 v10, v10, v8
	s_or_b32 exec_lo, exec_lo, s33
	s_and_saveexec_b32 s33, s26
	s_cbranch_execz .LBB122_80
.LBB122_112:                            ;   in Loop: Header=BB122_53 Depth=1
	v_mov_b32_e32 v8, s72
	ds_load_b32 v8, v8
	s_waitcnt lgkmcnt(0)
	v_add_nc_u32_e32 v10, v10, v8
	s_or_b32 exec_lo, exec_lo, s33
	s_and_saveexec_b32 s33, s27
	s_cbranch_execz .LBB122_81
.LBB122_113:                            ;   in Loop: Header=BB122_53 Depth=1
	v_mov_b32_e32 v8, s74
	ds_load_b32 v8, v8
	s_waitcnt lgkmcnt(0)
	v_add_nc_u32_e32 v10, v10, v8
	s_or_b32 exec_lo, exec_lo, s33
	s_and_saveexec_b32 s33, s28
	s_cbranch_execz .LBB122_82
.LBB122_114:                            ;   in Loop: Header=BB122_53 Depth=1
	v_mov_b32_e32 v8, s75
	ds_load_b32 v8, v8
	s_waitcnt lgkmcnt(0)
	v_add_nc_u32_e32 v10, v10, v8
	s_or_b32 exec_lo, exec_lo, s33
	s_and_saveexec_b32 s33, s29
	s_cbranch_execz .LBB122_83
.LBB122_115:                            ;   in Loop: Header=BB122_53 Depth=1
	v_mov_b32_e32 v8, s76
	ds_load_b32 v8, v8
	s_waitcnt lgkmcnt(0)
	v_add_nc_u32_e32 v10, v10, v8
	s_or_b32 exec_lo, exec_lo, s33
	s_and_saveexec_b32 s33, s30
	s_cbranch_execz .LBB122_84
.LBB122_116:                            ;   in Loop: Header=BB122_53 Depth=1
	v_mov_b32_e32 v8, s77
	ds_load_b32 v8, v8
	s_waitcnt lgkmcnt(0)
	v_add_nc_u32_e32 v10, v10, v8
	s_or_b32 exec_lo, exec_lo, s33
	s_delay_alu instid0(VALU_DEP_1)
	v_ashrrev_i32_e32 v11, 31, v10
	s_and_saveexec_b32 s33, s31
	s_cbranch_execz .LBB122_85
.LBB122_117:                            ;   in Loop: Header=BB122_53 Depth=1
	v_add3_u32 v8, v6, -1, v10
	s_delay_alu instid0(VALU_DEP_1)
	v_lshl_add_u32 v8, v8, 3, 0
	ds_store_2addr_stride64_b64 v8, v[1:2], v[3:4] offset1:64
	s_or_b32 exec_lo, exec_lo, s33
	s_and_saveexec_b32 s31, vcc_lo
	s_cbranch_execz .LBB122_52
.LBB122_118:                            ;   in Loop: Header=BB122_53 Depth=1
	v_mov_b32_e32 v1, s73
	ds_store_b64 v1, v[10:11]
	s_branch .LBB122_52
.LBB122_119:
	s_or_b32 exec_lo, exec_lo, s36
	s_lshl_b64 s[0:1], s[52:53], 3
	v_mov_b32_e32 v1, 0
	s_add_u32 s0, s42, s0
	s_addc_u32 s1, s43, s1
	s_mov_b32 s6, exec_lo
	s_load_b128 s[0:3], s[0:1], 0x0
	s_waitcnt lgkmcnt(0)
	s_sub_u32 s4, s2, s0
	s_subb_u32 s5, s3, s1
	s_delay_alu instid0(SALU_CYCLE_1)
	v_cmpx_gt_i64_e64 s[4:5], v[0:1]
	s_cbranch_execz .LBB122_129
; %bb.120:
	s_sub_u32 s8, s0, s46
	s_subb_u32 s9, s1, 0
	s_and_b32 s6, s4, 7
	s_sub_u32 s0, s0, s2
	s_subb_u32 s1, s1, s3
	s_mov_b32 s7, 0
	v_cmp_lt_u64_e64 s12, s[0:1], -7
	s_and_b32 s2, s4, -8
	s_cmp_lg_u64 s[6:7], 0
	s_mov_b32 s3, s5
	s_cselect_b32 s13, -1, 0
	s_mov_b32 s14, s7
	s_branch .LBB122_122
.LBB122_121:                            ;   in Loop: Header=BB122_122 Depth=1
	s_waitcnt lgkmcnt(0)
	v_add_co_u32 v2, vcc_lo, v2, s46
	v_lshlrev_b64 v[6:7], 3, v[6:7]
	v_add_co_ci_u32_e32 v3, vcc_lo, 0, v3, vcc_lo
	v_add_co_u32 v0, vcc_lo, 0x400, v0
	v_add_co_ci_u32_e32 v1, vcc_lo, 0, v1, vcc_lo
	s_delay_alu instid0(VALU_DEP_4) | instskip(SKIP_1) | instid1(VALU_DEP_3)
	v_add_co_u32 v8, vcc_lo, s48, v6
	v_add_co_ci_u32_e32 v9, vcc_lo, s49, v7, vcc_lo
	v_cmp_le_i64_e32 vcc_lo, s[4:5], v[0:1]
	v_add_co_u32 v6, s0, s50, v6
	s_delay_alu instid0(VALU_DEP_1) | instskip(SKIP_3) | instid1(SALU_CYCLE_1)
	v_add_co_ci_u32_e64 v7, s0, s51, v7, s0
	global_store_b64 v[8:9], v[2:3], off
	global_store_b64 v[6:7], v[4:5], off
	s_or_b32 s14, vcc_lo, s14
	s_and_not1_b32 exec_lo, exec_lo, s14
	s_cbranch_execz .LBB122_129
.LBB122_122:                            ; =>This Loop Header: Depth=1
                                        ;     Child Loop BB122_124 Depth 2
                                        ;     Child Loop BB122_128 Depth 2
	v_lshl_add_u32 v2, v0, 3, 0
	v_dual_mov_b32 v6, s8 :: v_dual_mov_b32 v7, s9
	s_and_not1_b32 vcc_lo, exec_lo, s12
	s_mov_b64 s[0:1], 0
	ds_load_2addr_stride64_b64 v[2:5], v2 offset1:64
	s_cbranch_vccnz .LBB122_126
; %bb.123:                              ;   in Loop: Header=BB122_122 Depth=1
	v_dual_mov_b32 v6, s8 :: v_dual_mov_b32 v7, s9
	s_mov_b64 s[10:11], 0
	s_mov_b32 s1, 0
.LBB122_124:                            ;   Parent Loop BB122_122 Depth=1
                                        ; =>  This Inner Loop Header: Depth=2
	s_delay_alu instid0(SALU_CYCLE_1)
	v_mov_b32_e32 v20, s1
	s_add_u32 s10, s10, 8
	s_addc_u32 s11, s11, 0
	s_add_i32 s1, s1, 64
	s_cmp_eq_u64 s[2:3], s[10:11]
	ds_load_2addr_b64 v[8:11], v20 offset1:1
	ds_load_2addr_b64 v[12:15], v20 offset0:2 offset1:3
	ds_load_2addr_b64 v[16:19], v20 offset0:4 offset1:5
	;; [unrolled: 1-line block ×3, first 2 shown]
	s_waitcnt lgkmcnt(3)
	v_cmp_gt_i64_e32 vcc_lo, v[2:3], v[8:9]
	v_cndmask_b32_e64 v8, 0, 1, vcc_lo
	v_cmp_gt_i64_e32 vcc_lo, v[2:3], v[10:11]
	v_cndmask_b32_e64 v9, 0, 1, vcc_lo
	s_waitcnt lgkmcnt(2)
	v_cmp_gt_i64_e32 vcc_lo, v[2:3], v[12:13]
	v_cndmask_b32_e64 v10, 0, 1, vcc_lo
	v_cmp_gt_i64_e32 vcc_lo, v[2:3], v[14:15]
	v_cndmask_b32_e64 v11, 0, 1, vcc_lo
	s_waitcnt lgkmcnt(1)
	v_cmp_gt_i64_e32 vcc_lo, v[2:3], v[16:17]
	v_cndmask_b32_e64 v12, 0, 1, vcc_lo
	v_add_co_u32 v6, vcc_lo, v6, v8
	v_add_co_ci_u32_e32 v7, vcc_lo, 0, v7, vcc_lo
	v_cmp_gt_i64_e32 vcc_lo, v[2:3], v[18:19]
	s_delay_alu instid0(VALU_DEP_3) | instskip(NEXT) | instid1(VALU_DEP_1)
	v_add_co_u32 v6, s0, v6, v9
	v_add_co_ci_u32_e64 v7, s0, 0, v7, s0
	v_cndmask_b32_e64 v8, 0, 1, vcc_lo
	s_delay_alu instid0(VALU_DEP_3) | instskip(NEXT) | instid1(VALU_DEP_3)
	v_add_co_u32 v6, vcc_lo, v6, v10
	v_add_co_ci_u32_e32 v7, vcc_lo, 0, v7, vcc_lo
	s_waitcnt lgkmcnt(0)
	v_cmp_gt_i64_e32 vcc_lo, v[2:3], v[20:21]
	s_delay_alu instid0(VALU_DEP_3) | instskip(NEXT) | instid1(VALU_DEP_1)
	v_add_co_u32 v6, s0, v6, v11
	v_add_co_ci_u32_e64 v7, s0, 0, v7, s0
	v_cndmask_b32_e64 v9, 0, 1, vcc_lo
	s_delay_alu instid0(VALU_DEP_3) | instskip(NEXT) | instid1(VALU_DEP_3)
	v_add_co_u32 v6, vcc_lo, v6, v12
	v_add_co_ci_u32_e32 v7, vcc_lo, 0, v7, vcc_lo
	v_cmp_gt_i64_e32 vcc_lo, v[2:3], v[22:23]
	s_delay_alu instid0(VALU_DEP_3) | instskip(NEXT) | instid1(VALU_DEP_1)
	v_add_co_u32 v6, s0, v6, v8
	v_add_co_ci_u32_e64 v7, s0, 0, v7, s0
	v_cndmask_b32_e64 v8, 0, 1, vcc_lo
	s_delay_alu instid0(VALU_DEP_3) | instskip(NEXT) | instid1(VALU_DEP_3)
	v_add_co_u32 v6, vcc_lo, v6, v9
	v_add_co_ci_u32_e32 v7, vcc_lo, 0, v7, vcc_lo
	s_delay_alu instid0(VALU_DEP_2) | instskip(NEXT) | instid1(VALU_DEP_2)
	v_add_co_u32 v6, vcc_lo, v6, v8
	v_add_co_ci_u32_e32 v7, vcc_lo, 0, v7, vcc_lo
	s_cbranch_scc0 .LBB122_124
; %bb.125:                              ;   in Loop: Header=BB122_122 Depth=1
	s_mov_b64 s[0:1], s[2:3]
.LBB122_126:                            ;   in Loop: Header=BB122_122 Depth=1
	s_and_not1_b32 vcc_lo, exec_lo, s13
	s_cbranch_vccnz .LBB122_121
; %bb.127:                              ;   in Loop: Header=BB122_122 Depth=1
	s_lshl_b32 s0, s0, 3
	s_delay_alu instid0(SALU_CYCLE_1)
	s_add_i32 s10, s0, 0
	s_mov_b64 s[0:1], s[6:7]
.LBB122_128:                            ;   Parent Loop BB122_122 Depth=1
                                        ; =>  This Inner Loop Header: Depth=2
	v_mov_b32_e32 v8, s10
	s_add_i32 s10, s10, 8
	s_add_u32 s0, s0, -1
	s_addc_u32 s1, s1, -1
	s_delay_alu instid0(SALU_CYCLE_1) | instskip(SKIP_4) | instid1(VALU_DEP_1)
	s_cmp_lg_u64 s[0:1], 0
	ds_load_b64 v[8:9], v8
	s_waitcnt lgkmcnt(0)
	v_cmp_gt_i64_e32 vcc_lo, v[2:3], v[8:9]
	v_cndmask_b32_e64 v8, 0, 1, vcc_lo
	v_add_co_u32 v6, vcc_lo, v6, v8
	v_add_co_ci_u32_e32 v7, vcc_lo, 0, v7, vcc_lo
	s_cbranch_scc1 .LBB122_128
	s_branch .LBB122_121
.LBB122_129:
	s_nop 0
	s_sendmsg sendmsg(MSG_DEALLOC_VGPRS)
	s_endpgm
	.section	.rodata,"a",@progbits
	.p2align	6, 0x0
	.amdhsa_kernel _ZN9rocsparseL26csrgemm_fill_block_per_rowILj1024ELj64ELj4096ELj137ELj32ElldEEvT5_PKS1_S3_NS_24const_host_device_scalarIT6_EEPKT4_S3_PKS5_S9_S3_SB_S6_S9_S3_SB_S9_PS1_PS5_21rocsparse_index_base_SE_SE_SE_bbb
		.amdhsa_group_segment_fixed_size 0
		.amdhsa_private_segment_fixed_size 0
		.amdhsa_kernarg_size 156
		.amdhsa_user_sgpr_count 15
		.amdhsa_user_sgpr_dispatch_ptr 0
		.amdhsa_user_sgpr_queue_ptr 0
		.amdhsa_user_sgpr_kernarg_segment_ptr 1
		.amdhsa_user_sgpr_dispatch_id 0
		.amdhsa_user_sgpr_private_segment_size 0
		.amdhsa_wavefront_size32 1
		.amdhsa_uses_dynamic_stack 0
		.amdhsa_enable_private_segment 0
		.amdhsa_system_sgpr_workgroup_id_x 1
		.amdhsa_system_sgpr_workgroup_id_y 0
		.amdhsa_system_sgpr_workgroup_id_z 0
		.amdhsa_system_sgpr_workgroup_info 0
		.amdhsa_system_vgpr_workitem_id 0
		.amdhsa_next_free_vgpr 27
		.amdhsa_next_free_sgpr 78
		.amdhsa_reserve_vcc 1
		.amdhsa_float_round_mode_32 0
		.amdhsa_float_round_mode_16_64 0
		.amdhsa_float_denorm_mode_32 3
		.amdhsa_float_denorm_mode_16_64 3
		.amdhsa_dx10_clamp 1
		.amdhsa_ieee_mode 1
		.amdhsa_fp16_overflow 0
		.amdhsa_workgroup_processor_mode 1
		.amdhsa_memory_ordered 1
		.amdhsa_forward_progress 0
		.amdhsa_shared_vgpr_count 0
		.amdhsa_exception_fp_ieee_invalid_op 0
		.amdhsa_exception_fp_denorm_src 0
		.amdhsa_exception_fp_ieee_div_zero 0
		.amdhsa_exception_fp_ieee_overflow 0
		.amdhsa_exception_fp_ieee_underflow 0
		.amdhsa_exception_fp_ieee_inexact 0
		.amdhsa_exception_int_div_zero 0
	.end_amdhsa_kernel
	.section	.text._ZN9rocsparseL26csrgemm_fill_block_per_rowILj1024ELj64ELj4096ELj137ELj32ElldEEvT5_PKS1_S3_NS_24const_host_device_scalarIT6_EEPKT4_S3_PKS5_S9_S3_SB_S6_S9_S3_SB_S9_PS1_PS5_21rocsparse_index_base_SE_SE_SE_bbb,"axG",@progbits,_ZN9rocsparseL26csrgemm_fill_block_per_rowILj1024ELj64ELj4096ELj137ELj32ElldEEvT5_PKS1_S3_NS_24const_host_device_scalarIT6_EEPKT4_S3_PKS5_S9_S3_SB_S6_S9_S3_SB_S9_PS1_PS5_21rocsparse_index_base_SE_SE_SE_bbb,comdat
.Lfunc_end122:
	.size	_ZN9rocsparseL26csrgemm_fill_block_per_rowILj1024ELj64ELj4096ELj137ELj32ElldEEvT5_PKS1_S3_NS_24const_host_device_scalarIT6_EEPKT4_S3_PKS5_S9_S3_SB_S6_S9_S3_SB_S9_PS1_PS5_21rocsparse_index_base_SE_SE_SE_bbb, .Lfunc_end122-_ZN9rocsparseL26csrgemm_fill_block_per_rowILj1024ELj64ELj4096ELj137ELj32ElldEEvT5_PKS1_S3_NS_24const_host_device_scalarIT6_EEPKT4_S3_PKS5_S9_S3_SB_S6_S9_S3_SB_S9_PS1_PS5_21rocsparse_index_base_SE_SE_SE_bbb
                                        ; -- End function
	.section	.AMDGPU.csdata,"",@progbits
; Kernel info:
; codeLenInByte = 4932
; NumSgprs: 80
; NumVgprs: 27
; ScratchSize: 0
; MemoryBound: 0
; FloatMode: 240
; IeeeMode: 1
; LDSByteSize: 0 bytes/workgroup (compile time only)
; SGPRBlocks: 9
; VGPRBlocks: 3
; NumSGPRsForWavesPerEU: 80
; NumVGPRsForWavesPerEU: 27
; Occupancy: 16
; WaveLimiterHint : 1
; COMPUTE_PGM_RSRC2:SCRATCH_EN: 0
; COMPUTE_PGM_RSRC2:USER_SGPR: 15
; COMPUTE_PGM_RSRC2:TRAP_HANDLER: 0
; COMPUTE_PGM_RSRC2:TGID_X_EN: 1
; COMPUTE_PGM_RSRC2:TGID_Y_EN: 0
; COMPUTE_PGM_RSRC2:TGID_Z_EN: 0
; COMPUTE_PGM_RSRC2:TIDIG_COMP_CNT: 0
	.section	.text._ZN9rocsparseL26csrgemm_fill_block_per_rowILj1024ELj64ELj4096ELj137ELj64ElldEEvT5_PKS1_S3_NS_24const_host_device_scalarIT6_EEPKT4_S3_PKS5_S9_S3_SB_S6_S9_S3_SB_S9_PS1_PS5_21rocsparse_index_base_SE_SE_SE_bbb,"axG",@progbits,_ZN9rocsparseL26csrgemm_fill_block_per_rowILj1024ELj64ELj4096ELj137ELj64ElldEEvT5_PKS1_S3_NS_24const_host_device_scalarIT6_EEPKT4_S3_PKS5_S9_S3_SB_S6_S9_S3_SB_S9_PS1_PS5_21rocsparse_index_base_SE_SE_SE_bbb,comdat
	.globl	_ZN9rocsparseL26csrgemm_fill_block_per_rowILj1024ELj64ELj4096ELj137ELj64ElldEEvT5_PKS1_S3_NS_24const_host_device_scalarIT6_EEPKT4_S3_PKS5_S9_S3_SB_S6_S9_S3_SB_S9_PS1_PS5_21rocsparse_index_base_SE_SE_SE_bbb ; -- Begin function _ZN9rocsparseL26csrgemm_fill_block_per_rowILj1024ELj64ELj4096ELj137ELj64ElldEEvT5_PKS1_S3_NS_24const_host_device_scalarIT6_EEPKT4_S3_PKS5_S9_S3_SB_S6_S9_S3_SB_S9_PS1_PS5_21rocsparse_index_base_SE_SE_SE_bbb
	.p2align	8
	.type	_ZN9rocsparseL26csrgemm_fill_block_per_rowILj1024ELj64ELj4096ELj137ELj64ElldEEvT5_PKS1_S3_NS_24const_host_device_scalarIT6_EEPKT4_S3_PKS5_S9_S3_SB_S6_S9_S3_SB_S9_PS1_PS5_21rocsparse_index_base_SE_SE_SE_bbb,@function
_ZN9rocsparseL26csrgemm_fill_block_per_rowILj1024ELj64ELj4096ELj137ELj64ElldEEvT5_PKS1_S3_NS_24const_host_device_scalarIT6_EEPKT4_S3_PKS5_S9_S3_SB_S6_S9_S3_SB_S9_PS1_PS5_21rocsparse_index_base_SE_SE_SE_bbb: ; @_ZN9rocsparseL26csrgemm_fill_block_per_rowILj1024ELj64ELj4096ELj137ELj64ElldEEvT5_PKS1_S3_NS_24const_host_device_scalarIT6_EEPKT4_S3_PKS5_S9_S3_SB_S6_S9_S3_SB_S9_PS1_PS5_21rocsparse_index_base_SE_SE_SE_bbb
; %bb.0:
	s_clause 0x3
	s_load_b32 s3, s[0:1], 0x98
	s_load_b64 s[4:5], s[0:1], 0x18
	s_load_b128 s[20:23], s[0:1], 0x88
	s_load_b64 s[34:35], s[0:1], 0x50
	s_mov_b32 s2, s15
	s_waitcnt lgkmcnt(0)
	s_and_b32 s6, 1, s3
	s_bitcmp1_b32 s3, 16
	s_cselect_b32 s41, -1, 0
	s_cmp_eq_u32 s6, 1
	s_cselect_b32 s40, -1, 0
	s_delay_alu instid0(SALU_CYCLE_1)
	s_and_b32 s6, s40, exec_lo
	s_cselect_b32 s7, s5, 0
	s_cselect_b32 s6, s4, 0
	s_xor_b32 s8, s40, -1
	v_dual_mov_b32 v3, s6 :: v_dual_mov_b32 v4, s7
	s_or_b32 s8, s8, s41
	s_delay_alu instid0(SALU_CYCLE_1)
	s_and_b32 vcc_lo, exec_lo, s8
	s_cbranch_vccnz .LBB123_2
; %bb.1:
	v_dual_mov_b32 v1, s4 :: v_dual_mov_b32 v2, s5
	flat_load_b64 v[3:4], v[1:2]
.LBB123_2:
	s_clause 0x4
	s_load_b128 s[24:27], s[0:1], 0x78
	s_load_b256 s[12:19], s[0:1], 0x58
	s_load_b128 s[28:31], s[0:1], 0x40
	s_load_b128 s[36:39], s[0:1], 0x8
	s_load_b256 s[4:11], s[0:1], 0x20
	s_bitcmp1_b32 s3, 8
	s_cselect_b32 s33, -1, 0
	s_delay_alu instid0(SALU_CYCLE_1)
	s_and_b32 s3, s33, exec_lo
	s_cselect_b32 s43, s35, 0
	s_cselect_b32 s42, s34, 0
	s_xor_b32 s3, s33, -1
	v_dual_mov_b32 v1, s42 :: v_dual_mov_b32 v2, s43
	s_or_b32 s3, s3, s41
	s_delay_alu instid0(SALU_CYCLE_1)
	s_and_b32 vcc_lo, exec_lo, s3
	s_cbranch_vccnz .LBB123_4
; %bb.3:
	v_dual_mov_b32 v1, s34 :: v_dual_mov_b32 v2, s35
	flat_load_b64 v[1:2], v[1:2]
.LBB123_4:
	s_load_b64 s[34:35], s[0:1], 0x0
	v_mov_b32_e32 v5, 0
	v_lshl_add_u32 v19, v0, 3, 0
	v_or_b32_e32 v20, 0xfffffc00, v0
	s_mov_b32 s0, 0
	s_delay_alu instid0(VALU_DEP_1)
	v_dual_mov_b32 v9, v19 :: v_dual_mov_b32 v10, v20
	s_waitcnt lgkmcnt(0)
	v_dual_mov_b32 v7, s34 :: v_dual_mov_b32 v8, s35
	v_mov_b32_e32 v6, v5
.LBB123_5:                              ; =>This Inner Loop Header: Depth=1
	s_delay_alu instid0(VALU_DEP_3) | instskip(SKIP_4) | instid1(SALU_CYCLE_1)
	v_add_nc_u32_e32 v10, 0x400, v10
	ds_store_2addr_stride64_b64 v9, v[7:8], v[5:6] offset1:64
	v_add_nc_u32_e32 v9, 0x2000, v9
	v_cmp_lt_u32_e32 vcc_lo, 0xbff, v10
	s_or_b32 s0, vcc_lo, s0
	s_and_not1_b32 exec_lo, exec_lo, s0
	s_cbranch_execnz .LBB123_5
; %bb.6:
	s_or_b32 exec_lo, exec_lo, s0
	s_waitcnt vmcnt(0) lgkmcnt(0)
	s_barrier
	buffer_gl0_inv
	s_load_b64 s[0:1], s[36:37], 0x0
	s_mov_b32 s3, 0
	v_lshrrev_b32_e32 v21, 6, v0
	s_waitcnt lgkmcnt(0)
	s_lshl_b64 s[0:1], s[0:1], 3
	s_delay_alu instid0(SALU_CYCLE_1) | instskip(SKIP_2) | instid1(SALU_CYCLE_1)
	s_add_u32 s36, s38, s0
	s_addc_u32 s37, s39, s1
	s_lshl_b64 s[0:1], s[2:3], 3
	s_add_u32 s0, s36, s0
	s_addc_u32 s1, s37, s1
	s_and_b32 vcc_lo, exec_lo, s40
	s_load_b64 s[36:37], s[0:1], 0x0
	s_cbranch_vccz .LBB123_30
; %bb.7:
	s_waitcnt lgkmcnt(0)
	s_lshl_b64 s[0:1], s[36:37], 3
	s_delay_alu instid0(SALU_CYCLE_1)
	s_add_u32 s0, s4, s0
	s_addc_u32 s1, s5, s1
	v_sub_co_u32 v5, s4, v21, s20
	s_load_b128 s[0:3], s[0:1], 0x0
	v_sub_co_ci_u32_e64 v6, null, 0, 0, s4
	s_waitcnt lgkmcnt(0)
	s_delay_alu instid0(VALU_DEP_2) | instskip(NEXT) | instid1(VALU_DEP_2)
	v_add_co_u32 v5, vcc_lo, s0, v5
	v_add_co_ci_u32_e32 v6, vcc_lo, s1, v6, vcc_lo
	s_sub_u32 s0, s2, s20
	s_subb_u32 s1, s3, 0
	s_mov_b32 s2, exec_lo
	s_delay_alu instid0(VALU_DEP_1)
	v_cmpx_gt_i64_e64 s[0:1], v[5:6]
	s_cbranch_execz .LBB123_29
; %bb.8:
	v_and_b32_e32 v7, 63, v0
	s_mov_b32 s4, s21
	s_delay_alu instid0(VALU_DEP_1) | instskip(NEXT) | instid1(VALU_DEP_1)
	v_sub_co_u32 v22, s3, v7, s21
	v_sub_co_ci_u32_e64 v23, null, 0, 0, s3
	s_mov_b32 s3, 0
	s_branch .LBB123_10
.LBB123_9:                              ;   in Loop: Header=BB123_10 Depth=1
	s_or_b32 exec_lo, exec_lo, s5
	v_add_co_u32 v5, vcc_lo, v5, 16
	v_add_co_ci_u32_e32 v6, vcc_lo, 0, v6, vcc_lo
	s_delay_alu instid0(VALU_DEP_1) | instskip(SKIP_1) | instid1(SALU_CYCLE_1)
	v_cmp_le_i64_e32 vcc_lo, s[0:1], v[5:6]
	s_or_b32 s3, vcc_lo, s3
	s_and_not1_b32 exec_lo, exec_lo, s3
	s_cbranch_execz .LBB123_29
.LBB123_10:                             ; =>This Loop Header: Depth=1
                                        ;     Child Loop BB123_13 Depth 2
                                        ;       Child Loop BB123_15 Depth 3
                                        ;         Child Loop BB123_21 Depth 4
                                        ;         Child Loop BB123_27 Depth 4
	v_lshlrev_b64 v[11:12], 3, v[5:6]
	s_mov_b32 s5, exec_lo
	s_delay_alu instid0(VALU_DEP_1) | instskip(NEXT) | instid1(VALU_DEP_2)
	v_add_co_u32 v7, vcc_lo, s6, v11
	v_add_co_ci_u32_e32 v8, vcc_lo, s7, v12, vcc_lo
	global_load_b64 v[7:8], v[7:8], off
	s_waitcnt vmcnt(0)
	v_sub_co_u32 v7, vcc_lo, v7, s20
	v_subrev_co_ci_u32_e32 v8, vcc_lo, 0, v8, vcc_lo
	s_delay_alu instid0(VALU_DEP_1) | instskip(NEXT) | instid1(VALU_DEP_1)
	v_lshlrev_b64 v[7:8], 3, v[7:8]
	v_add_co_u32 v7, vcc_lo, s10, v7
	s_delay_alu instid0(VALU_DEP_2)
	v_add_co_ci_u32_e32 v8, vcc_lo, s11, v8, vcc_lo
	global_load_b128 v[13:16], v[7:8], off
	s_waitcnt vmcnt(0)
	v_sub_co_u32 v7, vcc_lo, v15, s4
	v_subrev_co_ci_u32_e32 v8, vcc_lo, 0, v16, vcc_lo
	v_add_co_u32 v9, vcc_lo, v13, v22
	v_add_co_ci_u32_e32 v10, vcc_lo, v14, v23, vcc_lo
	s_delay_alu instid0(VALU_DEP_1)
	v_cmpx_lt_i64_e64 v[9:10], v[7:8]
	s_cbranch_execz .LBB123_9
; %bb.11:                               ;   in Loop: Header=BB123_10 Depth=1
	v_add_co_u32 v11, vcc_lo, s8, v11
	v_add_co_ci_u32_e32 v12, vcc_lo, s9, v12, vcc_lo
	s_mov_b32 s21, 0
	global_load_b64 v[11:12], v[11:12], off
	s_waitcnt vmcnt(0)
	v_mul_f64 v[11:12], v[3:4], v[11:12]
	s_branch .LBB123_13
.LBB123_12:                             ;   in Loop: Header=BB123_13 Depth=2
	s_or_b32 exec_lo, exec_lo, s38
	v_add_co_u32 v9, vcc_lo, v9, 64
	v_add_co_ci_u32_e32 v10, vcc_lo, 0, v10, vcc_lo
	s_delay_alu instid0(VALU_DEP_1) | instskip(SKIP_1) | instid1(SALU_CYCLE_1)
	v_cmp_ge_i64_e32 vcc_lo, v[9:10], v[7:8]
	s_or_b32 s21, vcc_lo, s21
	s_and_not1_b32 exec_lo, exec_lo, s21
	s_cbranch_execz .LBB123_9
.LBB123_13:                             ;   Parent Loop BB123_10 Depth=1
                                        ; =>  This Loop Header: Depth=2
                                        ;       Child Loop BB123_15 Depth 3
                                        ;         Child Loop BB123_21 Depth 4
                                        ;         Child Loop BB123_27 Depth 4
	v_lshlrev_b64 v[13:14], 3, v[9:10]
	s_mov_b32 s38, 0
	s_delay_alu instid0(VALU_DEP_1) | instskip(NEXT) | instid1(VALU_DEP_2)
	v_add_co_u32 v15, vcc_lo, s30, v13
	v_add_co_ci_u32_e32 v16, vcc_lo, s31, v14, vcc_lo
	v_add_co_u32 v13, vcc_lo, s28, v13
	v_add_co_ci_u32_e32 v14, vcc_lo, s29, v14, vcc_lo
	global_load_b64 v[15:16], v[15:16], off
	global_load_b64 v[17:18], v[13:14], off
	s_waitcnt vmcnt(1)
	v_mul_f64 v[13:14], v[11:12], v[15:16]
	s_waitcnt vmcnt(0)
	v_sub_co_u32 v15, vcc_lo, v17, s4
	v_subrev_co_ci_u32_e32 v16, vcc_lo, 0, v18, vcc_lo
	s_delay_alu instid0(VALU_DEP_2) | instskip(NEXT) | instid1(VALU_DEP_1)
	v_mul_lo_u32 v17, 0x89, v15
	v_and_b32_e32 v24, 0xfff, v17
	s_branch .LBB123_15
.LBB123_14:                             ;   in Loop: Header=BB123_15 Depth=3
	s_or_b32 exec_lo, exec_lo, s39
	s_xor_b32 s39, s40, -1
	s_delay_alu instid0(SALU_CYCLE_1) | instskip(NEXT) | instid1(SALU_CYCLE_1)
	s_and_b32 s39, exec_lo, s39
	s_or_b32 s38, s39, s38
	s_delay_alu instid0(SALU_CYCLE_1)
	s_and_not1_b32 exec_lo, exec_lo, s38
	s_cbranch_execz .LBB123_12
.LBB123_15:                             ;   Parent Loop BB123_10 Depth=1
                                        ;     Parent Loop BB123_13 Depth=2
                                        ; =>    This Loop Header: Depth=3
                                        ;         Child Loop BB123_21 Depth 4
                                        ;         Child Loop BB123_27 Depth 4
	s_delay_alu instid0(VALU_DEP_1)
	v_lshl_add_u32 v25, v24, 3, 0
	s_mov_b32 s39, exec_lo
                                        ; implicit-def: $sgpr40
	ds_load_b64 v[17:18], v25
	s_waitcnt lgkmcnt(0)
	v_cmpx_ne_u64_e64 v[17:18], v[15:16]
	s_xor_b32 s39, exec_lo, s39
	s_cbranch_execz .LBB123_25
; %bb.16:                               ;   in Loop: Header=BB123_15 Depth=3
	s_mov_b32 s41, exec_lo
                                        ; implicit-def: $sgpr40
	v_cmpx_ne_u64_e64 s[34:35], v[17:18]
	s_xor_b32 s41, exec_lo, s41
; %bb.17:                               ;   in Loop: Header=BB123_15 Depth=3
	v_add_nc_u32_e32 v17, 1, v24
	s_mov_b32 s40, -1
                                        ; implicit-def: $vgpr25
	s_delay_alu instid0(VALU_DEP_1)
	v_and_b32_e32 v24, 0xfff, v17
; %bb.18:                               ;   in Loop: Header=BB123_15 Depth=3
	s_and_not1_saveexec_b32 s41, s41
	s_cbranch_execz .LBB123_24
; %bb.19:                               ;   in Loop: Header=BB123_15 Depth=3
	v_dual_mov_b32 v17, s34 :: v_dual_mov_b32 v18, s35
	s_mov_b32 s43, -1
	s_mov_b32 s42, exec_lo
	ds_cmpstore_rtn_b64 v[17:18], v25, v[15:16], v[17:18]
	s_waitcnt lgkmcnt(0)
	v_cmpx_eq_u64_e64 s[34:35], v[17:18]
	s_cbranch_execz .LBB123_23
; %bb.20:                               ;   in Loop: Header=BB123_15 Depth=3
	ds_load_b64 v[17:18], v25 offset:32768
	s_mov_b32 s43, 0
.LBB123_21:                             ;   Parent Loop BB123_10 Depth=1
                                        ;     Parent Loop BB123_13 Depth=2
                                        ;       Parent Loop BB123_15 Depth=3
                                        ; =>      This Inner Loop Header: Depth=4
	s_waitcnt lgkmcnt(0)
	v_add_f64 v[26:27], v[17:18], v[13:14]
	ds_cmpstore_rtn_b64 v[26:27], v25, v[26:27], v[17:18] offset:32768
	s_waitcnt lgkmcnt(0)
	v_cmp_eq_u64_e32 vcc_lo, v[26:27], v[17:18]
	v_dual_mov_b32 v17, v26 :: v_dual_mov_b32 v18, v27
	s_or_b32 s43, vcc_lo, s43
	s_delay_alu instid0(SALU_CYCLE_1)
	s_and_not1_b32 exec_lo, exec_lo, s43
	s_cbranch_execnz .LBB123_21
; %bb.22:                               ;   in Loop: Header=BB123_15 Depth=3
	s_or_b32 exec_lo, exec_lo, s43
	s_delay_alu instid0(SALU_CYCLE_1)
	s_xor_b32 s43, exec_lo, -1
.LBB123_23:                             ;   in Loop: Header=BB123_15 Depth=3
	s_or_b32 exec_lo, exec_lo, s42
	s_delay_alu instid0(SALU_CYCLE_1) | instskip(SKIP_1) | instid1(SALU_CYCLE_1)
	s_and_not1_b32 s40, s40, exec_lo
	s_and_b32 s42, s43, exec_lo
	s_or_b32 s40, s40, s42
.LBB123_24:                             ;   in Loop: Header=BB123_15 Depth=3
	s_or_b32 exec_lo, exec_lo, s41
	s_delay_alu instid0(SALU_CYCLE_1)
	s_and_b32 s40, s40, exec_lo
                                        ; implicit-def: $vgpr25
.LBB123_25:                             ;   in Loop: Header=BB123_15 Depth=3
	s_and_not1_saveexec_b32 s39, s39
	s_cbranch_execz .LBB123_14
; %bb.26:                               ;   in Loop: Header=BB123_15 Depth=3
	ds_load_b64 v[17:18], v25 offset:32768
	s_mov_b32 s41, 0
.LBB123_27:                             ;   Parent Loop BB123_10 Depth=1
                                        ;     Parent Loop BB123_13 Depth=2
                                        ;       Parent Loop BB123_15 Depth=3
                                        ; =>      This Inner Loop Header: Depth=4
	s_waitcnt lgkmcnt(0)
	v_add_f64 v[26:27], v[17:18], v[13:14]
	ds_cmpstore_rtn_b64 v[26:27], v25, v[26:27], v[17:18] offset:32768
	s_waitcnt lgkmcnt(0)
	v_cmp_eq_u64_e32 vcc_lo, v[26:27], v[17:18]
	v_dual_mov_b32 v17, v26 :: v_dual_mov_b32 v18, v27
	s_or_b32 s41, vcc_lo, s41
	s_delay_alu instid0(SALU_CYCLE_1)
	s_and_not1_b32 exec_lo, exec_lo, s41
	s_cbranch_execnz .LBB123_27
; %bb.28:                               ;   in Loop: Header=BB123_15 Depth=3
	s_or_b32 exec_lo, exec_lo, s41
	s_delay_alu instid0(SALU_CYCLE_1)
	s_and_not1_b32 s40, s40, exec_lo
	s_branch .LBB123_14
.LBB123_29:
	s_or_b32 exec_lo, exec_lo, s2
.LBB123_30:
	s_delay_alu instid0(SALU_CYCLE_1)
	s_and_not1_b32 vcc_lo, exec_lo, s33
	s_cbranch_vccnz .LBB123_51
; %bb.31:
	s_waitcnt lgkmcnt(0)
	s_lshl_b64 s[0:1], s[36:37], 3
	v_sub_co_u32 v3, s4, v0, s23
	s_add_u32 s0, s12, s0
	s_addc_u32 s1, s13, s1
	v_sub_co_ci_u32_e64 v4, null, 0, 0, s4
	s_load_b128 s[0:3], s[0:1], 0x0
	s_waitcnt lgkmcnt(0)
	v_add_co_u32 v3, vcc_lo, s0, v3
	s_delay_alu instid0(VALU_DEP_2)
	v_add_co_ci_u32_e32 v4, vcc_lo, s1, v4, vcc_lo
	s_sub_u32 s0, s2, s23
	s_subb_u32 s1, s3, 0
	s_mov_b32 s2, 0
	s_mov_b32 s3, exec_lo
	v_cmpx_gt_i64_e64 s[0:1], v[3:4]
	s_cbranch_execz .LBB123_50
; %bb.32:
	s_mov_b32 s4, s23
	s_branch .LBB123_34
.LBB123_33:                             ;   in Loop: Header=BB123_34 Depth=1
	s_or_b32 exec_lo, exec_lo, s5
	v_add_co_u32 v3, vcc_lo, 0x400, v3
	v_add_co_ci_u32_e32 v4, vcc_lo, 0, v4, vcc_lo
	s_delay_alu instid0(VALU_DEP_1) | instskip(SKIP_1) | instid1(SALU_CYCLE_1)
	v_cmp_le_i64_e32 vcc_lo, s[0:1], v[3:4]
	s_or_b32 s2, vcc_lo, s2
	s_and_not1_b32 exec_lo, exec_lo, s2
	s_cbranch_execz .LBB123_50
.LBB123_34:                             ; =>This Loop Header: Depth=1
                                        ;     Child Loop BB123_36 Depth 2
                                        ;       Child Loop BB123_42 Depth 3
                                        ;       Child Loop BB123_48 Depth 3
	v_lshlrev_b64 v[5:6], 3, v[3:4]
	s_mov_b32 s5, 0
	s_delay_alu instid0(VALU_DEP_1) | instskip(NEXT) | instid1(VALU_DEP_2)
	v_add_co_u32 v7, vcc_lo, s16, v5
	v_add_co_ci_u32_e32 v8, vcc_lo, s17, v6, vcc_lo
	v_add_co_u32 v5, vcc_lo, s14, v5
	v_add_co_ci_u32_e32 v6, vcc_lo, s15, v6, vcc_lo
	global_load_b64 v[7:8], v[7:8], off
	global_load_b64 v[9:10], v[5:6], off
	s_waitcnt vmcnt(1)
	v_mul_f64 v[5:6], v[1:2], v[7:8]
	s_waitcnt vmcnt(0)
	v_sub_co_u32 v7, vcc_lo, v9, s4
	v_subrev_co_ci_u32_e32 v8, vcc_lo, 0, v10, vcc_lo
	s_delay_alu instid0(VALU_DEP_2) | instskip(NEXT) | instid1(VALU_DEP_1)
	v_mul_lo_u32 v9, 0x89, v7
	v_and_b32_e32 v11, 0xfff, v9
	s_branch .LBB123_36
.LBB123_35:                             ;   in Loop: Header=BB123_36 Depth=2
	s_or_b32 exec_lo, exec_lo, s6
	s_xor_b32 s6, s7, -1
	s_delay_alu instid0(SALU_CYCLE_1) | instskip(NEXT) | instid1(SALU_CYCLE_1)
	s_and_b32 s6, exec_lo, s6
	s_or_b32 s5, s6, s5
	s_delay_alu instid0(SALU_CYCLE_1)
	s_and_not1_b32 exec_lo, exec_lo, s5
	s_cbranch_execz .LBB123_33
.LBB123_36:                             ;   Parent Loop BB123_34 Depth=1
                                        ; =>  This Loop Header: Depth=2
                                        ;       Child Loop BB123_42 Depth 3
                                        ;       Child Loop BB123_48 Depth 3
	s_delay_alu instid0(VALU_DEP_1)
	v_lshl_add_u32 v12, v11, 3, 0
	s_mov_b32 s6, exec_lo
                                        ; implicit-def: $sgpr7
	ds_load_b64 v[9:10], v12
	s_waitcnt lgkmcnt(0)
	v_cmpx_ne_u64_e64 v[9:10], v[7:8]
	s_xor_b32 s6, exec_lo, s6
	s_cbranch_execz .LBB123_46
; %bb.37:                               ;   in Loop: Header=BB123_36 Depth=2
	s_mov_b32 s8, exec_lo
                                        ; implicit-def: $sgpr7
	v_cmpx_ne_u64_e64 s[34:35], v[9:10]
	s_xor_b32 s8, exec_lo, s8
; %bb.38:                               ;   in Loop: Header=BB123_36 Depth=2
	v_add_nc_u32_e32 v9, 1, v11
	s_mov_b32 s7, -1
                                        ; implicit-def: $vgpr12
	s_delay_alu instid0(VALU_DEP_1)
	v_and_b32_e32 v11, 0xfff, v9
; %bb.39:                               ;   in Loop: Header=BB123_36 Depth=2
	s_and_not1_saveexec_b32 s8, s8
	s_cbranch_execz .LBB123_45
; %bb.40:                               ;   in Loop: Header=BB123_36 Depth=2
	v_dual_mov_b32 v9, s34 :: v_dual_mov_b32 v10, s35
	s_mov_b32 s10, -1
	s_mov_b32 s9, exec_lo
	ds_cmpstore_rtn_b64 v[9:10], v12, v[7:8], v[9:10]
	s_waitcnt lgkmcnt(0)
	v_cmpx_eq_u64_e64 s[34:35], v[9:10]
	s_cbranch_execz .LBB123_44
; %bb.41:                               ;   in Loop: Header=BB123_36 Depth=2
	ds_load_b64 v[9:10], v12 offset:32768
	s_mov_b32 s10, 0
.LBB123_42:                             ;   Parent Loop BB123_34 Depth=1
                                        ;     Parent Loop BB123_36 Depth=2
                                        ; =>    This Inner Loop Header: Depth=3
	s_waitcnt lgkmcnt(0)
	v_add_f64 v[13:14], v[9:10], v[5:6]
	ds_cmpstore_rtn_b64 v[13:14], v12, v[13:14], v[9:10] offset:32768
	s_waitcnt lgkmcnt(0)
	v_cmp_eq_u64_e32 vcc_lo, v[13:14], v[9:10]
	v_dual_mov_b32 v9, v13 :: v_dual_mov_b32 v10, v14
	s_or_b32 s10, vcc_lo, s10
	s_delay_alu instid0(SALU_CYCLE_1)
	s_and_not1_b32 exec_lo, exec_lo, s10
	s_cbranch_execnz .LBB123_42
; %bb.43:                               ;   in Loop: Header=BB123_36 Depth=2
	s_or_b32 exec_lo, exec_lo, s10
	s_delay_alu instid0(SALU_CYCLE_1)
	s_xor_b32 s10, exec_lo, -1
.LBB123_44:                             ;   in Loop: Header=BB123_36 Depth=2
	s_or_b32 exec_lo, exec_lo, s9
	s_delay_alu instid0(SALU_CYCLE_1) | instskip(SKIP_1) | instid1(SALU_CYCLE_1)
	s_and_not1_b32 s7, s7, exec_lo
	s_and_b32 s9, s10, exec_lo
	s_or_b32 s7, s7, s9
.LBB123_45:                             ;   in Loop: Header=BB123_36 Depth=2
	s_or_b32 exec_lo, exec_lo, s8
	s_delay_alu instid0(SALU_CYCLE_1)
	s_and_b32 s7, s7, exec_lo
                                        ; implicit-def: $vgpr12
.LBB123_46:                             ;   in Loop: Header=BB123_36 Depth=2
	s_and_not1_saveexec_b32 s6, s6
	s_cbranch_execz .LBB123_35
; %bb.47:                               ;   in Loop: Header=BB123_36 Depth=2
	ds_load_b64 v[9:10], v12 offset:32768
	s_mov_b32 s8, 0
.LBB123_48:                             ;   Parent Loop BB123_34 Depth=1
                                        ;     Parent Loop BB123_36 Depth=2
                                        ; =>    This Inner Loop Header: Depth=3
	s_waitcnt lgkmcnt(0)
	v_add_f64 v[13:14], v[9:10], v[5:6]
	ds_cmpstore_rtn_b64 v[13:14], v12, v[13:14], v[9:10] offset:32768
	s_waitcnt lgkmcnt(0)
	v_cmp_eq_u64_e32 vcc_lo, v[13:14], v[9:10]
	v_dual_mov_b32 v9, v13 :: v_dual_mov_b32 v10, v14
	s_or_b32 s8, vcc_lo, s8
	s_delay_alu instid0(SALU_CYCLE_1)
	s_and_not1_b32 exec_lo, exec_lo, s8
	s_cbranch_execnz .LBB123_48
; %bb.49:                               ;   in Loop: Header=BB123_36 Depth=2
	s_or_b32 exec_lo, exec_lo, s8
	s_delay_alu instid0(SALU_CYCLE_1)
	s_and_not1_b32 s7, s7, exec_lo
	s_branch .LBB123_35
.LBB123_50:
	s_or_b32 exec_lo, exec_lo, s3
.LBB123_51:
	v_mbcnt_lo_u32_b32 v1, -1, 0
	v_lshlrev_b32_e32 v2, 3, v21
	s_add_i32 s41, 0, 0x10078
	v_cmp_eq_u32_e32 vcc_lo, 0x3ff, v0
	v_cmp_lt_u32_e64 s0, 63, v0
	v_xor_b32_e32 v1, 63, v1
	v_cmp_lt_u32_e64 s1, 0x7f, v0
	v_cmp_lt_u32_e64 s2, 0xbf, v0
	v_cmp_lt_u32_e64 s3, 0xff, v0
	v_cmp_lt_u32_e64 s4, 0x13f, v0
	v_lshrrev_b64 v[5:6], v1, -1
	v_dual_mov_b32 v6, 0 :: v_dual_mov_b32 v9, 0
	v_cmp_lt_u32_e64 s5, 0x17f, v0
	v_cmp_lt_u32_e64 s6, 0x1bf, v0
	;; [unrolled: 1-line block ×10, first 2 shown]
	v_mov_b32_e32 v7, 0
	v_add3_u32 v12, 0, 0x10000, v2
	v_mov_b32_e32 v13, s41
	s_mov_b32 s17, 0
	s_add_i32 s20, 0, 0x10000
	s_add_i32 s21, 0, 0x10008
	;; [unrolled: 1-line block ×15, first 2 shown]
	s_waitcnt lgkmcnt(0)
	s_barrier
	buffer_gl0_inv
	s_branch .LBB123_53
.LBB123_52:                             ;   in Loop: Header=BB123_53 Depth=1
	s_or_b32 exec_lo, exec_lo, s15
	s_waitcnt lgkmcnt(0)
	s_barrier
	buffer_gl0_inv
	ds_load_b64 v[1:2], v13
	v_add_nc_u32_e32 v20, 0x400, v20
	v_add_nc_u32_e32 v19, 0x2000, v19
	s_delay_alu instid0(VALU_DEP_2) | instskip(NEXT) | instid1(VALU_DEP_1)
	v_cmp_lt_u32_e64 s15, 0xbff, v20
	s_or_b32 s17, s15, s17
	s_waitcnt lgkmcnt(0)
	v_add_co_u32 v6, s16, v1, v6
	s_delay_alu instid0(VALU_DEP_1)
	v_add_co_ci_u32_e64 v7, s16, v2, v7, s16
	s_and_not1_b32 exec_lo, exec_lo, s17
	s_cbranch_execz .LBB123_87
.LBB123_53:                             ; =>This Inner Loop Header: Depth=1
	ds_load_2addr_stride64_b64 v[1:4], v19 offset1:64
	s_waitcnt lgkmcnt(0)
	s_barrier
	buffer_gl0_inv
	v_cmp_gt_i64_e64 s15, s[34:35], v[1:2]
	s_delay_alu instid0(VALU_DEP_1) | instskip(SKIP_1) | instid1(SALU_CYCLE_1)
	v_and_b32_e32 v10, s15, v5
	s_bcnt1_i32_b32 s16, s15
	v_mov_b32_e32 v8, s16
	s_delay_alu instid0(VALU_DEP_2)
	v_bcnt_u32_b32 v10, v10, 0
	ds_store_b64 v12, v[8:9]
	s_waitcnt lgkmcnt(0)
	s_barrier
	buffer_gl0_inv
	s_and_saveexec_b32 s16, s0
	s_cbranch_execnz .LBB123_70
; %bb.54:                               ;   in Loop: Header=BB123_53 Depth=1
	s_or_b32 exec_lo, exec_lo, s16
	s_and_saveexec_b32 s16, s1
	s_cbranch_execnz .LBB123_71
.LBB123_55:                             ;   in Loop: Header=BB123_53 Depth=1
	s_or_b32 exec_lo, exec_lo, s16
	s_and_saveexec_b32 s16, s2
	s_cbranch_execnz .LBB123_72
.LBB123_56:                             ;   in Loop: Header=BB123_53 Depth=1
	s_or_b32 exec_lo, exec_lo, s16
	s_and_saveexec_b32 s16, s3
	s_cbranch_execnz .LBB123_73
.LBB123_57:                             ;   in Loop: Header=BB123_53 Depth=1
	s_or_b32 exec_lo, exec_lo, s16
	s_and_saveexec_b32 s16, s4
	s_cbranch_execnz .LBB123_74
.LBB123_58:                             ;   in Loop: Header=BB123_53 Depth=1
	s_or_b32 exec_lo, exec_lo, s16
	s_and_saveexec_b32 s16, s5
	s_cbranch_execnz .LBB123_75
.LBB123_59:                             ;   in Loop: Header=BB123_53 Depth=1
	s_or_b32 exec_lo, exec_lo, s16
	s_and_saveexec_b32 s16, s6
	s_cbranch_execnz .LBB123_76
.LBB123_60:                             ;   in Loop: Header=BB123_53 Depth=1
	s_or_b32 exec_lo, exec_lo, s16
	s_and_saveexec_b32 s16, s7
	s_cbranch_execnz .LBB123_77
.LBB123_61:                             ;   in Loop: Header=BB123_53 Depth=1
	s_or_b32 exec_lo, exec_lo, s16
	s_and_saveexec_b32 s16, s8
	s_cbranch_execnz .LBB123_78
.LBB123_62:                             ;   in Loop: Header=BB123_53 Depth=1
	s_or_b32 exec_lo, exec_lo, s16
	s_and_saveexec_b32 s16, s9
	s_cbranch_execnz .LBB123_79
.LBB123_63:                             ;   in Loop: Header=BB123_53 Depth=1
	s_or_b32 exec_lo, exec_lo, s16
	s_and_saveexec_b32 s16, s10
	s_cbranch_execnz .LBB123_80
.LBB123_64:                             ;   in Loop: Header=BB123_53 Depth=1
	s_or_b32 exec_lo, exec_lo, s16
	s_and_saveexec_b32 s16, s11
	s_cbranch_execnz .LBB123_81
.LBB123_65:                             ;   in Loop: Header=BB123_53 Depth=1
	s_or_b32 exec_lo, exec_lo, s16
	s_and_saveexec_b32 s16, s12
	s_cbranch_execnz .LBB123_82
.LBB123_66:                             ;   in Loop: Header=BB123_53 Depth=1
	s_or_b32 exec_lo, exec_lo, s16
	s_and_saveexec_b32 s16, s13
	s_cbranch_execnz .LBB123_83
.LBB123_67:                             ;   in Loop: Header=BB123_53 Depth=1
	s_or_b32 exec_lo, exec_lo, s16
	s_and_saveexec_b32 s16, s14
	s_cbranch_execnz .LBB123_84
.LBB123_68:                             ;   in Loop: Header=BB123_53 Depth=1
	s_or_b32 exec_lo, exec_lo, s16
	v_ashrrev_i32_e32 v11, 31, v10
	s_and_saveexec_b32 s16, s15
	s_cbranch_execnz .LBB123_85
.LBB123_69:                             ;   in Loop: Header=BB123_53 Depth=1
	s_or_b32 exec_lo, exec_lo, s16
	s_and_saveexec_b32 s15, vcc_lo
	s_cbranch_execz .LBB123_52
	s_branch .LBB123_86
.LBB123_70:                             ;   in Loop: Header=BB123_53 Depth=1
	v_mov_b32_e32 v8, s20
	ds_load_b32 v8, v8
	s_waitcnt lgkmcnt(0)
	v_add_nc_u32_e32 v10, v8, v10
	s_or_b32 exec_lo, exec_lo, s16
	s_and_saveexec_b32 s16, s1
	s_cbranch_execz .LBB123_55
.LBB123_71:                             ;   in Loop: Header=BB123_53 Depth=1
	v_mov_b32_e32 v8, s21
	ds_load_b32 v8, v8
	s_waitcnt lgkmcnt(0)
	v_add_nc_u32_e32 v10, v10, v8
	s_or_b32 exec_lo, exec_lo, s16
	s_and_saveexec_b32 s16, s2
	s_cbranch_execz .LBB123_56
.LBB123_72:                             ;   in Loop: Header=BB123_53 Depth=1
	v_mov_b32_e32 v8, s23
	ds_load_b32 v8, v8
	s_waitcnt lgkmcnt(0)
	v_add_nc_u32_e32 v10, v10, v8
	s_or_b32 exec_lo, exec_lo, s16
	s_and_saveexec_b32 s16, s3
	s_cbranch_execz .LBB123_57
.LBB123_73:                             ;   in Loop: Header=BB123_53 Depth=1
	v_mov_b32_e32 v8, s28
	ds_load_b32 v8, v8
	s_waitcnt lgkmcnt(0)
	v_add_nc_u32_e32 v10, v10, v8
	s_or_b32 exec_lo, exec_lo, s16
	s_and_saveexec_b32 s16, s4
	s_cbranch_execz .LBB123_58
.LBB123_74:                             ;   in Loop: Header=BB123_53 Depth=1
	v_mov_b32_e32 v8, s29
	ds_load_b32 v8, v8
	s_waitcnt lgkmcnt(0)
	v_add_nc_u32_e32 v10, v10, v8
	s_or_b32 exec_lo, exec_lo, s16
	s_and_saveexec_b32 s16, s5
	s_cbranch_execz .LBB123_59
.LBB123_75:                             ;   in Loop: Header=BB123_53 Depth=1
	v_mov_b32_e32 v8, s30
	ds_load_b32 v8, v8
	s_waitcnt lgkmcnt(0)
	v_add_nc_u32_e32 v10, v10, v8
	s_or_b32 exec_lo, exec_lo, s16
	s_and_saveexec_b32 s16, s6
	s_cbranch_execz .LBB123_60
.LBB123_76:                             ;   in Loop: Header=BB123_53 Depth=1
	v_mov_b32_e32 v8, s31
	ds_load_b32 v8, v8
	s_waitcnt lgkmcnt(0)
	v_add_nc_u32_e32 v10, v10, v8
	s_or_b32 exec_lo, exec_lo, s16
	s_and_saveexec_b32 s16, s7
	s_cbranch_execz .LBB123_61
.LBB123_77:                             ;   in Loop: Header=BB123_53 Depth=1
	v_mov_b32_e32 v8, s33
	ds_load_b32 v8, v8
	s_waitcnt lgkmcnt(0)
	v_add_nc_u32_e32 v10, v10, v8
	s_or_b32 exec_lo, exec_lo, s16
	s_and_saveexec_b32 s16, s8
	s_cbranch_execz .LBB123_62
.LBB123_78:                             ;   in Loop: Header=BB123_53 Depth=1
	v_mov_b32_e32 v8, s38
	ds_load_b32 v8, v8
	s_waitcnt lgkmcnt(0)
	v_add_nc_u32_e32 v10, v10, v8
	s_or_b32 exec_lo, exec_lo, s16
	s_and_saveexec_b32 s16, s9
	s_cbranch_execz .LBB123_63
.LBB123_79:                             ;   in Loop: Header=BB123_53 Depth=1
	v_mov_b32_e32 v8, s39
	ds_load_b32 v8, v8
	s_waitcnt lgkmcnt(0)
	v_add_nc_u32_e32 v10, v10, v8
	s_or_b32 exec_lo, exec_lo, s16
	s_and_saveexec_b32 s16, s10
	s_cbranch_execz .LBB123_64
.LBB123_80:                             ;   in Loop: Header=BB123_53 Depth=1
	v_mov_b32_e32 v8, s40
	ds_load_b32 v8, v8
	s_waitcnt lgkmcnt(0)
	v_add_nc_u32_e32 v10, v10, v8
	s_or_b32 exec_lo, exec_lo, s16
	s_and_saveexec_b32 s16, s11
	s_cbranch_execz .LBB123_65
.LBB123_81:                             ;   in Loop: Header=BB123_53 Depth=1
	v_mov_b32_e32 v8, s42
	ds_load_b32 v8, v8
	s_waitcnt lgkmcnt(0)
	v_add_nc_u32_e32 v10, v10, v8
	s_or_b32 exec_lo, exec_lo, s16
	s_and_saveexec_b32 s16, s12
	s_cbranch_execz .LBB123_66
.LBB123_82:                             ;   in Loop: Header=BB123_53 Depth=1
	v_mov_b32_e32 v8, s43
	ds_load_b32 v8, v8
	s_waitcnt lgkmcnt(0)
	v_add_nc_u32_e32 v10, v10, v8
	s_or_b32 exec_lo, exec_lo, s16
	s_and_saveexec_b32 s16, s13
	s_cbranch_execz .LBB123_67
.LBB123_83:                             ;   in Loop: Header=BB123_53 Depth=1
	v_mov_b32_e32 v8, s44
	ds_load_b32 v8, v8
	s_waitcnt lgkmcnt(0)
	v_add_nc_u32_e32 v10, v10, v8
	s_or_b32 exec_lo, exec_lo, s16
	s_and_saveexec_b32 s16, s14
	s_cbranch_execz .LBB123_68
.LBB123_84:                             ;   in Loop: Header=BB123_53 Depth=1
	v_mov_b32_e32 v8, s45
	ds_load_b32 v8, v8
	s_waitcnt lgkmcnt(0)
	v_add_nc_u32_e32 v10, v10, v8
	s_or_b32 exec_lo, exec_lo, s16
	s_delay_alu instid0(VALU_DEP_1)
	v_ashrrev_i32_e32 v11, 31, v10
	s_and_saveexec_b32 s16, s15
	s_cbranch_execz .LBB123_69
.LBB123_85:                             ;   in Loop: Header=BB123_53 Depth=1
	v_add3_u32 v8, v6, -1, v10
	s_delay_alu instid0(VALU_DEP_1)
	v_lshl_add_u32 v8, v8, 3, 0
	ds_store_2addr_stride64_b64 v8, v[1:2], v[3:4] offset1:64
	s_or_b32 exec_lo, exec_lo, s16
	s_and_saveexec_b32 s15, vcc_lo
	s_cbranch_execz .LBB123_52
.LBB123_86:                             ;   in Loop: Header=BB123_53 Depth=1
	v_mov_b32_e32 v1, s41
	ds_store_b64 v1, v[10:11]
	s_branch .LBB123_52
.LBB123_87:
	s_or_b32 exec_lo, exec_lo, s17
	s_lshl_b64 s[0:1], s[36:37], 3
	v_mov_b32_e32 v1, 0
	s_add_u32 s0, s18, s0
	s_addc_u32 s1, s19, s1
	s_mov_b32 s6, exec_lo
	s_load_b128 s[0:3], s[0:1], 0x0
	s_waitcnt lgkmcnt(0)
	s_sub_u32 s4, s2, s0
	s_subb_u32 s5, s3, s1
	s_delay_alu instid0(SALU_CYCLE_1)
	v_cmpx_gt_i64_e64 s[4:5], v[0:1]
	s_cbranch_execz .LBB123_97
; %bb.88:
	s_sub_u32 s8, s0, s22
	s_subb_u32 s9, s1, 0
	s_and_b32 s6, s4, 7
	s_sub_u32 s0, s0, s2
	s_subb_u32 s1, s1, s3
	s_mov_b32 s7, 0
	v_cmp_lt_u64_e64 s12, s[0:1], -7
	s_and_b32 s2, s4, -8
	s_cmp_lg_u64 s[6:7], 0
	s_mov_b32 s3, s5
	s_cselect_b32 s13, -1, 0
	s_mov_b32 s14, s7
	s_branch .LBB123_90
.LBB123_89:                             ;   in Loop: Header=BB123_90 Depth=1
	s_waitcnt lgkmcnt(0)
	v_add_co_u32 v2, vcc_lo, v2, s22
	v_lshlrev_b64 v[6:7], 3, v[6:7]
	v_add_co_ci_u32_e32 v3, vcc_lo, 0, v3, vcc_lo
	v_add_co_u32 v0, vcc_lo, 0x400, v0
	v_add_co_ci_u32_e32 v1, vcc_lo, 0, v1, vcc_lo
	s_delay_alu instid0(VALU_DEP_4) | instskip(SKIP_1) | instid1(VALU_DEP_3)
	v_add_co_u32 v8, vcc_lo, s24, v6
	v_add_co_ci_u32_e32 v9, vcc_lo, s25, v7, vcc_lo
	v_cmp_le_i64_e32 vcc_lo, s[4:5], v[0:1]
	v_add_co_u32 v6, s0, s26, v6
	s_delay_alu instid0(VALU_DEP_1) | instskip(SKIP_3) | instid1(SALU_CYCLE_1)
	v_add_co_ci_u32_e64 v7, s0, s27, v7, s0
	global_store_b64 v[8:9], v[2:3], off
	global_store_b64 v[6:7], v[4:5], off
	s_or_b32 s14, vcc_lo, s14
	s_and_not1_b32 exec_lo, exec_lo, s14
	s_cbranch_execz .LBB123_97
.LBB123_90:                             ; =>This Loop Header: Depth=1
                                        ;     Child Loop BB123_92 Depth 2
                                        ;     Child Loop BB123_96 Depth 2
	v_lshl_add_u32 v2, v0, 3, 0
	v_dual_mov_b32 v6, s8 :: v_dual_mov_b32 v7, s9
	s_and_not1_b32 vcc_lo, exec_lo, s12
	s_mov_b64 s[0:1], 0
	ds_load_2addr_stride64_b64 v[2:5], v2 offset1:64
	s_cbranch_vccnz .LBB123_94
; %bb.91:                               ;   in Loop: Header=BB123_90 Depth=1
	v_dual_mov_b32 v6, s8 :: v_dual_mov_b32 v7, s9
	s_mov_b64 s[10:11], 0
	s_mov_b32 s1, 0
.LBB123_92:                             ;   Parent Loop BB123_90 Depth=1
                                        ; =>  This Inner Loop Header: Depth=2
	s_delay_alu instid0(SALU_CYCLE_1)
	v_mov_b32_e32 v20, s1
	s_add_u32 s10, s10, 8
	s_addc_u32 s11, s11, 0
	s_add_i32 s1, s1, 64
	s_cmp_eq_u64 s[2:3], s[10:11]
	ds_load_2addr_b64 v[8:11], v20 offset1:1
	ds_load_2addr_b64 v[12:15], v20 offset0:2 offset1:3
	ds_load_2addr_b64 v[16:19], v20 offset0:4 offset1:5
	;; [unrolled: 1-line block ×3, first 2 shown]
	s_waitcnt lgkmcnt(3)
	v_cmp_gt_i64_e32 vcc_lo, v[2:3], v[8:9]
	v_cndmask_b32_e64 v8, 0, 1, vcc_lo
	v_cmp_gt_i64_e32 vcc_lo, v[2:3], v[10:11]
	v_cndmask_b32_e64 v9, 0, 1, vcc_lo
	s_waitcnt lgkmcnt(2)
	v_cmp_gt_i64_e32 vcc_lo, v[2:3], v[12:13]
	v_cndmask_b32_e64 v10, 0, 1, vcc_lo
	v_cmp_gt_i64_e32 vcc_lo, v[2:3], v[14:15]
	v_cndmask_b32_e64 v11, 0, 1, vcc_lo
	s_waitcnt lgkmcnt(1)
	v_cmp_gt_i64_e32 vcc_lo, v[2:3], v[16:17]
	v_cndmask_b32_e64 v12, 0, 1, vcc_lo
	v_add_co_u32 v6, vcc_lo, v6, v8
	v_add_co_ci_u32_e32 v7, vcc_lo, 0, v7, vcc_lo
	v_cmp_gt_i64_e32 vcc_lo, v[2:3], v[18:19]
	s_delay_alu instid0(VALU_DEP_3) | instskip(NEXT) | instid1(VALU_DEP_1)
	v_add_co_u32 v6, s0, v6, v9
	v_add_co_ci_u32_e64 v7, s0, 0, v7, s0
	v_cndmask_b32_e64 v8, 0, 1, vcc_lo
	s_delay_alu instid0(VALU_DEP_3) | instskip(NEXT) | instid1(VALU_DEP_3)
	v_add_co_u32 v6, vcc_lo, v6, v10
	v_add_co_ci_u32_e32 v7, vcc_lo, 0, v7, vcc_lo
	s_waitcnt lgkmcnt(0)
	v_cmp_gt_i64_e32 vcc_lo, v[2:3], v[20:21]
	s_delay_alu instid0(VALU_DEP_3) | instskip(NEXT) | instid1(VALU_DEP_1)
	v_add_co_u32 v6, s0, v6, v11
	v_add_co_ci_u32_e64 v7, s0, 0, v7, s0
	v_cndmask_b32_e64 v9, 0, 1, vcc_lo
	s_delay_alu instid0(VALU_DEP_3) | instskip(NEXT) | instid1(VALU_DEP_3)
	v_add_co_u32 v6, vcc_lo, v6, v12
	v_add_co_ci_u32_e32 v7, vcc_lo, 0, v7, vcc_lo
	v_cmp_gt_i64_e32 vcc_lo, v[2:3], v[22:23]
	s_delay_alu instid0(VALU_DEP_3) | instskip(NEXT) | instid1(VALU_DEP_1)
	v_add_co_u32 v6, s0, v6, v8
	v_add_co_ci_u32_e64 v7, s0, 0, v7, s0
	v_cndmask_b32_e64 v8, 0, 1, vcc_lo
	s_delay_alu instid0(VALU_DEP_3) | instskip(NEXT) | instid1(VALU_DEP_3)
	v_add_co_u32 v6, vcc_lo, v6, v9
	v_add_co_ci_u32_e32 v7, vcc_lo, 0, v7, vcc_lo
	s_delay_alu instid0(VALU_DEP_2) | instskip(NEXT) | instid1(VALU_DEP_2)
	v_add_co_u32 v6, vcc_lo, v6, v8
	v_add_co_ci_u32_e32 v7, vcc_lo, 0, v7, vcc_lo
	s_cbranch_scc0 .LBB123_92
; %bb.93:                               ;   in Loop: Header=BB123_90 Depth=1
	s_mov_b64 s[0:1], s[2:3]
.LBB123_94:                             ;   in Loop: Header=BB123_90 Depth=1
	s_and_not1_b32 vcc_lo, exec_lo, s13
	s_cbranch_vccnz .LBB123_89
; %bb.95:                               ;   in Loop: Header=BB123_90 Depth=1
	s_lshl_b32 s0, s0, 3
	s_delay_alu instid0(SALU_CYCLE_1)
	s_add_i32 s10, s0, 0
	s_mov_b64 s[0:1], s[6:7]
.LBB123_96:                             ;   Parent Loop BB123_90 Depth=1
                                        ; =>  This Inner Loop Header: Depth=2
	v_mov_b32_e32 v8, s10
	s_add_i32 s10, s10, 8
	s_add_u32 s0, s0, -1
	s_addc_u32 s1, s1, -1
	s_delay_alu instid0(SALU_CYCLE_1) | instskip(SKIP_4) | instid1(VALU_DEP_1)
	s_cmp_lg_u64 s[0:1], 0
	ds_load_b64 v[8:9], v8
	s_waitcnt lgkmcnt(0)
	v_cmp_gt_i64_e32 vcc_lo, v[2:3], v[8:9]
	v_cndmask_b32_e64 v8, 0, 1, vcc_lo
	v_add_co_u32 v6, vcc_lo, v6, v8
	v_add_co_ci_u32_e32 v7, vcc_lo, 0, v7, vcc_lo
	s_cbranch_scc1 .LBB123_96
	s_branch .LBB123_89
.LBB123_97:
	s_nop 0
	s_sendmsg sendmsg(MSG_DEALLOC_VGPRS)
	s_endpgm
	.section	.rodata,"a",@progbits
	.p2align	6, 0x0
	.amdhsa_kernel _ZN9rocsparseL26csrgemm_fill_block_per_rowILj1024ELj64ELj4096ELj137ELj64ElldEEvT5_PKS1_S3_NS_24const_host_device_scalarIT6_EEPKT4_S3_PKS5_S9_S3_SB_S6_S9_S3_SB_S9_PS1_PS5_21rocsparse_index_base_SE_SE_SE_bbb
		.amdhsa_group_segment_fixed_size 0
		.amdhsa_private_segment_fixed_size 0
		.amdhsa_kernarg_size 156
		.amdhsa_user_sgpr_count 15
		.amdhsa_user_sgpr_dispatch_ptr 0
		.amdhsa_user_sgpr_queue_ptr 0
		.amdhsa_user_sgpr_kernarg_segment_ptr 1
		.amdhsa_user_sgpr_dispatch_id 0
		.amdhsa_user_sgpr_private_segment_size 0
		.amdhsa_wavefront_size32 1
		.amdhsa_uses_dynamic_stack 0
		.amdhsa_enable_private_segment 0
		.amdhsa_system_sgpr_workgroup_id_x 1
		.amdhsa_system_sgpr_workgroup_id_y 0
		.amdhsa_system_sgpr_workgroup_id_z 0
		.amdhsa_system_sgpr_workgroup_info 0
		.amdhsa_system_vgpr_workitem_id 0
		.amdhsa_next_free_vgpr 28
		.amdhsa_next_free_sgpr 46
		.amdhsa_reserve_vcc 1
		.amdhsa_float_round_mode_32 0
		.amdhsa_float_round_mode_16_64 0
		.amdhsa_float_denorm_mode_32 3
		.amdhsa_float_denorm_mode_16_64 3
		.amdhsa_dx10_clamp 1
		.amdhsa_ieee_mode 1
		.amdhsa_fp16_overflow 0
		.amdhsa_workgroup_processor_mode 1
		.amdhsa_memory_ordered 1
		.amdhsa_forward_progress 0
		.amdhsa_shared_vgpr_count 0
		.amdhsa_exception_fp_ieee_invalid_op 0
		.amdhsa_exception_fp_denorm_src 0
		.amdhsa_exception_fp_ieee_div_zero 0
		.amdhsa_exception_fp_ieee_overflow 0
		.amdhsa_exception_fp_ieee_underflow 0
		.amdhsa_exception_fp_ieee_inexact 0
		.amdhsa_exception_int_div_zero 0
	.end_amdhsa_kernel
	.section	.text._ZN9rocsparseL26csrgemm_fill_block_per_rowILj1024ELj64ELj4096ELj137ELj64ElldEEvT5_PKS1_S3_NS_24const_host_device_scalarIT6_EEPKT4_S3_PKS5_S9_S3_SB_S6_S9_S3_SB_S9_PS1_PS5_21rocsparse_index_base_SE_SE_SE_bbb,"axG",@progbits,_ZN9rocsparseL26csrgemm_fill_block_per_rowILj1024ELj64ELj4096ELj137ELj64ElldEEvT5_PKS1_S3_NS_24const_host_device_scalarIT6_EEPKT4_S3_PKS5_S9_S3_SB_S6_S9_S3_SB_S9_PS1_PS5_21rocsparse_index_base_SE_SE_SE_bbb,comdat
.Lfunc_end123:
	.size	_ZN9rocsparseL26csrgemm_fill_block_per_rowILj1024ELj64ELj4096ELj137ELj64ElldEEvT5_PKS1_S3_NS_24const_host_device_scalarIT6_EEPKT4_S3_PKS5_S9_S3_SB_S6_S9_S3_SB_S9_PS1_PS5_21rocsparse_index_base_SE_SE_SE_bbb, .Lfunc_end123-_ZN9rocsparseL26csrgemm_fill_block_per_rowILj1024ELj64ELj4096ELj137ELj64ElldEEvT5_PKS1_S3_NS_24const_host_device_scalarIT6_EEPKT4_S3_PKS5_S9_S3_SB_S6_S9_S3_SB_S9_PS1_PS5_21rocsparse_index_base_SE_SE_SE_bbb
                                        ; -- End function
	.section	.AMDGPU.csdata,"",@progbits
; Kernel info:
; codeLenInByte = 3904
; NumSgprs: 48
; NumVgprs: 28
; ScratchSize: 0
; MemoryBound: 0
; FloatMode: 240
; IeeeMode: 1
; LDSByteSize: 0 bytes/workgroup (compile time only)
; SGPRBlocks: 5
; VGPRBlocks: 3
; NumSGPRsForWavesPerEU: 48
; NumVGPRsForWavesPerEU: 28
; Occupancy: 16
; WaveLimiterHint : 1
; COMPUTE_PGM_RSRC2:SCRATCH_EN: 0
; COMPUTE_PGM_RSRC2:USER_SGPR: 15
; COMPUTE_PGM_RSRC2:TRAP_HANDLER: 0
; COMPUTE_PGM_RSRC2:TGID_X_EN: 1
; COMPUTE_PGM_RSRC2:TGID_Y_EN: 0
; COMPUTE_PGM_RSRC2:TGID_Z_EN: 0
; COMPUTE_PGM_RSRC2:TIDIG_COMP_CNT: 0
	.section	.text._ZN9rocsparseL26csrgemm_fill_block_per_rowILj1024ELj64ELj8192ELj137ELj32ElldEEvT5_PKS1_S3_NS_24const_host_device_scalarIT6_EEPKT4_S3_PKS5_S9_S3_SB_S6_S9_S3_SB_S9_PS1_PS5_21rocsparse_index_base_SE_SE_SE_bbb,"axG",@progbits,_ZN9rocsparseL26csrgemm_fill_block_per_rowILj1024ELj64ELj8192ELj137ELj32ElldEEvT5_PKS1_S3_NS_24const_host_device_scalarIT6_EEPKT4_S3_PKS5_S9_S3_SB_S6_S9_S3_SB_S9_PS1_PS5_21rocsparse_index_base_SE_SE_SE_bbb,comdat
	.globl	_ZN9rocsparseL26csrgemm_fill_block_per_rowILj1024ELj64ELj8192ELj137ELj32ElldEEvT5_PKS1_S3_NS_24const_host_device_scalarIT6_EEPKT4_S3_PKS5_S9_S3_SB_S6_S9_S3_SB_S9_PS1_PS5_21rocsparse_index_base_SE_SE_SE_bbb ; -- Begin function _ZN9rocsparseL26csrgemm_fill_block_per_rowILj1024ELj64ELj8192ELj137ELj32ElldEEvT5_PKS1_S3_NS_24const_host_device_scalarIT6_EEPKT4_S3_PKS5_S9_S3_SB_S6_S9_S3_SB_S9_PS1_PS5_21rocsparse_index_base_SE_SE_SE_bbb
	.p2align	8
	.type	_ZN9rocsparseL26csrgemm_fill_block_per_rowILj1024ELj64ELj8192ELj137ELj32ElldEEvT5_PKS1_S3_NS_24const_host_device_scalarIT6_EEPKT4_S3_PKS5_S9_S3_SB_S6_S9_S3_SB_S9_PS1_PS5_21rocsparse_index_base_SE_SE_SE_bbb,@function
_ZN9rocsparseL26csrgemm_fill_block_per_rowILj1024ELj64ELj8192ELj137ELj32ElldEEvT5_PKS1_S3_NS_24const_host_device_scalarIT6_EEPKT4_S3_PKS5_S9_S3_SB_S6_S9_S3_SB_S9_PS1_PS5_21rocsparse_index_base_SE_SE_SE_bbb: ; @_ZN9rocsparseL26csrgemm_fill_block_per_rowILj1024ELj64ELj8192ELj137ELj32ElldEEvT5_PKS1_S3_NS_24const_host_device_scalarIT6_EEPKT4_S3_PKS5_S9_S3_SB_S6_S9_S3_SB_S9_PS1_PS5_21rocsparse_index_base_SE_SE_SE_bbb
; %bb.0:
	s_clause 0x4
	s_load_b32 s3, s[0:1], 0x98
	s_load_b64 s[10:11], s[0:1], 0x18
	s_load_b128 s[4:7], s[0:1], 0x8
	s_load_b128 s[36:39], s[0:1], 0x88
	s_load_b64 s[8:9], s[0:1], 0x50
	s_mov_b32 s2, s15
	s_waitcnt lgkmcnt(0)
	s_and_b32 s12, 1, s3
	s_bitcmp1_b32 s3, 16
	s_cselect_b32 s13, -1, 0
	s_cmp_eq_u32 s12, 1
	s_cselect_b32 s12, -1, 0
	s_delay_alu instid0(SALU_CYCLE_1)
	s_and_b32 s14, s12, exec_lo
	s_cselect_b32 s15, s11, 0
	s_cselect_b32 s14, s10, 0
	s_xor_b32 s16, s12, -1
	v_dual_mov_b32 v3, s14 :: v_dual_mov_b32 v4, s15
	s_or_b32 s16, s16, s13
	s_delay_alu instid0(SALU_CYCLE_1)
	s_and_b32 vcc_lo, exec_lo, s16
	s_cbranch_vccnz .LBB124_2
; %bb.1:
	v_dual_mov_b32 v1, s10 :: v_dual_mov_b32 v2, s11
	flat_load_b64 v[3:4], v[1:2]
.LBB124_2:
	s_bitcmp1_b32 s3, 8
	s_cselect_b32 s14, -1, 0
	s_delay_alu instid0(SALU_CYCLE_1)
	s_and_b32 s3, s14, exec_lo
	s_cselect_b32 s11, s9, 0
	s_cselect_b32 s10, s8, 0
	s_xor_b32 s3, s14, -1
	v_dual_mov_b32 v1, s10 :: v_dual_mov_b32 v2, s11
	s_or_b32 s3, s3, s13
	s_delay_alu instid0(SALU_CYCLE_1)
	s_and_b32 vcc_lo, exec_lo, s3
	s_cbranch_vccnz .LBB124_4
; %bb.3:
	v_dual_mov_b32 v1, s8 :: v_dual_mov_b32 v2, s9
	flat_load_b64 v[1:2], v[1:2]
.LBB124_4:
	s_load_b64 s[34:35], s[0:1], 0x0
	v_lshl_add_u32 v19, v0, 3, 0
	s_mov_b32 s8, 0
	s_delay_alu instid0(SALU_CYCLE_1) | instskip(NEXT) | instid1(SALU_CYCLE_1)
	s_mov_b32 s9, s8
	v_dual_mov_b32 v5, s8 :: v_dual_mov_b32 v6, s9
	s_delay_alu instid0(VALU_DEP_2)
	v_add_nc_u32_e32 v24, 0x10000, v19
	s_mov_b32 s3, s8
	s_waitcnt lgkmcnt(0)
	v_dual_mov_b32 v7, s34 :: v_dual_mov_b32 v8, s35
	v_dual_mov_b32 v9, s34 :: v_dual_mov_b32 v10, s35
	;; [unrolled: 1-line block ×6, first 2 shown]
	v_mov_b32_e32 v20, s34
	v_dual_mov_b32 v22, s34 :: v_dual_mov_b32 v23, s35
	v_mov_b32_e32 v21, s35
	ds_store_2addr_stride64_b64 v24, v[5:6], v[5:6] offset1:16
	ds_store_2addr_stride64_b64 v24, v[5:6], v[5:6] offset0:32 offset1:48
	ds_store_2addr_stride64_b64 v24, v[5:6], v[5:6] offset0:64 offset1:80
	;; [unrolled: 1-line block ×3, first 2 shown]
	ds_store_2addr_stride64_b64 v19, v[7:8], v[9:10] offset1:16
	ds_store_2addr_stride64_b64 v19, v[11:12], v[13:14] offset0:32 offset1:48
	ds_store_2addr_stride64_b64 v19, v[15:16], v[17:18] offset0:64 offset1:80
	;; [unrolled: 1-line block ×3, first 2 shown]
	s_waitcnt vmcnt(0) lgkmcnt(0)
	s_barrier
	buffer_gl0_inv
	s_load_b64 s[4:5], s[4:5], 0x0
	s_waitcnt lgkmcnt(0)
	s_lshl_b64 s[4:5], s[4:5], 3
	s_delay_alu instid0(SALU_CYCLE_1) | instskip(SKIP_2) | instid1(SALU_CYCLE_1)
	s_add_u32 s4, s6, s4
	s_addc_u32 s5, s7, s5
	s_lshl_b64 s[2:3], s[2:3], 3
	s_add_u32 s2, s4, s2
	s_addc_u32 s3, s5, s3
	s_and_not1_b32 vcc_lo, exec_lo, s12
	s_load_b64 s[44:45], s[2:3], 0x0
	s_cbranch_vccnz .LBB124_28
; %bb.5:
	s_load_b64 s[2:3], s[0:1], 0x20
	s_waitcnt lgkmcnt(0)
	s_lshl_b64 s[4:5], s[44:45], 3
	v_lshrrev_b32_e32 v5, 6, v0
	s_mov_b32 s15, exec_lo
	s_add_u32 s2, s2, s4
	s_addc_u32 s3, s3, s5
	s_load_b128 s[4:7], s[2:3], 0x0
	v_sub_co_u32 v5, s2, v5, s36
	s_delay_alu instid0(VALU_DEP_1) | instskip(SKIP_1) | instid1(VALU_DEP_2)
	v_sub_co_ci_u32_e64 v6, null, 0, 0, s2
	s_waitcnt lgkmcnt(0)
	v_add_co_u32 v5, vcc_lo, s4, v5
	s_delay_alu instid0(VALU_DEP_2)
	v_add_co_ci_u32_e32 v6, vcc_lo, s5, v6, vcc_lo
	s_sub_u32 s2, s6, s36
	s_subb_u32 s3, s7, 0
	s_delay_alu instid0(VALU_DEP_1) | instid1(SALU_CYCLE_1)
	v_cmpx_gt_i64_e64 s[2:3], v[5:6]
	s_cbranch_execz .LBB124_27
; %bb.6:
	s_clause 0x1
	s_load_b64 s[12:13], s[0:1], 0x48
	s_load_b256 s[4:11], s[0:1], 0x28
	v_and_b32_e32 v7, 63, v0
	s_mov_b32 s17, s37
	s_delay_alu instid0(VALU_DEP_1) | instskip(NEXT) | instid1(VALU_DEP_1)
	v_sub_co_u32 v20, s16, v7, s37
	v_sub_co_ci_u32_e64 v21, null, 0, 0, s16
	s_mov_b32 s16, 0
	s_branch .LBB124_8
.LBB124_7:                              ;   in Loop: Header=BB124_8 Depth=1
	s_or_b32 exec_lo, exec_lo, s18
	v_add_co_u32 v5, vcc_lo, v5, 16
	v_add_co_ci_u32_e32 v6, vcc_lo, 0, v6, vcc_lo
	s_delay_alu instid0(VALU_DEP_1) | instskip(SKIP_1) | instid1(SALU_CYCLE_1)
	v_cmp_le_i64_e32 vcc_lo, s[2:3], v[5:6]
	s_or_b32 s16, vcc_lo, s16
	s_and_not1_b32 exec_lo, exec_lo, s16
	s_cbranch_execz .LBB124_27
.LBB124_8:                              ; =>This Loop Header: Depth=1
                                        ;     Child Loop BB124_11 Depth 2
                                        ;       Child Loop BB124_13 Depth 3
                                        ;         Child Loop BB124_19 Depth 4
                                        ;         Child Loop BB124_25 Depth 4
	v_lshlrev_b64 v[11:12], 3, v[5:6]
	s_mov_b32 s18, exec_lo
	s_waitcnt lgkmcnt(0)
	s_delay_alu instid0(VALU_DEP_1) | instskip(NEXT) | instid1(VALU_DEP_2)
	v_add_co_u32 v7, vcc_lo, s4, v11
	v_add_co_ci_u32_e32 v8, vcc_lo, s5, v12, vcc_lo
	global_load_b64 v[7:8], v[7:8], off
	s_waitcnt vmcnt(0)
	v_sub_co_u32 v7, vcc_lo, v7, s36
	v_subrev_co_ci_u32_e32 v8, vcc_lo, 0, v8, vcc_lo
	s_delay_alu instid0(VALU_DEP_1) | instskip(NEXT) | instid1(VALU_DEP_1)
	v_lshlrev_b64 v[7:8], 3, v[7:8]
	v_add_co_u32 v7, vcc_lo, s8, v7
	s_delay_alu instid0(VALU_DEP_2)
	v_add_co_ci_u32_e32 v8, vcc_lo, s9, v8, vcc_lo
	global_load_b128 v[13:16], v[7:8], off
	s_waitcnt vmcnt(0)
	v_sub_co_u32 v7, vcc_lo, v15, s17
	v_subrev_co_ci_u32_e32 v8, vcc_lo, 0, v16, vcc_lo
	v_add_co_u32 v9, vcc_lo, v13, v20
	v_add_co_ci_u32_e32 v10, vcc_lo, v14, v21, vcc_lo
	s_delay_alu instid0(VALU_DEP_1)
	v_cmpx_lt_i64_e64 v[9:10], v[7:8]
	s_cbranch_execz .LBB124_7
; %bb.9:                                ;   in Loop: Header=BB124_8 Depth=1
	v_add_co_u32 v11, vcc_lo, s6, v11
	v_add_co_ci_u32_e32 v12, vcc_lo, s7, v12, vcc_lo
	s_mov_b32 s19, 0
	global_load_b64 v[11:12], v[11:12], off
	s_waitcnt vmcnt(0)
	v_mul_f64 v[11:12], v[3:4], v[11:12]
	s_branch .LBB124_11
.LBB124_10:                             ;   in Loop: Header=BB124_11 Depth=2
	s_or_b32 exec_lo, exec_lo, s20
	v_add_co_u32 v9, vcc_lo, v9, 64
	v_add_co_ci_u32_e32 v10, vcc_lo, 0, v10, vcc_lo
	s_delay_alu instid0(VALU_DEP_1) | instskip(SKIP_1) | instid1(SALU_CYCLE_1)
	v_cmp_ge_i64_e32 vcc_lo, v[9:10], v[7:8]
	s_or_b32 s19, vcc_lo, s19
	s_and_not1_b32 exec_lo, exec_lo, s19
	s_cbranch_execz .LBB124_7
.LBB124_11:                             ;   Parent Loop BB124_8 Depth=1
                                        ; =>  This Loop Header: Depth=2
                                        ;       Child Loop BB124_13 Depth 3
                                        ;         Child Loop BB124_19 Depth 4
                                        ;         Child Loop BB124_25 Depth 4
	v_lshlrev_b64 v[13:14], 3, v[9:10]
	s_mov_b32 s20, 0
	s_delay_alu instid0(VALU_DEP_1) | instskip(NEXT) | instid1(VALU_DEP_2)
	v_add_co_u32 v15, vcc_lo, s12, v13
	v_add_co_ci_u32_e32 v16, vcc_lo, s13, v14, vcc_lo
	v_add_co_u32 v13, vcc_lo, s10, v13
	v_add_co_ci_u32_e32 v14, vcc_lo, s11, v14, vcc_lo
	global_load_b64 v[15:16], v[15:16], off
	global_load_b64 v[17:18], v[13:14], off
	s_waitcnt vmcnt(1)
	v_mul_f64 v[13:14], v[11:12], v[15:16]
	s_waitcnt vmcnt(0)
	v_sub_co_u32 v15, vcc_lo, v17, s17
	v_subrev_co_ci_u32_e32 v16, vcc_lo, 0, v18, vcc_lo
	s_delay_alu instid0(VALU_DEP_2) | instskip(NEXT) | instid1(VALU_DEP_1)
	v_mul_lo_u32 v17, 0x89, v15
	v_and_b32_e32 v22, 0x1fff, v17
	s_branch .LBB124_13
.LBB124_12:                             ;   in Loop: Header=BB124_13 Depth=3
	s_or_b32 exec_lo, exec_lo, s21
	s_xor_b32 s21, s22, -1
	s_delay_alu instid0(SALU_CYCLE_1) | instskip(NEXT) | instid1(SALU_CYCLE_1)
	s_and_b32 s21, exec_lo, s21
	s_or_b32 s20, s21, s20
	s_delay_alu instid0(SALU_CYCLE_1)
	s_and_not1_b32 exec_lo, exec_lo, s20
	s_cbranch_execz .LBB124_10
.LBB124_13:                             ;   Parent Loop BB124_8 Depth=1
                                        ;     Parent Loop BB124_11 Depth=2
                                        ; =>    This Loop Header: Depth=3
                                        ;         Child Loop BB124_19 Depth 4
                                        ;         Child Loop BB124_25 Depth 4
	s_delay_alu instid0(VALU_DEP_1)
	v_lshl_add_u32 v23, v22, 3, 0
	s_mov_b32 s21, exec_lo
                                        ; implicit-def: $sgpr22
	ds_load_b64 v[17:18], v23
	s_waitcnt lgkmcnt(0)
	v_cmpx_ne_u64_e64 v[17:18], v[15:16]
	s_xor_b32 s21, exec_lo, s21
	s_cbranch_execz .LBB124_23
; %bb.14:                               ;   in Loop: Header=BB124_13 Depth=3
	s_mov_b32 s23, exec_lo
                                        ; implicit-def: $sgpr22
	v_cmpx_ne_u64_e64 s[34:35], v[17:18]
	s_xor_b32 s23, exec_lo, s23
; %bb.15:                               ;   in Loop: Header=BB124_13 Depth=3
	v_add_nc_u32_e32 v17, 1, v22
	s_mov_b32 s22, -1
                                        ; implicit-def: $vgpr23
	s_delay_alu instid0(VALU_DEP_1)
	v_and_b32_e32 v22, 0x1fff, v17
; %bb.16:                               ;   in Loop: Header=BB124_13 Depth=3
	s_and_not1_saveexec_b32 s23, s23
	s_cbranch_execz .LBB124_22
; %bb.17:                               ;   in Loop: Header=BB124_13 Depth=3
	v_dual_mov_b32 v17, s34 :: v_dual_mov_b32 v18, s35
	s_mov_b32 s25, -1
	s_mov_b32 s24, exec_lo
	ds_cmpstore_rtn_b64 v[17:18], v23, v[15:16], v[17:18]
	s_waitcnt lgkmcnt(0)
	v_cmpx_eq_u64_e64 s[34:35], v[17:18]
	s_cbranch_execz .LBB124_21
; %bb.18:                               ;   in Loop: Header=BB124_13 Depth=3
	v_lshlrev_b32_e32 v17, 3, v22
	s_mov_b32 s25, 0
	s_delay_alu instid0(VALU_DEP_1)
	v_add3_u32 v23, 0, v17, 0x10000
	ds_load_b64 v[17:18], v23
.LBB124_19:                             ;   Parent Loop BB124_8 Depth=1
                                        ;     Parent Loop BB124_11 Depth=2
                                        ;       Parent Loop BB124_13 Depth=3
                                        ; =>      This Inner Loop Header: Depth=4
	s_waitcnt lgkmcnt(0)
	v_add_f64 v[24:25], v[17:18], v[13:14]
	ds_cmpstore_rtn_b64 v[24:25], v23, v[24:25], v[17:18]
	s_waitcnt lgkmcnt(0)
	v_cmp_eq_u64_e32 vcc_lo, v[24:25], v[17:18]
	v_dual_mov_b32 v17, v24 :: v_dual_mov_b32 v18, v25
	s_or_b32 s25, vcc_lo, s25
	s_delay_alu instid0(SALU_CYCLE_1)
	s_and_not1_b32 exec_lo, exec_lo, s25
	s_cbranch_execnz .LBB124_19
; %bb.20:                               ;   in Loop: Header=BB124_13 Depth=3
	s_or_b32 exec_lo, exec_lo, s25
	s_delay_alu instid0(SALU_CYCLE_1)
	s_xor_b32 s25, exec_lo, -1
.LBB124_21:                             ;   in Loop: Header=BB124_13 Depth=3
	s_or_b32 exec_lo, exec_lo, s24
	s_delay_alu instid0(SALU_CYCLE_1) | instskip(SKIP_1) | instid1(SALU_CYCLE_1)
	s_and_not1_b32 s22, s22, exec_lo
	s_and_b32 s24, s25, exec_lo
	s_or_b32 s22, s22, s24
.LBB124_22:                             ;   in Loop: Header=BB124_13 Depth=3
	s_or_b32 exec_lo, exec_lo, s23
	s_delay_alu instid0(SALU_CYCLE_1)
	s_and_b32 s22, s22, exec_lo
.LBB124_23:                             ;   in Loop: Header=BB124_13 Depth=3
	s_and_not1_saveexec_b32 s21, s21
	s_cbranch_execz .LBB124_12
; %bb.24:                               ;   in Loop: Header=BB124_13 Depth=3
	v_lshlrev_b32_e32 v17, 3, v22
	s_mov_b32 s23, 0
	s_delay_alu instid0(VALU_DEP_1)
	v_add3_u32 v23, 0, v17, 0x10000
	ds_load_b64 v[17:18], v23
.LBB124_25:                             ;   Parent Loop BB124_8 Depth=1
                                        ;     Parent Loop BB124_11 Depth=2
                                        ;       Parent Loop BB124_13 Depth=3
                                        ; =>      This Inner Loop Header: Depth=4
	s_waitcnt lgkmcnt(0)
	v_add_f64 v[24:25], v[17:18], v[13:14]
	ds_cmpstore_rtn_b64 v[24:25], v23, v[24:25], v[17:18]
	s_waitcnt lgkmcnt(0)
	v_cmp_eq_u64_e32 vcc_lo, v[24:25], v[17:18]
	v_dual_mov_b32 v17, v24 :: v_dual_mov_b32 v18, v25
	s_or_b32 s23, vcc_lo, s23
	s_delay_alu instid0(SALU_CYCLE_1)
	s_and_not1_b32 exec_lo, exec_lo, s23
	s_cbranch_execnz .LBB124_25
; %bb.26:                               ;   in Loop: Header=BB124_13 Depth=3
	s_or_b32 exec_lo, exec_lo, s23
	s_delay_alu instid0(SALU_CYCLE_1)
	s_and_not1_b32 s22, s22, exec_lo
	s_branch .LBB124_12
.LBB124_27:
	s_or_b32 exec_lo, exec_lo, s15
.LBB124_28:
	s_clause 0x1
	s_load_b64 s[36:37], s[0:1], 0x80
	s_load_b128 s[40:43], s[0:1], 0x70
	s_and_not1_b32 vcc_lo, exec_lo, s14
	s_cbranch_vccnz .LBB124_49
; %bb.29:
	s_load_b64 s[2:3], s[0:1], 0x58
	s_waitcnt lgkmcnt(0)
	s_lshl_b64 s[4:5], s[44:45], 3
	s_delay_alu instid0(SALU_CYCLE_1) | instskip(SKIP_3) | instid1(VALU_DEP_1)
	s_add_u32 s2, s2, s4
	s_addc_u32 s3, s3, s5
	s_load_b128 s[4:7], s[2:3], 0x0
	v_sub_co_u32 v3, s2, v0, s39
	v_sub_co_ci_u32_e64 v4, null, 0, 0, s2
	s_waitcnt lgkmcnt(0)
	s_delay_alu instid0(VALU_DEP_2) | instskip(NEXT) | instid1(VALU_DEP_2)
	v_add_co_u32 v3, vcc_lo, s4, v3
	v_add_co_ci_u32_e32 v4, vcc_lo, s5, v4, vcc_lo
	s_sub_u32 s4, s6, s39
	s_subb_u32 s5, s7, 0
	s_mov_b32 s6, 0
	s_mov_b32 s7, exec_lo
	v_cmpx_gt_i64_e64 s[4:5], v[3:4]
	s_cbranch_execz .LBB124_48
; %bb.30:
	s_load_b128 s[0:3], s[0:1], 0x60
	s_mov_b32 s8, s39
	s_branch .LBB124_32
.LBB124_31:                             ;   in Loop: Header=BB124_32 Depth=1
	s_or_b32 exec_lo, exec_lo, s9
	v_add_co_u32 v3, vcc_lo, 0x400, v3
	v_add_co_ci_u32_e32 v4, vcc_lo, 0, v4, vcc_lo
	s_delay_alu instid0(VALU_DEP_1) | instskip(SKIP_1) | instid1(SALU_CYCLE_1)
	v_cmp_le_i64_e32 vcc_lo, s[4:5], v[3:4]
	s_or_b32 s6, vcc_lo, s6
	s_and_not1_b32 exec_lo, exec_lo, s6
	s_cbranch_execz .LBB124_48
.LBB124_32:                             ; =>This Loop Header: Depth=1
                                        ;     Child Loop BB124_34 Depth 2
                                        ;       Child Loop BB124_40 Depth 3
                                        ;       Child Loop BB124_46 Depth 3
	v_lshlrev_b64 v[5:6], 3, v[3:4]
	s_mov_b32 s9, 0
	s_waitcnt lgkmcnt(0)
	s_delay_alu instid0(VALU_DEP_1) | instskip(NEXT) | instid1(VALU_DEP_2)
	v_add_co_u32 v7, vcc_lo, s2, v5
	v_add_co_ci_u32_e32 v8, vcc_lo, s3, v6, vcc_lo
	v_add_co_u32 v5, vcc_lo, s0, v5
	v_add_co_ci_u32_e32 v6, vcc_lo, s1, v6, vcc_lo
	global_load_b64 v[7:8], v[7:8], off
	global_load_b64 v[9:10], v[5:6], off
	s_waitcnt vmcnt(1)
	v_mul_f64 v[5:6], v[1:2], v[7:8]
	s_waitcnt vmcnt(0)
	v_sub_co_u32 v7, vcc_lo, v9, s8
	v_subrev_co_ci_u32_e32 v8, vcc_lo, 0, v10, vcc_lo
	s_delay_alu instid0(VALU_DEP_2) | instskip(NEXT) | instid1(VALU_DEP_1)
	v_mul_lo_u32 v9, 0x89, v7
	v_and_b32_e32 v11, 0x1fff, v9
	s_branch .LBB124_34
.LBB124_33:                             ;   in Loop: Header=BB124_34 Depth=2
	s_or_b32 exec_lo, exec_lo, s10
	s_xor_b32 s10, s11, -1
	s_delay_alu instid0(SALU_CYCLE_1) | instskip(NEXT) | instid1(SALU_CYCLE_1)
	s_and_b32 s10, exec_lo, s10
	s_or_b32 s9, s10, s9
	s_delay_alu instid0(SALU_CYCLE_1)
	s_and_not1_b32 exec_lo, exec_lo, s9
	s_cbranch_execz .LBB124_31
.LBB124_34:                             ;   Parent Loop BB124_32 Depth=1
                                        ; =>  This Loop Header: Depth=2
                                        ;       Child Loop BB124_40 Depth 3
                                        ;       Child Loop BB124_46 Depth 3
	s_delay_alu instid0(VALU_DEP_1)
	v_lshl_add_u32 v12, v11, 3, 0
	s_mov_b32 s10, exec_lo
                                        ; implicit-def: $sgpr11
	ds_load_b64 v[9:10], v12
	s_waitcnt lgkmcnt(0)
	v_cmpx_ne_u64_e64 v[9:10], v[7:8]
	s_xor_b32 s10, exec_lo, s10
	s_cbranch_execz .LBB124_44
; %bb.35:                               ;   in Loop: Header=BB124_34 Depth=2
	s_mov_b32 s12, exec_lo
                                        ; implicit-def: $sgpr11
	v_cmpx_ne_u64_e64 s[34:35], v[9:10]
	s_xor_b32 s12, exec_lo, s12
; %bb.36:                               ;   in Loop: Header=BB124_34 Depth=2
	v_add_nc_u32_e32 v9, 1, v11
	s_mov_b32 s11, -1
                                        ; implicit-def: $vgpr12
	s_delay_alu instid0(VALU_DEP_1)
	v_and_b32_e32 v11, 0x1fff, v9
; %bb.37:                               ;   in Loop: Header=BB124_34 Depth=2
	s_and_not1_saveexec_b32 s12, s12
	s_cbranch_execz .LBB124_43
; %bb.38:                               ;   in Loop: Header=BB124_34 Depth=2
	v_dual_mov_b32 v9, s34 :: v_dual_mov_b32 v10, s35
	s_mov_b32 s14, -1
	s_mov_b32 s13, exec_lo
	ds_cmpstore_rtn_b64 v[9:10], v12, v[7:8], v[9:10]
	s_waitcnt lgkmcnt(0)
	v_cmpx_eq_u64_e64 s[34:35], v[9:10]
	s_cbranch_execz .LBB124_42
; %bb.39:                               ;   in Loop: Header=BB124_34 Depth=2
	v_lshlrev_b32_e32 v9, 3, v11
	s_mov_b32 s14, 0
	s_delay_alu instid0(VALU_DEP_1)
	v_add3_u32 v12, 0, v9, 0x10000
	ds_load_b64 v[9:10], v12
.LBB124_40:                             ;   Parent Loop BB124_32 Depth=1
                                        ;     Parent Loop BB124_34 Depth=2
                                        ; =>    This Inner Loop Header: Depth=3
	s_waitcnt lgkmcnt(0)
	v_add_f64 v[13:14], v[9:10], v[5:6]
	ds_cmpstore_rtn_b64 v[13:14], v12, v[13:14], v[9:10]
	s_waitcnt lgkmcnt(0)
	v_cmp_eq_u64_e32 vcc_lo, v[13:14], v[9:10]
	v_dual_mov_b32 v9, v13 :: v_dual_mov_b32 v10, v14
	s_or_b32 s14, vcc_lo, s14
	s_delay_alu instid0(SALU_CYCLE_1)
	s_and_not1_b32 exec_lo, exec_lo, s14
	s_cbranch_execnz .LBB124_40
; %bb.41:                               ;   in Loop: Header=BB124_34 Depth=2
	s_or_b32 exec_lo, exec_lo, s14
	s_delay_alu instid0(SALU_CYCLE_1)
	s_xor_b32 s14, exec_lo, -1
.LBB124_42:                             ;   in Loop: Header=BB124_34 Depth=2
	s_or_b32 exec_lo, exec_lo, s13
	s_delay_alu instid0(SALU_CYCLE_1) | instskip(SKIP_1) | instid1(SALU_CYCLE_1)
	s_and_not1_b32 s11, s11, exec_lo
	s_and_b32 s13, s14, exec_lo
	s_or_b32 s11, s11, s13
.LBB124_43:                             ;   in Loop: Header=BB124_34 Depth=2
	s_or_b32 exec_lo, exec_lo, s12
	s_delay_alu instid0(SALU_CYCLE_1)
	s_and_b32 s11, s11, exec_lo
.LBB124_44:                             ;   in Loop: Header=BB124_34 Depth=2
	s_and_not1_saveexec_b32 s10, s10
	s_cbranch_execz .LBB124_33
; %bb.45:                               ;   in Loop: Header=BB124_34 Depth=2
	v_lshlrev_b32_e32 v9, 3, v11
	s_mov_b32 s12, 0
	s_delay_alu instid0(VALU_DEP_1)
	v_add3_u32 v12, 0, v9, 0x10000
	ds_load_b64 v[9:10], v12
.LBB124_46:                             ;   Parent Loop BB124_32 Depth=1
                                        ;     Parent Loop BB124_34 Depth=2
                                        ; =>    This Inner Loop Header: Depth=3
	s_waitcnt lgkmcnt(0)
	v_add_f64 v[13:14], v[9:10], v[5:6]
	ds_cmpstore_rtn_b64 v[13:14], v12, v[13:14], v[9:10]
	s_waitcnt lgkmcnt(0)
	v_cmp_eq_u64_e32 vcc_lo, v[13:14], v[9:10]
	v_dual_mov_b32 v9, v13 :: v_dual_mov_b32 v10, v14
	s_or_b32 s12, vcc_lo, s12
	s_delay_alu instid0(SALU_CYCLE_1)
	s_and_not1_b32 exec_lo, exec_lo, s12
	s_cbranch_execnz .LBB124_46
; %bb.47:                               ;   in Loop: Header=BB124_34 Depth=2
	s_or_b32 exec_lo, exec_lo, s12
	s_delay_alu instid0(SALU_CYCLE_1)
	s_and_not1_b32 s11, s11, exec_lo
	s_branch .LBB124_33
.LBB124_48:
	s_or_b32 exec_lo, exec_lo, s7
.LBB124_49:
	v_mbcnt_lo_u32_b32 v1, -1, 0
	v_lshrrev_b32_e32 v2, 2, v0
	s_add_i32 s73, 0, 0x200f8
	v_cmp_eq_u32_e32 vcc_lo, 0x3ff, v0
	v_cmp_lt_u32_e64 s0, 31, v0
	v_xor_b32_e32 v1, 63, v1
	v_dual_mov_b32 v14, s73 :: v_dual_and_b32 v3, 0xf8, v2
	v_cmp_lt_u32_e64 s1, 63, v0
	v_cmp_lt_u32_e64 s2, 0x5f, v0
	s_delay_alu instid0(VALU_DEP_4) | instskip(NEXT) | instid1(VALU_DEP_4)
	v_lshrrev_b64 v[1:2], v1, -1
	v_add3_u32 v12, 0, 0x20000, v3
	v_dual_mov_b32 v2, 0 :: v_dual_mov_b32 v5, 0
	v_cmp_lt_u32_e64 s3, 0x7f, v0
	v_cmp_lt_u32_e64 s4, 0x9f, v0
	;; [unrolled: 1-line block ×28, first 2 shown]
	v_or_b32_e32 v13, 0xfffffc00, v0
	v_mov_b32_e32 v3, 0
	s_mov_b32 s39, 0
	s_add_i32 s46, 0, 0x20000
	s_add_i32 s47, 0, 0x20008
	;; [unrolled: 1-line block ×31, first 2 shown]
	s_waitcnt lgkmcnt(0)
	s_barrier
	buffer_gl0_inv
	s_branch .LBB124_51
.LBB124_50:                             ;   in Loop: Header=BB124_51 Depth=1
	s_or_b32 exec_lo, exec_lo, s31
	s_waitcnt lgkmcnt(0)
	s_barrier
	buffer_gl0_inv
	ds_load_b64 v[6:7], v14
	v_add_nc_u32_e32 v13, 0x400, v13
	v_add_nc_u32_e32 v19, 0x2000, v19
	s_delay_alu instid0(VALU_DEP_2) | instskip(NEXT) | instid1(VALU_DEP_1)
	v_cmp_lt_u32_e64 s31, 0x1bff, v13
	s_or_b32 s39, s31, s39
	s_waitcnt lgkmcnt(0)
	v_add_co_u32 v2, s33, v6, v2
	s_delay_alu instid0(VALU_DEP_1)
	v_add_co_ci_u32_e64 v3, s33, v7, v3, s33
	s_and_not1_b32 exec_lo, exec_lo, s39
	s_cbranch_execz .LBB124_117
.LBB124_51:                             ; =>This Inner Loop Header: Depth=1
	ds_load_b64 v[6:7], v19
	v_add_nc_u32_e32 v4, 0x10000, v19
	ds_load_b64 v[8:9], v4
	s_waitcnt lgkmcnt(0)
	s_barrier
	buffer_gl0_inv
	v_cmp_gt_i64_e64 s31, s[34:35], v[6:7]
	s_delay_alu instid0(VALU_DEP_1) | instskip(SKIP_1) | instid1(SALU_CYCLE_1)
	v_and_b32_e32 v10, s31, v1
	s_bcnt1_i32_b32 s33, s31
	v_mov_b32_e32 v4, s33
	s_delay_alu instid0(VALU_DEP_2)
	v_bcnt_u32_b32 v10, v10, 0
	ds_store_b64 v12, v[4:5]
	s_waitcnt lgkmcnt(0)
	s_barrier
	buffer_gl0_inv
	s_and_saveexec_b32 s33, s0
	s_cbranch_execnz .LBB124_84
; %bb.52:                               ;   in Loop: Header=BB124_51 Depth=1
	s_or_b32 exec_lo, exec_lo, s33
	s_and_saveexec_b32 s33, s1
	s_cbranch_execnz .LBB124_85
.LBB124_53:                             ;   in Loop: Header=BB124_51 Depth=1
	s_or_b32 exec_lo, exec_lo, s33
	s_and_saveexec_b32 s33, s2
	s_cbranch_execnz .LBB124_86
.LBB124_54:                             ;   in Loop: Header=BB124_51 Depth=1
	s_or_b32 exec_lo, exec_lo, s33
	s_and_saveexec_b32 s33, s3
	s_cbranch_execnz .LBB124_87
.LBB124_55:                             ;   in Loop: Header=BB124_51 Depth=1
	s_or_b32 exec_lo, exec_lo, s33
	s_and_saveexec_b32 s33, s4
	s_cbranch_execnz .LBB124_88
.LBB124_56:                             ;   in Loop: Header=BB124_51 Depth=1
	s_or_b32 exec_lo, exec_lo, s33
	s_and_saveexec_b32 s33, s5
	s_cbranch_execnz .LBB124_89
.LBB124_57:                             ;   in Loop: Header=BB124_51 Depth=1
	s_or_b32 exec_lo, exec_lo, s33
	s_and_saveexec_b32 s33, s6
	s_cbranch_execnz .LBB124_90
.LBB124_58:                             ;   in Loop: Header=BB124_51 Depth=1
	s_or_b32 exec_lo, exec_lo, s33
	s_and_saveexec_b32 s33, s7
	s_cbranch_execnz .LBB124_91
.LBB124_59:                             ;   in Loop: Header=BB124_51 Depth=1
	s_or_b32 exec_lo, exec_lo, s33
	s_and_saveexec_b32 s33, s8
	s_cbranch_execnz .LBB124_92
.LBB124_60:                             ;   in Loop: Header=BB124_51 Depth=1
	s_or_b32 exec_lo, exec_lo, s33
	s_and_saveexec_b32 s33, s9
	s_cbranch_execnz .LBB124_93
.LBB124_61:                             ;   in Loop: Header=BB124_51 Depth=1
	s_or_b32 exec_lo, exec_lo, s33
	s_and_saveexec_b32 s33, s10
	s_cbranch_execnz .LBB124_94
.LBB124_62:                             ;   in Loop: Header=BB124_51 Depth=1
	s_or_b32 exec_lo, exec_lo, s33
	s_and_saveexec_b32 s33, s11
	s_cbranch_execnz .LBB124_95
.LBB124_63:                             ;   in Loop: Header=BB124_51 Depth=1
	s_or_b32 exec_lo, exec_lo, s33
	s_and_saveexec_b32 s33, s12
	s_cbranch_execnz .LBB124_96
.LBB124_64:                             ;   in Loop: Header=BB124_51 Depth=1
	s_or_b32 exec_lo, exec_lo, s33
	s_and_saveexec_b32 s33, s13
	s_cbranch_execnz .LBB124_97
.LBB124_65:                             ;   in Loop: Header=BB124_51 Depth=1
	s_or_b32 exec_lo, exec_lo, s33
	s_and_saveexec_b32 s33, s14
	s_cbranch_execnz .LBB124_98
.LBB124_66:                             ;   in Loop: Header=BB124_51 Depth=1
	s_or_b32 exec_lo, exec_lo, s33
	s_and_saveexec_b32 s33, s15
	s_cbranch_execnz .LBB124_99
.LBB124_67:                             ;   in Loop: Header=BB124_51 Depth=1
	s_or_b32 exec_lo, exec_lo, s33
	s_and_saveexec_b32 s33, s16
	s_cbranch_execnz .LBB124_100
.LBB124_68:                             ;   in Loop: Header=BB124_51 Depth=1
	s_or_b32 exec_lo, exec_lo, s33
	s_and_saveexec_b32 s33, s17
	s_cbranch_execnz .LBB124_101
.LBB124_69:                             ;   in Loop: Header=BB124_51 Depth=1
	s_or_b32 exec_lo, exec_lo, s33
	s_and_saveexec_b32 s33, s18
	s_cbranch_execnz .LBB124_102
.LBB124_70:                             ;   in Loop: Header=BB124_51 Depth=1
	s_or_b32 exec_lo, exec_lo, s33
	s_and_saveexec_b32 s33, s19
	s_cbranch_execnz .LBB124_103
.LBB124_71:                             ;   in Loop: Header=BB124_51 Depth=1
	s_or_b32 exec_lo, exec_lo, s33
	s_and_saveexec_b32 s33, s20
	s_cbranch_execnz .LBB124_104
.LBB124_72:                             ;   in Loop: Header=BB124_51 Depth=1
	s_or_b32 exec_lo, exec_lo, s33
	s_and_saveexec_b32 s33, s21
	s_cbranch_execnz .LBB124_105
.LBB124_73:                             ;   in Loop: Header=BB124_51 Depth=1
	s_or_b32 exec_lo, exec_lo, s33
	s_and_saveexec_b32 s33, s22
	s_cbranch_execnz .LBB124_106
.LBB124_74:                             ;   in Loop: Header=BB124_51 Depth=1
	s_or_b32 exec_lo, exec_lo, s33
	s_and_saveexec_b32 s33, s23
	s_cbranch_execnz .LBB124_107
.LBB124_75:                             ;   in Loop: Header=BB124_51 Depth=1
	s_or_b32 exec_lo, exec_lo, s33
	s_and_saveexec_b32 s33, s24
	s_cbranch_execnz .LBB124_108
.LBB124_76:                             ;   in Loop: Header=BB124_51 Depth=1
	s_or_b32 exec_lo, exec_lo, s33
	s_and_saveexec_b32 s33, s25
	s_cbranch_execnz .LBB124_109
.LBB124_77:                             ;   in Loop: Header=BB124_51 Depth=1
	s_or_b32 exec_lo, exec_lo, s33
	s_and_saveexec_b32 s33, s26
	s_cbranch_execnz .LBB124_110
.LBB124_78:                             ;   in Loop: Header=BB124_51 Depth=1
	s_or_b32 exec_lo, exec_lo, s33
	s_and_saveexec_b32 s33, s27
	s_cbranch_execnz .LBB124_111
.LBB124_79:                             ;   in Loop: Header=BB124_51 Depth=1
	s_or_b32 exec_lo, exec_lo, s33
	s_and_saveexec_b32 s33, s28
	s_cbranch_execnz .LBB124_112
.LBB124_80:                             ;   in Loop: Header=BB124_51 Depth=1
	s_or_b32 exec_lo, exec_lo, s33
	s_and_saveexec_b32 s33, s29
	s_cbranch_execnz .LBB124_113
.LBB124_81:                             ;   in Loop: Header=BB124_51 Depth=1
	s_or_b32 exec_lo, exec_lo, s33
	s_and_saveexec_b32 s33, s30
	s_cbranch_execnz .LBB124_114
.LBB124_82:                             ;   in Loop: Header=BB124_51 Depth=1
	s_or_b32 exec_lo, exec_lo, s33
	v_ashrrev_i32_e32 v11, 31, v10
	s_and_saveexec_b32 s33, s31
	s_cbranch_execnz .LBB124_115
.LBB124_83:                             ;   in Loop: Header=BB124_51 Depth=1
	s_or_b32 exec_lo, exec_lo, s33
	s_and_saveexec_b32 s31, vcc_lo
	s_cbranch_execz .LBB124_50
	s_branch .LBB124_116
.LBB124_84:                             ;   in Loop: Header=BB124_51 Depth=1
	v_mov_b32_e32 v4, s46
	ds_load_b32 v4, v4
	s_waitcnt lgkmcnt(0)
	v_add_nc_u32_e32 v10, v4, v10
	s_or_b32 exec_lo, exec_lo, s33
	s_and_saveexec_b32 s33, s1
	s_cbranch_execz .LBB124_53
.LBB124_85:                             ;   in Loop: Header=BB124_51 Depth=1
	v_mov_b32_e32 v4, s47
	ds_load_b32 v4, v4
	s_waitcnt lgkmcnt(0)
	v_add_nc_u32_e32 v10, v10, v4
	s_or_b32 exec_lo, exec_lo, s33
	s_and_saveexec_b32 s33, s2
	s_cbranch_execz .LBB124_54
.LBB124_86:                             ;   in Loop: Header=BB124_51 Depth=1
	v_mov_b32_e32 v4, s48
	ds_load_b32 v4, v4
	s_waitcnt lgkmcnt(0)
	v_add_nc_u32_e32 v10, v10, v4
	s_or_b32 exec_lo, exec_lo, s33
	s_and_saveexec_b32 s33, s3
	s_cbranch_execz .LBB124_55
.LBB124_87:                             ;   in Loop: Header=BB124_51 Depth=1
	v_mov_b32_e32 v4, s49
	ds_load_b32 v4, v4
	s_waitcnt lgkmcnt(0)
	v_add_nc_u32_e32 v10, v10, v4
	s_or_b32 exec_lo, exec_lo, s33
	s_and_saveexec_b32 s33, s4
	s_cbranch_execz .LBB124_56
.LBB124_88:                             ;   in Loop: Header=BB124_51 Depth=1
	v_mov_b32_e32 v4, s50
	ds_load_b32 v4, v4
	s_waitcnt lgkmcnt(0)
	v_add_nc_u32_e32 v10, v10, v4
	s_or_b32 exec_lo, exec_lo, s33
	s_and_saveexec_b32 s33, s5
	s_cbranch_execz .LBB124_57
.LBB124_89:                             ;   in Loop: Header=BB124_51 Depth=1
	v_mov_b32_e32 v4, s51
	ds_load_b32 v4, v4
	s_waitcnt lgkmcnt(0)
	v_add_nc_u32_e32 v10, v10, v4
	s_or_b32 exec_lo, exec_lo, s33
	s_and_saveexec_b32 s33, s6
	s_cbranch_execz .LBB124_58
.LBB124_90:                             ;   in Loop: Header=BB124_51 Depth=1
	v_mov_b32_e32 v4, s52
	ds_load_b32 v4, v4
	s_waitcnt lgkmcnt(0)
	v_add_nc_u32_e32 v10, v10, v4
	s_or_b32 exec_lo, exec_lo, s33
	s_and_saveexec_b32 s33, s7
	s_cbranch_execz .LBB124_59
.LBB124_91:                             ;   in Loop: Header=BB124_51 Depth=1
	v_mov_b32_e32 v4, s53
	ds_load_b32 v4, v4
	s_waitcnt lgkmcnt(0)
	v_add_nc_u32_e32 v10, v10, v4
	s_or_b32 exec_lo, exec_lo, s33
	s_and_saveexec_b32 s33, s8
	s_cbranch_execz .LBB124_60
.LBB124_92:                             ;   in Loop: Header=BB124_51 Depth=1
	v_mov_b32_e32 v4, s54
	ds_load_b32 v4, v4
	s_waitcnt lgkmcnt(0)
	v_add_nc_u32_e32 v10, v10, v4
	s_or_b32 exec_lo, exec_lo, s33
	s_and_saveexec_b32 s33, s9
	s_cbranch_execz .LBB124_61
.LBB124_93:                             ;   in Loop: Header=BB124_51 Depth=1
	v_mov_b32_e32 v4, s55
	ds_load_b32 v4, v4
	s_waitcnt lgkmcnt(0)
	v_add_nc_u32_e32 v10, v10, v4
	s_or_b32 exec_lo, exec_lo, s33
	s_and_saveexec_b32 s33, s10
	s_cbranch_execz .LBB124_62
.LBB124_94:                             ;   in Loop: Header=BB124_51 Depth=1
	v_mov_b32_e32 v4, s56
	ds_load_b32 v4, v4
	s_waitcnt lgkmcnt(0)
	v_add_nc_u32_e32 v10, v10, v4
	s_or_b32 exec_lo, exec_lo, s33
	s_and_saveexec_b32 s33, s11
	s_cbranch_execz .LBB124_63
.LBB124_95:                             ;   in Loop: Header=BB124_51 Depth=1
	v_mov_b32_e32 v4, s57
	ds_load_b32 v4, v4
	s_waitcnt lgkmcnt(0)
	v_add_nc_u32_e32 v10, v10, v4
	s_or_b32 exec_lo, exec_lo, s33
	s_and_saveexec_b32 s33, s12
	s_cbranch_execz .LBB124_64
.LBB124_96:                             ;   in Loop: Header=BB124_51 Depth=1
	v_mov_b32_e32 v4, s58
	ds_load_b32 v4, v4
	s_waitcnt lgkmcnt(0)
	v_add_nc_u32_e32 v10, v10, v4
	s_or_b32 exec_lo, exec_lo, s33
	s_and_saveexec_b32 s33, s13
	s_cbranch_execz .LBB124_65
.LBB124_97:                             ;   in Loop: Header=BB124_51 Depth=1
	v_mov_b32_e32 v4, s59
	ds_load_b32 v4, v4
	s_waitcnt lgkmcnt(0)
	v_add_nc_u32_e32 v10, v10, v4
	s_or_b32 exec_lo, exec_lo, s33
	s_and_saveexec_b32 s33, s14
	s_cbranch_execz .LBB124_66
.LBB124_98:                             ;   in Loop: Header=BB124_51 Depth=1
	v_mov_b32_e32 v4, s60
	ds_load_b32 v4, v4
	s_waitcnt lgkmcnt(0)
	v_add_nc_u32_e32 v10, v10, v4
	s_or_b32 exec_lo, exec_lo, s33
	s_and_saveexec_b32 s33, s15
	s_cbranch_execz .LBB124_67
.LBB124_99:                             ;   in Loop: Header=BB124_51 Depth=1
	v_mov_b32_e32 v4, s61
	ds_load_b32 v4, v4
	s_waitcnt lgkmcnt(0)
	v_add_nc_u32_e32 v10, v10, v4
	s_or_b32 exec_lo, exec_lo, s33
	s_and_saveexec_b32 s33, s16
	s_cbranch_execz .LBB124_68
.LBB124_100:                            ;   in Loop: Header=BB124_51 Depth=1
	v_mov_b32_e32 v4, s62
	ds_load_b32 v4, v4
	s_waitcnt lgkmcnt(0)
	v_add_nc_u32_e32 v10, v10, v4
	s_or_b32 exec_lo, exec_lo, s33
	s_and_saveexec_b32 s33, s17
	s_cbranch_execz .LBB124_69
.LBB124_101:                            ;   in Loop: Header=BB124_51 Depth=1
	v_mov_b32_e32 v4, s63
	ds_load_b32 v4, v4
	s_waitcnt lgkmcnt(0)
	v_add_nc_u32_e32 v10, v10, v4
	s_or_b32 exec_lo, exec_lo, s33
	s_and_saveexec_b32 s33, s18
	s_cbranch_execz .LBB124_70
.LBB124_102:                            ;   in Loop: Header=BB124_51 Depth=1
	v_mov_b32_e32 v4, s64
	ds_load_b32 v4, v4
	s_waitcnt lgkmcnt(0)
	v_add_nc_u32_e32 v10, v10, v4
	s_or_b32 exec_lo, exec_lo, s33
	s_and_saveexec_b32 s33, s19
	s_cbranch_execz .LBB124_71
.LBB124_103:                            ;   in Loop: Header=BB124_51 Depth=1
	v_mov_b32_e32 v4, s65
	ds_load_b32 v4, v4
	s_waitcnt lgkmcnt(0)
	v_add_nc_u32_e32 v10, v10, v4
	s_or_b32 exec_lo, exec_lo, s33
	s_and_saveexec_b32 s33, s20
	s_cbranch_execz .LBB124_72
.LBB124_104:                            ;   in Loop: Header=BB124_51 Depth=1
	v_mov_b32_e32 v4, s66
	ds_load_b32 v4, v4
	s_waitcnt lgkmcnt(0)
	v_add_nc_u32_e32 v10, v10, v4
	s_or_b32 exec_lo, exec_lo, s33
	s_and_saveexec_b32 s33, s21
	s_cbranch_execz .LBB124_73
.LBB124_105:                            ;   in Loop: Header=BB124_51 Depth=1
	v_mov_b32_e32 v4, s67
	ds_load_b32 v4, v4
	s_waitcnt lgkmcnt(0)
	v_add_nc_u32_e32 v10, v10, v4
	s_or_b32 exec_lo, exec_lo, s33
	s_and_saveexec_b32 s33, s22
	s_cbranch_execz .LBB124_74
.LBB124_106:                            ;   in Loop: Header=BB124_51 Depth=1
	v_mov_b32_e32 v4, s68
	ds_load_b32 v4, v4
	s_waitcnt lgkmcnt(0)
	v_add_nc_u32_e32 v10, v10, v4
	s_or_b32 exec_lo, exec_lo, s33
	s_and_saveexec_b32 s33, s23
	s_cbranch_execz .LBB124_75
.LBB124_107:                            ;   in Loop: Header=BB124_51 Depth=1
	v_mov_b32_e32 v4, s69
	ds_load_b32 v4, v4
	s_waitcnt lgkmcnt(0)
	v_add_nc_u32_e32 v10, v10, v4
	s_or_b32 exec_lo, exec_lo, s33
	s_and_saveexec_b32 s33, s24
	s_cbranch_execz .LBB124_76
.LBB124_108:                            ;   in Loop: Header=BB124_51 Depth=1
	v_mov_b32_e32 v4, s70
	ds_load_b32 v4, v4
	s_waitcnt lgkmcnt(0)
	v_add_nc_u32_e32 v10, v10, v4
	s_or_b32 exec_lo, exec_lo, s33
	s_and_saveexec_b32 s33, s25
	s_cbranch_execz .LBB124_77
.LBB124_109:                            ;   in Loop: Header=BB124_51 Depth=1
	v_mov_b32_e32 v4, s71
	ds_load_b32 v4, v4
	s_waitcnt lgkmcnt(0)
	v_add_nc_u32_e32 v10, v10, v4
	s_or_b32 exec_lo, exec_lo, s33
	s_and_saveexec_b32 s33, s26
	s_cbranch_execz .LBB124_78
.LBB124_110:                            ;   in Loop: Header=BB124_51 Depth=1
	v_mov_b32_e32 v4, s72
	ds_load_b32 v4, v4
	s_waitcnt lgkmcnt(0)
	v_add_nc_u32_e32 v10, v10, v4
	s_or_b32 exec_lo, exec_lo, s33
	s_and_saveexec_b32 s33, s27
	s_cbranch_execz .LBB124_79
.LBB124_111:                            ;   in Loop: Header=BB124_51 Depth=1
	v_mov_b32_e32 v4, s74
	ds_load_b32 v4, v4
	s_waitcnt lgkmcnt(0)
	v_add_nc_u32_e32 v10, v10, v4
	s_or_b32 exec_lo, exec_lo, s33
	s_and_saveexec_b32 s33, s28
	s_cbranch_execz .LBB124_80
.LBB124_112:                            ;   in Loop: Header=BB124_51 Depth=1
	v_mov_b32_e32 v4, s75
	ds_load_b32 v4, v4
	s_waitcnt lgkmcnt(0)
	v_add_nc_u32_e32 v10, v10, v4
	s_or_b32 exec_lo, exec_lo, s33
	s_and_saveexec_b32 s33, s29
	s_cbranch_execz .LBB124_81
.LBB124_113:                            ;   in Loop: Header=BB124_51 Depth=1
	v_mov_b32_e32 v4, s76
	ds_load_b32 v4, v4
	s_waitcnt lgkmcnt(0)
	v_add_nc_u32_e32 v10, v10, v4
	s_or_b32 exec_lo, exec_lo, s33
	s_and_saveexec_b32 s33, s30
	s_cbranch_execz .LBB124_82
.LBB124_114:                            ;   in Loop: Header=BB124_51 Depth=1
	v_mov_b32_e32 v4, s77
	ds_load_b32 v4, v4
	s_waitcnt lgkmcnt(0)
	v_add_nc_u32_e32 v10, v10, v4
	s_or_b32 exec_lo, exec_lo, s33
	s_delay_alu instid0(VALU_DEP_1)
	v_ashrrev_i32_e32 v11, 31, v10
	s_and_saveexec_b32 s33, s31
	s_cbranch_execz .LBB124_83
.LBB124_115:                            ;   in Loop: Header=BB124_51 Depth=1
	v_add3_u32 v4, v2, -1, v10
	s_delay_alu instid0(VALU_DEP_1) | instskip(NEXT) | instid1(VALU_DEP_1)
	v_lshl_add_u32 v4, v4, 3, 0
	v_add_nc_u32_e32 v15, 0x10000, v4
	ds_store_b64 v4, v[6:7]
	ds_store_b64 v15, v[8:9]
	s_or_b32 exec_lo, exec_lo, s33
	s_and_saveexec_b32 s31, vcc_lo
	s_cbranch_execz .LBB124_50
.LBB124_116:                            ;   in Loop: Header=BB124_51 Depth=1
	v_mov_b32_e32 v4, s73
	ds_store_b64 v4, v[10:11]
	s_branch .LBB124_50
.LBB124_117:
	s_or_b32 exec_lo, exec_lo, s39
	s_lshl_b64 s[0:1], s[44:45], 3
	v_mov_b32_e32 v1, 0
	s_add_u32 s0, s40, s0
	s_addc_u32 s1, s41, s1
	s_mov_b32 s6, exec_lo
	s_load_b128 s[0:3], s[0:1], 0x0
	s_waitcnt lgkmcnt(0)
	s_sub_u32 s4, s2, s0
	s_subb_u32 s5, s3, s1
	s_delay_alu instid0(SALU_CYCLE_1)
	v_cmpx_gt_i64_e64 s[4:5], v[0:1]
	s_cbranch_execz .LBB124_127
; %bb.118:
	s_sub_u32 s8, s0, s38
	s_subb_u32 s9, s1, 0
	s_and_b32 s6, s4, 7
	s_sub_u32 s0, s0, s2
	s_subb_u32 s1, s1, s3
	s_mov_b32 s7, 0
	v_cmp_lt_u64_e64 s12, s[0:1], -7
	s_and_b32 s2, s4, -8
	s_cmp_lg_u64 s[6:7], 0
	s_mov_b32 s3, s5
	s_cselect_b32 s13, -1, 0
	s_mov_b32 s14, s7
	s_branch .LBB124_120
.LBB124_119:                            ;   in Loop: Header=BB124_120 Depth=1
	s_waitcnt lgkmcnt(1)
	v_add_co_u32 v4, vcc_lo, v4, s38
	v_lshlrev_b64 v[6:7], 3, v[6:7]
	v_add_co_ci_u32_e32 v5, vcc_lo, 0, v5, vcc_lo
	v_add_co_u32 v0, vcc_lo, 0x400, v0
	v_add_co_ci_u32_e32 v1, vcc_lo, 0, v1, vcc_lo
	s_delay_alu instid0(VALU_DEP_4) | instskip(SKIP_1) | instid1(VALU_DEP_3)
	v_add_co_u32 v8, vcc_lo, s42, v6
	v_add_co_ci_u32_e32 v9, vcc_lo, s43, v7, vcc_lo
	v_cmp_le_i64_e32 vcc_lo, s[4:5], v[0:1]
	v_add_co_u32 v6, s0, s36, v6
	s_delay_alu instid0(VALU_DEP_1) | instskip(SKIP_4) | instid1(SALU_CYCLE_1)
	v_add_co_ci_u32_e64 v7, s0, s37, v7, s0
	global_store_b64 v[8:9], v[4:5], off
	s_waitcnt lgkmcnt(0)
	global_store_b64 v[6:7], v[2:3], off
	s_or_b32 s14, vcc_lo, s14
	s_and_not1_b32 exec_lo, exec_lo, s14
	s_cbranch_execz .LBB124_127
.LBB124_120:                            ; =>This Loop Header: Depth=1
                                        ;     Child Loop BB124_122 Depth 2
                                        ;     Child Loop BB124_126 Depth 2
	v_lshl_add_u32 v2, v0, 3, 0
	s_and_not1_b32 vcc_lo, exec_lo, s12
	s_mov_b64 s[0:1], 0
	v_dual_mov_b32 v6, s8 :: v_dual_mov_b32 v7, s9
	s_delay_alu instid0(VALU_DEP_2)
	v_add_nc_u32_e32 v3, 0x10000, v2
	ds_load_b64 v[4:5], v2
	ds_load_b64 v[2:3], v3
	s_cbranch_vccnz .LBB124_124
; %bb.121:                              ;   in Loop: Header=BB124_120 Depth=1
	v_dual_mov_b32 v6, s8 :: v_dual_mov_b32 v7, s9
	s_mov_b64 s[10:11], 0
	s_mov_b32 s1, 0
.LBB124_122:                            ;   Parent Loop BB124_120 Depth=1
                                        ; =>  This Inner Loop Header: Depth=2
	s_delay_alu instid0(SALU_CYCLE_1)
	v_mov_b32_e32 v20, s1
	s_add_u32 s10, s10, 8
	s_addc_u32 s11, s11, 0
	s_add_i32 s1, s1, 64
	s_cmp_eq_u64 s[2:3], s[10:11]
	ds_load_2addr_b64 v[8:11], v20 offset1:1
	ds_load_2addr_b64 v[12:15], v20 offset0:2 offset1:3
	ds_load_2addr_b64 v[16:19], v20 offset0:4 offset1:5
	;; [unrolled: 1-line block ×3, first 2 shown]
	s_waitcnt lgkmcnt(3)
	v_cmp_gt_i64_e32 vcc_lo, v[4:5], v[8:9]
	v_cndmask_b32_e64 v8, 0, 1, vcc_lo
	v_cmp_gt_i64_e32 vcc_lo, v[4:5], v[10:11]
	v_cndmask_b32_e64 v9, 0, 1, vcc_lo
	s_waitcnt lgkmcnt(2)
	v_cmp_gt_i64_e32 vcc_lo, v[4:5], v[12:13]
	v_cndmask_b32_e64 v10, 0, 1, vcc_lo
	v_cmp_gt_i64_e32 vcc_lo, v[4:5], v[14:15]
	v_cndmask_b32_e64 v11, 0, 1, vcc_lo
	s_waitcnt lgkmcnt(1)
	v_cmp_gt_i64_e32 vcc_lo, v[4:5], v[16:17]
	v_cndmask_b32_e64 v12, 0, 1, vcc_lo
	v_add_co_u32 v6, vcc_lo, v6, v8
	v_add_co_ci_u32_e32 v7, vcc_lo, 0, v7, vcc_lo
	v_cmp_gt_i64_e32 vcc_lo, v[4:5], v[18:19]
	s_delay_alu instid0(VALU_DEP_3) | instskip(NEXT) | instid1(VALU_DEP_1)
	v_add_co_u32 v6, s0, v6, v9
	v_add_co_ci_u32_e64 v7, s0, 0, v7, s0
	v_cndmask_b32_e64 v8, 0, 1, vcc_lo
	s_delay_alu instid0(VALU_DEP_3) | instskip(NEXT) | instid1(VALU_DEP_3)
	v_add_co_u32 v6, vcc_lo, v6, v10
	v_add_co_ci_u32_e32 v7, vcc_lo, 0, v7, vcc_lo
	s_waitcnt lgkmcnt(0)
	v_cmp_gt_i64_e32 vcc_lo, v[4:5], v[20:21]
	s_delay_alu instid0(VALU_DEP_3) | instskip(NEXT) | instid1(VALU_DEP_1)
	v_add_co_u32 v6, s0, v6, v11
	v_add_co_ci_u32_e64 v7, s0, 0, v7, s0
	v_cndmask_b32_e64 v9, 0, 1, vcc_lo
	s_delay_alu instid0(VALU_DEP_3) | instskip(NEXT) | instid1(VALU_DEP_3)
	v_add_co_u32 v6, vcc_lo, v6, v12
	v_add_co_ci_u32_e32 v7, vcc_lo, 0, v7, vcc_lo
	v_cmp_gt_i64_e32 vcc_lo, v[4:5], v[22:23]
	s_delay_alu instid0(VALU_DEP_3) | instskip(NEXT) | instid1(VALU_DEP_1)
	v_add_co_u32 v6, s0, v6, v8
	v_add_co_ci_u32_e64 v7, s0, 0, v7, s0
	v_cndmask_b32_e64 v8, 0, 1, vcc_lo
	s_delay_alu instid0(VALU_DEP_3) | instskip(NEXT) | instid1(VALU_DEP_3)
	v_add_co_u32 v6, vcc_lo, v6, v9
	v_add_co_ci_u32_e32 v7, vcc_lo, 0, v7, vcc_lo
	s_delay_alu instid0(VALU_DEP_2) | instskip(NEXT) | instid1(VALU_DEP_2)
	v_add_co_u32 v6, vcc_lo, v6, v8
	v_add_co_ci_u32_e32 v7, vcc_lo, 0, v7, vcc_lo
	s_cbranch_scc0 .LBB124_122
; %bb.123:                              ;   in Loop: Header=BB124_120 Depth=1
	s_mov_b64 s[0:1], s[2:3]
.LBB124_124:                            ;   in Loop: Header=BB124_120 Depth=1
	s_and_not1_b32 vcc_lo, exec_lo, s13
	s_cbranch_vccnz .LBB124_119
; %bb.125:                              ;   in Loop: Header=BB124_120 Depth=1
	s_lshl_b32 s0, s0, 3
	s_delay_alu instid0(SALU_CYCLE_1)
	s_add_i32 s10, s0, 0
	s_mov_b64 s[0:1], s[6:7]
.LBB124_126:                            ;   Parent Loop BB124_120 Depth=1
                                        ; =>  This Inner Loop Header: Depth=2
	v_mov_b32_e32 v8, s10
	s_add_i32 s10, s10, 8
	s_add_u32 s0, s0, -1
	s_addc_u32 s1, s1, -1
	s_delay_alu instid0(SALU_CYCLE_1) | instskip(SKIP_4) | instid1(VALU_DEP_1)
	s_cmp_lg_u64 s[0:1], 0
	ds_load_b64 v[8:9], v8
	s_waitcnt lgkmcnt(0)
	v_cmp_gt_i64_e32 vcc_lo, v[4:5], v[8:9]
	v_cndmask_b32_e64 v8, 0, 1, vcc_lo
	v_add_co_u32 v6, vcc_lo, v6, v8
	v_add_co_ci_u32_e32 v7, vcc_lo, 0, v7, vcc_lo
	s_cbranch_scc1 .LBB124_126
	s_branch .LBB124_119
.LBB124_127:
	s_nop 0
	s_sendmsg sendmsg(MSG_DEALLOC_VGPRS)
	s_endpgm
	.section	.rodata,"a",@progbits
	.p2align	6, 0x0
	.amdhsa_kernel _ZN9rocsparseL26csrgemm_fill_block_per_rowILj1024ELj64ELj8192ELj137ELj32ElldEEvT5_PKS1_S3_NS_24const_host_device_scalarIT6_EEPKT4_S3_PKS5_S9_S3_SB_S6_S9_S3_SB_S9_PS1_PS5_21rocsparse_index_base_SE_SE_SE_bbb
		.amdhsa_group_segment_fixed_size 0
		.amdhsa_private_segment_fixed_size 0
		.amdhsa_kernarg_size 156
		.amdhsa_user_sgpr_count 15
		.amdhsa_user_sgpr_dispatch_ptr 0
		.amdhsa_user_sgpr_queue_ptr 0
		.amdhsa_user_sgpr_kernarg_segment_ptr 1
		.amdhsa_user_sgpr_dispatch_id 0
		.amdhsa_user_sgpr_private_segment_size 0
		.amdhsa_wavefront_size32 1
		.amdhsa_uses_dynamic_stack 0
		.amdhsa_enable_private_segment 0
		.amdhsa_system_sgpr_workgroup_id_x 1
		.amdhsa_system_sgpr_workgroup_id_y 0
		.amdhsa_system_sgpr_workgroup_id_z 0
		.amdhsa_system_sgpr_workgroup_info 0
		.amdhsa_system_vgpr_workitem_id 0
		.amdhsa_next_free_vgpr 26
		.amdhsa_next_free_sgpr 78
		.amdhsa_reserve_vcc 1
		.amdhsa_float_round_mode_32 0
		.amdhsa_float_round_mode_16_64 0
		.amdhsa_float_denorm_mode_32 3
		.amdhsa_float_denorm_mode_16_64 3
		.amdhsa_dx10_clamp 1
		.amdhsa_ieee_mode 1
		.amdhsa_fp16_overflow 0
		.amdhsa_workgroup_processor_mode 1
		.amdhsa_memory_ordered 1
		.amdhsa_forward_progress 0
		.amdhsa_shared_vgpr_count 0
		.amdhsa_exception_fp_ieee_invalid_op 0
		.amdhsa_exception_fp_denorm_src 0
		.amdhsa_exception_fp_ieee_div_zero 0
		.amdhsa_exception_fp_ieee_overflow 0
		.amdhsa_exception_fp_ieee_underflow 0
		.amdhsa_exception_fp_ieee_inexact 0
		.amdhsa_exception_int_div_zero 0
	.end_amdhsa_kernel
	.section	.text._ZN9rocsparseL26csrgemm_fill_block_per_rowILj1024ELj64ELj8192ELj137ELj32ElldEEvT5_PKS1_S3_NS_24const_host_device_scalarIT6_EEPKT4_S3_PKS5_S9_S3_SB_S6_S9_S3_SB_S9_PS1_PS5_21rocsparse_index_base_SE_SE_SE_bbb,"axG",@progbits,_ZN9rocsparseL26csrgemm_fill_block_per_rowILj1024ELj64ELj8192ELj137ELj32ElldEEvT5_PKS1_S3_NS_24const_host_device_scalarIT6_EEPKT4_S3_PKS5_S9_S3_SB_S6_S9_S3_SB_S9_PS1_PS5_21rocsparse_index_base_SE_SE_SE_bbb,comdat
.Lfunc_end124:
	.size	_ZN9rocsparseL26csrgemm_fill_block_per_rowILj1024ELj64ELj8192ELj137ELj32ElldEEvT5_PKS1_S3_NS_24const_host_device_scalarIT6_EEPKT4_S3_PKS5_S9_S3_SB_S6_S9_S3_SB_S9_PS1_PS5_21rocsparse_index_base_SE_SE_SE_bbb, .Lfunc_end124-_ZN9rocsparseL26csrgemm_fill_block_per_rowILj1024ELj64ELj8192ELj137ELj32ElldEEvT5_PKS1_S3_NS_24const_host_device_scalarIT6_EEPKT4_S3_PKS5_S9_S3_SB_S6_S9_S3_SB_S9_PS1_PS5_21rocsparse_index_base_SE_SE_SE_bbb
                                        ; -- End function
	.section	.AMDGPU.csdata,"",@progbits
; Kernel info:
; codeLenInByte = 5184
; NumSgprs: 80
; NumVgprs: 26
; ScratchSize: 0
; MemoryBound: 0
; FloatMode: 240
; IeeeMode: 1
; LDSByteSize: 0 bytes/workgroup (compile time only)
; SGPRBlocks: 9
; VGPRBlocks: 3
; NumSGPRsForWavesPerEU: 80
; NumVGPRsForWavesPerEU: 26
; Occupancy: 16
; WaveLimiterHint : 1
; COMPUTE_PGM_RSRC2:SCRATCH_EN: 0
; COMPUTE_PGM_RSRC2:USER_SGPR: 15
; COMPUTE_PGM_RSRC2:TRAP_HANDLER: 0
; COMPUTE_PGM_RSRC2:TGID_X_EN: 1
; COMPUTE_PGM_RSRC2:TGID_Y_EN: 0
; COMPUTE_PGM_RSRC2:TGID_Z_EN: 0
; COMPUTE_PGM_RSRC2:TIDIG_COMP_CNT: 0
	.section	.text._ZN9rocsparseL26csrgemm_fill_block_per_rowILj1024ELj64ELj8192ELj137ELj64ElldEEvT5_PKS1_S3_NS_24const_host_device_scalarIT6_EEPKT4_S3_PKS5_S9_S3_SB_S6_S9_S3_SB_S9_PS1_PS5_21rocsparse_index_base_SE_SE_SE_bbb,"axG",@progbits,_ZN9rocsparseL26csrgemm_fill_block_per_rowILj1024ELj64ELj8192ELj137ELj64ElldEEvT5_PKS1_S3_NS_24const_host_device_scalarIT6_EEPKT4_S3_PKS5_S9_S3_SB_S6_S9_S3_SB_S9_PS1_PS5_21rocsparse_index_base_SE_SE_SE_bbb,comdat
	.globl	_ZN9rocsparseL26csrgemm_fill_block_per_rowILj1024ELj64ELj8192ELj137ELj64ElldEEvT5_PKS1_S3_NS_24const_host_device_scalarIT6_EEPKT4_S3_PKS5_S9_S3_SB_S6_S9_S3_SB_S9_PS1_PS5_21rocsparse_index_base_SE_SE_SE_bbb ; -- Begin function _ZN9rocsparseL26csrgemm_fill_block_per_rowILj1024ELj64ELj8192ELj137ELj64ElldEEvT5_PKS1_S3_NS_24const_host_device_scalarIT6_EEPKT4_S3_PKS5_S9_S3_SB_S6_S9_S3_SB_S9_PS1_PS5_21rocsparse_index_base_SE_SE_SE_bbb
	.p2align	8
	.type	_ZN9rocsparseL26csrgemm_fill_block_per_rowILj1024ELj64ELj8192ELj137ELj64ElldEEvT5_PKS1_S3_NS_24const_host_device_scalarIT6_EEPKT4_S3_PKS5_S9_S3_SB_S6_S9_S3_SB_S9_PS1_PS5_21rocsparse_index_base_SE_SE_SE_bbb,@function
_ZN9rocsparseL26csrgemm_fill_block_per_rowILj1024ELj64ELj8192ELj137ELj64ElldEEvT5_PKS1_S3_NS_24const_host_device_scalarIT6_EEPKT4_S3_PKS5_S9_S3_SB_S6_S9_S3_SB_S9_PS1_PS5_21rocsparse_index_base_SE_SE_SE_bbb: ; @_ZN9rocsparseL26csrgemm_fill_block_per_rowILj1024ELj64ELj8192ELj137ELj64ElldEEvT5_PKS1_S3_NS_24const_host_device_scalarIT6_EEPKT4_S3_PKS5_S9_S3_SB_S6_S9_S3_SB_S9_PS1_PS5_21rocsparse_index_base_SE_SE_SE_bbb
; %bb.0:
	s_clause 0x4
	s_load_b32 s3, s[0:1], 0x98
	s_load_b64 s[10:11], s[0:1], 0x18
	s_load_b128 s[4:7], s[0:1], 0x8
	s_load_b128 s[16:19], s[0:1], 0x88
	s_load_b64 s[8:9], s[0:1], 0x50
	s_mov_b32 s2, s15
	s_waitcnt lgkmcnt(0)
	s_and_b32 s12, 1, s3
	s_bitcmp1_b32 s3, 16
	s_cselect_b32 s13, -1, 0
	s_cmp_eq_u32 s12, 1
	s_cselect_b32 s12, -1, 0
	s_delay_alu instid0(SALU_CYCLE_1)
	s_and_b32 s14, s12, exec_lo
	s_cselect_b32 s15, s11, 0
	s_cselect_b32 s14, s10, 0
	s_xor_b32 s20, s12, -1
	v_dual_mov_b32 v3, s14 :: v_dual_mov_b32 v4, s15
	s_or_b32 s20, s20, s13
	s_delay_alu instid0(SALU_CYCLE_1)
	s_and_b32 vcc_lo, exec_lo, s20
	s_cbranch_vccnz .LBB125_2
; %bb.1:
	v_dual_mov_b32 v1, s10 :: v_dual_mov_b32 v2, s11
	flat_load_b64 v[3:4], v[1:2]
.LBB125_2:
	s_bitcmp1_b32 s3, 8
	s_cselect_b32 s14, -1, 0
	s_delay_alu instid0(SALU_CYCLE_1)
	s_and_b32 s3, s14, exec_lo
	s_cselect_b32 s11, s9, 0
	s_cselect_b32 s10, s8, 0
	s_xor_b32 s3, s14, -1
	v_dual_mov_b32 v1, s10 :: v_dual_mov_b32 v2, s11
	s_or_b32 s3, s3, s13
	s_delay_alu instid0(SALU_CYCLE_1)
	s_and_b32 vcc_lo, exec_lo, s3
	s_cbranch_vccnz .LBB125_4
; %bb.3:
	v_dual_mov_b32 v1, s8 :: v_dual_mov_b32 v2, s9
	flat_load_b64 v[1:2], v[1:2]
.LBB125_4:
	s_load_b64 s[24:25], s[0:1], 0x0
	v_lshl_add_u32 v19, v0, 3, 0
	s_mov_b32 s8, 0
	s_delay_alu instid0(SALU_CYCLE_1) | instskip(NEXT) | instid1(SALU_CYCLE_1)
	s_mov_b32 s9, s8
	v_dual_mov_b32 v5, s8 :: v_dual_mov_b32 v6, s9
	s_delay_alu instid0(VALU_DEP_2)
	v_add_nc_u32_e32 v24, 0x10000, v19
	s_mov_b32 s3, s8
	s_waitcnt lgkmcnt(0)
	v_dual_mov_b32 v7, s24 :: v_dual_mov_b32 v8, s25
	v_dual_mov_b32 v9, s24 :: v_dual_mov_b32 v10, s25
	;; [unrolled: 1-line block ×6, first 2 shown]
	v_mov_b32_e32 v20, s24
	v_dual_mov_b32 v22, s24 :: v_dual_mov_b32 v23, s25
	v_mov_b32_e32 v21, s25
	ds_store_2addr_stride64_b64 v24, v[5:6], v[5:6] offset1:16
	ds_store_2addr_stride64_b64 v24, v[5:6], v[5:6] offset0:32 offset1:48
	ds_store_2addr_stride64_b64 v24, v[5:6], v[5:6] offset0:64 offset1:80
	;; [unrolled: 1-line block ×3, first 2 shown]
	ds_store_2addr_stride64_b64 v19, v[7:8], v[9:10] offset1:16
	ds_store_2addr_stride64_b64 v19, v[11:12], v[13:14] offset0:32 offset1:48
	ds_store_2addr_stride64_b64 v19, v[15:16], v[17:18] offset0:64 offset1:80
	;; [unrolled: 1-line block ×3, first 2 shown]
	s_waitcnt vmcnt(0) lgkmcnt(0)
	s_barrier
	buffer_gl0_inv
	s_load_b64 s[4:5], s[4:5], 0x0
	v_lshrrev_b32_e32 v20, 6, v0
	s_waitcnt lgkmcnt(0)
	s_lshl_b64 s[4:5], s[4:5], 3
	s_delay_alu instid0(SALU_CYCLE_1) | instskip(SKIP_2) | instid1(SALU_CYCLE_1)
	s_add_u32 s4, s6, s4
	s_addc_u32 s5, s7, s5
	s_lshl_b64 s[2:3], s[2:3], 3
	s_add_u32 s2, s4, s2
	s_addc_u32 s3, s5, s3
	s_and_not1_b32 vcc_lo, exec_lo, s12
	s_load_b64 s[26:27], s[2:3], 0x0
	s_cbranch_vccnz .LBB125_28
; %bb.5:
	s_load_b64 s[2:3], s[0:1], 0x20
	s_waitcnt lgkmcnt(0)
	s_lshl_b64 s[4:5], s[26:27], 3
	s_mov_b32 s15, exec_lo
	s_add_u32 s2, s2, s4
	s_addc_u32 s3, s3, s5
	s_load_b128 s[4:7], s[2:3], 0x0
	v_sub_co_u32 v5, s2, v20, s16
	s_delay_alu instid0(VALU_DEP_1) | instskip(SKIP_1) | instid1(VALU_DEP_2)
	v_sub_co_ci_u32_e64 v6, null, 0, 0, s2
	s_waitcnt lgkmcnt(0)
	v_add_co_u32 v5, vcc_lo, s4, v5
	s_delay_alu instid0(VALU_DEP_2)
	v_add_co_ci_u32_e32 v6, vcc_lo, s5, v6, vcc_lo
	s_sub_u32 s2, s6, s16
	s_subb_u32 s3, s7, 0
	s_delay_alu instid0(VALU_DEP_1) | instid1(SALU_CYCLE_1)
	v_cmpx_gt_i64_e64 s[2:3], v[5:6]
	s_cbranch_execz .LBB125_27
; %bb.6:
	s_clause 0x1
	s_load_b64 s[12:13], s[0:1], 0x48
	s_load_b256 s[4:11], s[0:1], 0x28
	v_and_b32_e32 v7, 63, v0
	s_delay_alu instid0(VALU_DEP_1) | instskip(NEXT) | instid1(VALU_DEP_1)
	v_sub_co_u32 v21, s20, v7, s17
	v_sub_co_ci_u32_e64 v22, null, 0, 0, s20
	s_mov_b32 s20, 0
	s_branch .LBB125_8
.LBB125_7:                              ;   in Loop: Header=BB125_8 Depth=1
	s_or_b32 exec_lo, exec_lo, s21
	v_add_co_u32 v5, vcc_lo, v5, 16
	v_add_co_ci_u32_e32 v6, vcc_lo, 0, v6, vcc_lo
	s_delay_alu instid0(VALU_DEP_1) | instskip(SKIP_1) | instid1(SALU_CYCLE_1)
	v_cmp_le_i64_e32 vcc_lo, s[2:3], v[5:6]
	s_or_b32 s20, vcc_lo, s20
	s_and_not1_b32 exec_lo, exec_lo, s20
	s_cbranch_execz .LBB125_27
.LBB125_8:                              ; =>This Loop Header: Depth=1
                                        ;     Child Loop BB125_11 Depth 2
                                        ;       Child Loop BB125_13 Depth 3
                                        ;         Child Loop BB125_19 Depth 4
                                        ;         Child Loop BB125_25 Depth 4
	v_lshlrev_b64 v[11:12], 3, v[5:6]
	s_mov_b32 s21, exec_lo
	s_waitcnt lgkmcnt(0)
	s_delay_alu instid0(VALU_DEP_1) | instskip(NEXT) | instid1(VALU_DEP_2)
	v_add_co_u32 v7, vcc_lo, s4, v11
	v_add_co_ci_u32_e32 v8, vcc_lo, s5, v12, vcc_lo
	global_load_b64 v[7:8], v[7:8], off
	s_waitcnt vmcnt(0)
	v_sub_co_u32 v7, vcc_lo, v7, s16
	v_subrev_co_ci_u32_e32 v8, vcc_lo, 0, v8, vcc_lo
	s_delay_alu instid0(VALU_DEP_1) | instskip(NEXT) | instid1(VALU_DEP_1)
	v_lshlrev_b64 v[7:8], 3, v[7:8]
	v_add_co_u32 v7, vcc_lo, s8, v7
	s_delay_alu instid0(VALU_DEP_2)
	v_add_co_ci_u32_e32 v8, vcc_lo, s9, v8, vcc_lo
	global_load_b128 v[13:16], v[7:8], off
	s_waitcnt vmcnt(0)
	v_sub_co_u32 v7, vcc_lo, v15, s17
	v_subrev_co_ci_u32_e32 v8, vcc_lo, 0, v16, vcc_lo
	v_add_co_u32 v9, vcc_lo, v13, v21
	v_add_co_ci_u32_e32 v10, vcc_lo, v14, v22, vcc_lo
	s_delay_alu instid0(VALU_DEP_1)
	v_cmpx_lt_i64_e64 v[9:10], v[7:8]
	s_cbranch_execz .LBB125_7
; %bb.9:                                ;   in Loop: Header=BB125_8 Depth=1
	v_add_co_u32 v11, vcc_lo, s6, v11
	v_add_co_ci_u32_e32 v12, vcc_lo, s7, v12, vcc_lo
	s_mov_b32 s22, 0
	global_load_b64 v[11:12], v[11:12], off
	s_waitcnt vmcnt(0)
	v_mul_f64 v[11:12], v[3:4], v[11:12]
	s_branch .LBB125_11
.LBB125_10:                             ;   in Loop: Header=BB125_11 Depth=2
	s_or_b32 exec_lo, exec_lo, s23
	v_add_co_u32 v9, vcc_lo, v9, 64
	v_add_co_ci_u32_e32 v10, vcc_lo, 0, v10, vcc_lo
	s_delay_alu instid0(VALU_DEP_1) | instskip(SKIP_1) | instid1(SALU_CYCLE_1)
	v_cmp_ge_i64_e32 vcc_lo, v[9:10], v[7:8]
	s_or_b32 s22, vcc_lo, s22
	s_and_not1_b32 exec_lo, exec_lo, s22
	s_cbranch_execz .LBB125_7
.LBB125_11:                             ;   Parent Loop BB125_8 Depth=1
                                        ; =>  This Loop Header: Depth=2
                                        ;       Child Loop BB125_13 Depth 3
                                        ;         Child Loop BB125_19 Depth 4
                                        ;         Child Loop BB125_25 Depth 4
	v_lshlrev_b64 v[13:14], 3, v[9:10]
	s_mov_b32 s23, 0
	s_delay_alu instid0(VALU_DEP_1) | instskip(NEXT) | instid1(VALU_DEP_2)
	v_add_co_u32 v15, vcc_lo, s12, v13
	v_add_co_ci_u32_e32 v16, vcc_lo, s13, v14, vcc_lo
	v_add_co_u32 v13, vcc_lo, s10, v13
	v_add_co_ci_u32_e32 v14, vcc_lo, s11, v14, vcc_lo
	global_load_b64 v[15:16], v[15:16], off
	global_load_b64 v[17:18], v[13:14], off
	s_waitcnt vmcnt(1)
	v_mul_f64 v[13:14], v[11:12], v[15:16]
	s_waitcnt vmcnt(0)
	v_sub_co_u32 v15, vcc_lo, v17, s17
	v_subrev_co_ci_u32_e32 v16, vcc_lo, 0, v18, vcc_lo
	s_delay_alu instid0(VALU_DEP_2) | instskip(NEXT) | instid1(VALU_DEP_1)
	v_mul_lo_u32 v17, 0x89, v15
	v_and_b32_e32 v23, 0x1fff, v17
	s_branch .LBB125_13
.LBB125_12:                             ;   in Loop: Header=BB125_13 Depth=3
	s_or_b32 exec_lo, exec_lo, s28
	s_xor_b32 s28, s29, -1
	s_delay_alu instid0(SALU_CYCLE_1) | instskip(NEXT) | instid1(SALU_CYCLE_1)
	s_and_b32 s28, exec_lo, s28
	s_or_b32 s23, s28, s23
	s_delay_alu instid0(SALU_CYCLE_1)
	s_and_not1_b32 exec_lo, exec_lo, s23
	s_cbranch_execz .LBB125_10
.LBB125_13:                             ;   Parent Loop BB125_8 Depth=1
                                        ;     Parent Loop BB125_11 Depth=2
                                        ; =>    This Loop Header: Depth=3
                                        ;         Child Loop BB125_19 Depth 4
                                        ;         Child Loop BB125_25 Depth 4
	s_delay_alu instid0(VALU_DEP_1)
	v_lshl_add_u32 v24, v23, 3, 0
	s_mov_b32 s28, exec_lo
                                        ; implicit-def: $sgpr29
	ds_load_b64 v[17:18], v24
	s_waitcnt lgkmcnt(0)
	v_cmpx_ne_u64_e64 v[17:18], v[15:16]
	s_xor_b32 s28, exec_lo, s28
	s_cbranch_execz .LBB125_23
; %bb.14:                               ;   in Loop: Header=BB125_13 Depth=3
	s_mov_b32 s30, exec_lo
                                        ; implicit-def: $sgpr29
	v_cmpx_ne_u64_e64 s[24:25], v[17:18]
	s_xor_b32 s30, exec_lo, s30
; %bb.15:                               ;   in Loop: Header=BB125_13 Depth=3
	v_add_nc_u32_e32 v17, 1, v23
	s_mov_b32 s29, -1
                                        ; implicit-def: $vgpr24
	s_delay_alu instid0(VALU_DEP_1)
	v_and_b32_e32 v23, 0x1fff, v17
; %bb.16:                               ;   in Loop: Header=BB125_13 Depth=3
	s_and_not1_saveexec_b32 s30, s30
	s_cbranch_execz .LBB125_22
; %bb.17:                               ;   in Loop: Header=BB125_13 Depth=3
	v_dual_mov_b32 v17, s24 :: v_dual_mov_b32 v18, s25
	s_mov_b32 s33, -1
	s_mov_b32 s31, exec_lo
	ds_cmpstore_rtn_b64 v[17:18], v24, v[15:16], v[17:18]
	s_waitcnt lgkmcnt(0)
	v_cmpx_eq_u64_e64 s[24:25], v[17:18]
	s_cbranch_execz .LBB125_21
; %bb.18:                               ;   in Loop: Header=BB125_13 Depth=3
	v_lshlrev_b32_e32 v17, 3, v23
	s_mov_b32 s33, 0
	s_delay_alu instid0(VALU_DEP_1)
	v_add3_u32 v24, 0, v17, 0x10000
	ds_load_b64 v[17:18], v24
.LBB125_19:                             ;   Parent Loop BB125_8 Depth=1
                                        ;     Parent Loop BB125_11 Depth=2
                                        ;       Parent Loop BB125_13 Depth=3
                                        ; =>      This Inner Loop Header: Depth=4
	s_waitcnt lgkmcnt(0)
	v_add_f64 v[25:26], v[17:18], v[13:14]
	ds_cmpstore_rtn_b64 v[25:26], v24, v[25:26], v[17:18]
	s_waitcnt lgkmcnt(0)
	v_cmp_eq_u64_e32 vcc_lo, v[25:26], v[17:18]
	v_dual_mov_b32 v17, v25 :: v_dual_mov_b32 v18, v26
	s_or_b32 s33, vcc_lo, s33
	s_delay_alu instid0(SALU_CYCLE_1)
	s_and_not1_b32 exec_lo, exec_lo, s33
	s_cbranch_execnz .LBB125_19
; %bb.20:                               ;   in Loop: Header=BB125_13 Depth=3
	s_or_b32 exec_lo, exec_lo, s33
	s_delay_alu instid0(SALU_CYCLE_1)
	s_xor_b32 s33, exec_lo, -1
.LBB125_21:                             ;   in Loop: Header=BB125_13 Depth=3
	s_or_b32 exec_lo, exec_lo, s31
	s_delay_alu instid0(SALU_CYCLE_1) | instskip(SKIP_1) | instid1(SALU_CYCLE_1)
	s_and_not1_b32 s29, s29, exec_lo
	s_and_b32 s31, s33, exec_lo
	s_or_b32 s29, s29, s31
.LBB125_22:                             ;   in Loop: Header=BB125_13 Depth=3
	s_or_b32 exec_lo, exec_lo, s30
	s_delay_alu instid0(SALU_CYCLE_1)
	s_and_b32 s29, s29, exec_lo
.LBB125_23:                             ;   in Loop: Header=BB125_13 Depth=3
	s_and_not1_saveexec_b32 s28, s28
	s_cbranch_execz .LBB125_12
; %bb.24:                               ;   in Loop: Header=BB125_13 Depth=3
	v_lshlrev_b32_e32 v17, 3, v23
	s_mov_b32 s30, 0
	s_delay_alu instid0(VALU_DEP_1)
	v_add3_u32 v24, 0, v17, 0x10000
	ds_load_b64 v[17:18], v24
.LBB125_25:                             ;   Parent Loop BB125_8 Depth=1
                                        ;     Parent Loop BB125_11 Depth=2
                                        ;       Parent Loop BB125_13 Depth=3
                                        ; =>      This Inner Loop Header: Depth=4
	s_waitcnt lgkmcnt(0)
	v_add_f64 v[25:26], v[17:18], v[13:14]
	ds_cmpstore_rtn_b64 v[25:26], v24, v[25:26], v[17:18]
	s_waitcnt lgkmcnt(0)
	v_cmp_eq_u64_e32 vcc_lo, v[25:26], v[17:18]
	v_dual_mov_b32 v17, v25 :: v_dual_mov_b32 v18, v26
	s_or_b32 s30, vcc_lo, s30
	s_delay_alu instid0(SALU_CYCLE_1)
	s_and_not1_b32 exec_lo, exec_lo, s30
	s_cbranch_execnz .LBB125_25
; %bb.26:                               ;   in Loop: Header=BB125_13 Depth=3
	s_or_b32 exec_lo, exec_lo, s30
	s_delay_alu instid0(SALU_CYCLE_1)
	s_and_not1_b32 s29, s29, exec_lo
	s_branch .LBB125_12
.LBB125_27:
	s_or_b32 exec_lo, exec_lo, s15
.LBB125_28:
	s_clause 0x1
	s_load_b64 s[28:29], s[0:1], 0x80
	s_load_b128 s[20:23], s[0:1], 0x70
	s_and_not1_b32 vcc_lo, exec_lo, s14
	s_cbranch_vccnz .LBB125_49
; %bb.29:
	s_load_b64 s[2:3], s[0:1], 0x58
	s_waitcnt lgkmcnt(0)
	s_lshl_b64 s[4:5], s[26:27], 3
	s_delay_alu instid0(SALU_CYCLE_1) | instskip(SKIP_3) | instid1(VALU_DEP_1)
	s_add_u32 s2, s2, s4
	s_addc_u32 s3, s3, s5
	s_load_b128 s[4:7], s[2:3], 0x0
	v_sub_co_u32 v3, s2, v0, s19
	v_sub_co_ci_u32_e64 v4, null, 0, 0, s2
	s_waitcnt lgkmcnt(0)
	s_delay_alu instid0(VALU_DEP_2) | instskip(NEXT) | instid1(VALU_DEP_2)
	v_add_co_u32 v3, vcc_lo, s4, v3
	v_add_co_ci_u32_e32 v4, vcc_lo, s5, v4, vcc_lo
	s_sub_u32 s4, s6, s19
	s_subb_u32 s5, s7, 0
	s_mov_b32 s6, 0
	s_mov_b32 s7, exec_lo
	v_cmpx_gt_i64_e64 s[4:5], v[3:4]
	s_cbranch_execz .LBB125_48
; %bb.30:
	s_load_b128 s[0:3], s[0:1], 0x60
	s_mov_b32 s8, s19
	s_branch .LBB125_32
.LBB125_31:                             ;   in Loop: Header=BB125_32 Depth=1
	s_or_b32 exec_lo, exec_lo, s9
	v_add_co_u32 v3, vcc_lo, 0x400, v3
	v_add_co_ci_u32_e32 v4, vcc_lo, 0, v4, vcc_lo
	s_delay_alu instid0(VALU_DEP_1) | instskip(SKIP_1) | instid1(SALU_CYCLE_1)
	v_cmp_le_i64_e32 vcc_lo, s[4:5], v[3:4]
	s_or_b32 s6, vcc_lo, s6
	s_and_not1_b32 exec_lo, exec_lo, s6
	s_cbranch_execz .LBB125_48
.LBB125_32:                             ; =>This Loop Header: Depth=1
                                        ;     Child Loop BB125_34 Depth 2
                                        ;       Child Loop BB125_40 Depth 3
                                        ;       Child Loop BB125_46 Depth 3
	v_lshlrev_b64 v[5:6], 3, v[3:4]
	s_mov_b32 s9, 0
	s_waitcnt lgkmcnt(0)
	s_delay_alu instid0(VALU_DEP_1) | instskip(NEXT) | instid1(VALU_DEP_2)
	v_add_co_u32 v7, vcc_lo, s2, v5
	v_add_co_ci_u32_e32 v8, vcc_lo, s3, v6, vcc_lo
	v_add_co_u32 v5, vcc_lo, s0, v5
	v_add_co_ci_u32_e32 v6, vcc_lo, s1, v6, vcc_lo
	global_load_b64 v[7:8], v[7:8], off
	global_load_b64 v[9:10], v[5:6], off
	s_waitcnt vmcnt(1)
	v_mul_f64 v[5:6], v[1:2], v[7:8]
	s_waitcnt vmcnt(0)
	v_sub_co_u32 v7, vcc_lo, v9, s8
	v_subrev_co_ci_u32_e32 v8, vcc_lo, 0, v10, vcc_lo
	s_delay_alu instid0(VALU_DEP_2) | instskip(NEXT) | instid1(VALU_DEP_1)
	v_mul_lo_u32 v9, 0x89, v7
	v_and_b32_e32 v11, 0x1fff, v9
	s_branch .LBB125_34
.LBB125_33:                             ;   in Loop: Header=BB125_34 Depth=2
	s_or_b32 exec_lo, exec_lo, s10
	s_xor_b32 s10, s11, -1
	s_delay_alu instid0(SALU_CYCLE_1) | instskip(NEXT) | instid1(SALU_CYCLE_1)
	s_and_b32 s10, exec_lo, s10
	s_or_b32 s9, s10, s9
	s_delay_alu instid0(SALU_CYCLE_1)
	s_and_not1_b32 exec_lo, exec_lo, s9
	s_cbranch_execz .LBB125_31
.LBB125_34:                             ;   Parent Loop BB125_32 Depth=1
                                        ; =>  This Loop Header: Depth=2
                                        ;       Child Loop BB125_40 Depth 3
                                        ;       Child Loop BB125_46 Depth 3
	s_delay_alu instid0(VALU_DEP_1)
	v_lshl_add_u32 v12, v11, 3, 0
	s_mov_b32 s10, exec_lo
                                        ; implicit-def: $sgpr11
	ds_load_b64 v[9:10], v12
	s_waitcnt lgkmcnt(0)
	v_cmpx_ne_u64_e64 v[9:10], v[7:8]
	s_xor_b32 s10, exec_lo, s10
	s_cbranch_execz .LBB125_44
; %bb.35:                               ;   in Loop: Header=BB125_34 Depth=2
	s_mov_b32 s12, exec_lo
                                        ; implicit-def: $sgpr11
	v_cmpx_ne_u64_e64 s[24:25], v[9:10]
	s_xor_b32 s12, exec_lo, s12
; %bb.36:                               ;   in Loop: Header=BB125_34 Depth=2
	v_add_nc_u32_e32 v9, 1, v11
	s_mov_b32 s11, -1
                                        ; implicit-def: $vgpr12
	s_delay_alu instid0(VALU_DEP_1)
	v_and_b32_e32 v11, 0x1fff, v9
; %bb.37:                               ;   in Loop: Header=BB125_34 Depth=2
	s_and_not1_saveexec_b32 s12, s12
	s_cbranch_execz .LBB125_43
; %bb.38:                               ;   in Loop: Header=BB125_34 Depth=2
	v_dual_mov_b32 v9, s24 :: v_dual_mov_b32 v10, s25
	s_mov_b32 s14, -1
	s_mov_b32 s13, exec_lo
	ds_cmpstore_rtn_b64 v[9:10], v12, v[7:8], v[9:10]
	s_waitcnt lgkmcnt(0)
	v_cmpx_eq_u64_e64 s[24:25], v[9:10]
	s_cbranch_execz .LBB125_42
; %bb.39:                               ;   in Loop: Header=BB125_34 Depth=2
	v_lshlrev_b32_e32 v9, 3, v11
	s_mov_b32 s14, 0
	s_delay_alu instid0(VALU_DEP_1)
	v_add3_u32 v12, 0, v9, 0x10000
	ds_load_b64 v[9:10], v12
.LBB125_40:                             ;   Parent Loop BB125_32 Depth=1
                                        ;     Parent Loop BB125_34 Depth=2
                                        ; =>    This Inner Loop Header: Depth=3
	s_waitcnt lgkmcnt(0)
	v_add_f64 v[13:14], v[9:10], v[5:6]
	ds_cmpstore_rtn_b64 v[13:14], v12, v[13:14], v[9:10]
	s_waitcnt lgkmcnt(0)
	v_cmp_eq_u64_e32 vcc_lo, v[13:14], v[9:10]
	v_dual_mov_b32 v9, v13 :: v_dual_mov_b32 v10, v14
	s_or_b32 s14, vcc_lo, s14
	s_delay_alu instid0(SALU_CYCLE_1)
	s_and_not1_b32 exec_lo, exec_lo, s14
	s_cbranch_execnz .LBB125_40
; %bb.41:                               ;   in Loop: Header=BB125_34 Depth=2
	s_or_b32 exec_lo, exec_lo, s14
	s_delay_alu instid0(SALU_CYCLE_1)
	s_xor_b32 s14, exec_lo, -1
.LBB125_42:                             ;   in Loop: Header=BB125_34 Depth=2
	s_or_b32 exec_lo, exec_lo, s13
	s_delay_alu instid0(SALU_CYCLE_1) | instskip(SKIP_1) | instid1(SALU_CYCLE_1)
	s_and_not1_b32 s11, s11, exec_lo
	s_and_b32 s13, s14, exec_lo
	s_or_b32 s11, s11, s13
.LBB125_43:                             ;   in Loop: Header=BB125_34 Depth=2
	s_or_b32 exec_lo, exec_lo, s12
	s_delay_alu instid0(SALU_CYCLE_1)
	s_and_b32 s11, s11, exec_lo
.LBB125_44:                             ;   in Loop: Header=BB125_34 Depth=2
	s_and_not1_saveexec_b32 s10, s10
	s_cbranch_execz .LBB125_33
; %bb.45:                               ;   in Loop: Header=BB125_34 Depth=2
	v_lshlrev_b32_e32 v9, 3, v11
	s_mov_b32 s12, 0
	s_delay_alu instid0(VALU_DEP_1)
	v_add3_u32 v12, 0, v9, 0x10000
	ds_load_b64 v[9:10], v12
.LBB125_46:                             ;   Parent Loop BB125_32 Depth=1
                                        ;     Parent Loop BB125_34 Depth=2
                                        ; =>    This Inner Loop Header: Depth=3
	s_waitcnt lgkmcnt(0)
	v_add_f64 v[13:14], v[9:10], v[5:6]
	ds_cmpstore_rtn_b64 v[13:14], v12, v[13:14], v[9:10]
	s_waitcnt lgkmcnt(0)
	v_cmp_eq_u64_e32 vcc_lo, v[13:14], v[9:10]
	v_dual_mov_b32 v9, v13 :: v_dual_mov_b32 v10, v14
	s_or_b32 s12, vcc_lo, s12
	s_delay_alu instid0(SALU_CYCLE_1)
	s_and_not1_b32 exec_lo, exec_lo, s12
	s_cbranch_execnz .LBB125_46
; %bb.47:                               ;   in Loop: Header=BB125_34 Depth=2
	s_or_b32 exec_lo, exec_lo, s12
	s_delay_alu instid0(SALU_CYCLE_1)
	s_and_not1_b32 s11, s11, exec_lo
	s_branch .LBB125_33
.LBB125_48:
	s_or_b32 exec_lo, exec_lo, s7
.LBB125_49:
	v_mbcnt_lo_u32_b32 v1, -1, 0
	v_dual_mov_b32 v5, 0 :: v_dual_lshlrev_b32 v2, 3, v20
	s_add_i32 s41, 0, 0x20078
	v_cmp_eq_u32_e32 vcc_lo, 0x3ff, v0
	s_delay_alu instid0(VALU_DEP_3) | instskip(NEXT) | instid1(VALU_DEP_3)
	v_xor_b32_e32 v1, 63, v1
	v_add3_u32 v12, 0, 0x20000, v2
	v_cmp_lt_u32_e64 s0, 63, v0
	v_cmp_lt_u32_e64 s1, 0x7f, v0
	v_cmp_lt_u32_e64 s2, 0xbf, v0
	v_lshrrev_b64 v[1:2], v1, -1
	v_mov_b32_e32 v2, 0
	v_cmp_lt_u32_e64 s3, 0xff, v0
	v_cmp_lt_u32_e64 s4, 0x13f, v0
	;; [unrolled: 1-line block ×12, first 2 shown]
	v_or_b32_e32 v13, 0xfffffc00, v0
	v_dual_mov_b32 v3, 0 :: v_dual_mov_b32 v14, s41
	s_mov_b32 s17, 0
	s_add_i32 s19, 0, 0x20000
	s_add_i32 s30, 0, 0x20008
	;; [unrolled: 1-line block ×15, first 2 shown]
	s_waitcnt lgkmcnt(0)
	s_barrier
	buffer_gl0_inv
	s_branch .LBB125_51
.LBB125_50:                             ;   in Loop: Header=BB125_51 Depth=1
	s_or_b32 exec_lo, exec_lo, s15
	s_waitcnt lgkmcnt(0)
	s_barrier
	buffer_gl0_inv
	ds_load_b64 v[6:7], v14
	v_add_nc_u32_e32 v13, 0x400, v13
	v_add_nc_u32_e32 v19, 0x2000, v19
	s_delay_alu instid0(VALU_DEP_2) | instskip(NEXT) | instid1(VALU_DEP_1)
	v_cmp_lt_u32_e64 s15, 0x1bff, v13
	s_or_b32 s17, s15, s17
	s_waitcnt lgkmcnt(0)
	v_add_co_u32 v2, s16, v6, v2
	s_delay_alu instid0(VALU_DEP_1)
	v_add_co_ci_u32_e64 v3, s16, v7, v3, s16
	s_and_not1_b32 exec_lo, exec_lo, s17
	s_cbranch_execz .LBB125_85
.LBB125_51:                             ; =>This Inner Loop Header: Depth=1
	ds_load_b64 v[6:7], v19
	v_add_nc_u32_e32 v4, 0x10000, v19
	ds_load_b64 v[8:9], v4
	s_waitcnt lgkmcnt(0)
	s_barrier
	buffer_gl0_inv
	v_cmp_gt_i64_e64 s15, s[24:25], v[6:7]
	s_delay_alu instid0(VALU_DEP_1) | instskip(SKIP_1) | instid1(SALU_CYCLE_1)
	v_and_b32_e32 v10, s15, v1
	s_bcnt1_i32_b32 s16, s15
	v_mov_b32_e32 v4, s16
	s_delay_alu instid0(VALU_DEP_2)
	v_bcnt_u32_b32 v10, v10, 0
	ds_store_b64 v12, v[4:5]
	s_waitcnt lgkmcnt(0)
	s_barrier
	buffer_gl0_inv
	s_and_saveexec_b32 s16, s0
	s_cbranch_execnz .LBB125_68
; %bb.52:                               ;   in Loop: Header=BB125_51 Depth=1
	s_or_b32 exec_lo, exec_lo, s16
	s_and_saveexec_b32 s16, s1
	s_cbranch_execnz .LBB125_69
.LBB125_53:                             ;   in Loop: Header=BB125_51 Depth=1
	s_or_b32 exec_lo, exec_lo, s16
	s_and_saveexec_b32 s16, s2
	s_cbranch_execnz .LBB125_70
.LBB125_54:                             ;   in Loop: Header=BB125_51 Depth=1
	s_or_b32 exec_lo, exec_lo, s16
	s_and_saveexec_b32 s16, s3
	s_cbranch_execnz .LBB125_71
.LBB125_55:                             ;   in Loop: Header=BB125_51 Depth=1
	s_or_b32 exec_lo, exec_lo, s16
	s_and_saveexec_b32 s16, s4
	s_cbranch_execnz .LBB125_72
.LBB125_56:                             ;   in Loop: Header=BB125_51 Depth=1
	s_or_b32 exec_lo, exec_lo, s16
	s_and_saveexec_b32 s16, s5
	s_cbranch_execnz .LBB125_73
.LBB125_57:                             ;   in Loop: Header=BB125_51 Depth=1
	s_or_b32 exec_lo, exec_lo, s16
	s_and_saveexec_b32 s16, s6
	s_cbranch_execnz .LBB125_74
.LBB125_58:                             ;   in Loop: Header=BB125_51 Depth=1
	s_or_b32 exec_lo, exec_lo, s16
	s_and_saveexec_b32 s16, s7
	s_cbranch_execnz .LBB125_75
.LBB125_59:                             ;   in Loop: Header=BB125_51 Depth=1
	s_or_b32 exec_lo, exec_lo, s16
	s_and_saveexec_b32 s16, s8
	s_cbranch_execnz .LBB125_76
.LBB125_60:                             ;   in Loop: Header=BB125_51 Depth=1
	s_or_b32 exec_lo, exec_lo, s16
	s_and_saveexec_b32 s16, s9
	s_cbranch_execnz .LBB125_77
.LBB125_61:                             ;   in Loop: Header=BB125_51 Depth=1
	s_or_b32 exec_lo, exec_lo, s16
	s_and_saveexec_b32 s16, s10
	s_cbranch_execnz .LBB125_78
.LBB125_62:                             ;   in Loop: Header=BB125_51 Depth=1
	s_or_b32 exec_lo, exec_lo, s16
	s_and_saveexec_b32 s16, s11
	s_cbranch_execnz .LBB125_79
.LBB125_63:                             ;   in Loop: Header=BB125_51 Depth=1
	s_or_b32 exec_lo, exec_lo, s16
	s_and_saveexec_b32 s16, s12
	s_cbranch_execnz .LBB125_80
.LBB125_64:                             ;   in Loop: Header=BB125_51 Depth=1
	s_or_b32 exec_lo, exec_lo, s16
	s_and_saveexec_b32 s16, s13
	s_cbranch_execnz .LBB125_81
.LBB125_65:                             ;   in Loop: Header=BB125_51 Depth=1
	s_or_b32 exec_lo, exec_lo, s16
	s_and_saveexec_b32 s16, s14
	s_cbranch_execnz .LBB125_82
.LBB125_66:                             ;   in Loop: Header=BB125_51 Depth=1
	s_or_b32 exec_lo, exec_lo, s16
	v_ashrrev_i32_e32 v11, 31, v10
	s_and_saveexec_b32 s16, s15
	s_cbranch_execnz .LBB125_83
.LBB125_67:                             ;   in Loop: Header=BB125_51 Depth=1
	s_or_b32 exec_lo, exec_lo, s16
	s_and_saveexec_b32 s15, vcc_lo
	s_cbranch_execz .LBB125_50
	s_branch .LBB125_84
.LBB125_68:                             ;   in Loop: Header=BB125_51 Depth=1
	v_mov_b32_e32 v4, s19
	ds_load_b32 v4, v4
	s_waitcnt lgkmcnt(0)
	v_add_nc_u32_e32 v10, v4, v10
	s_or_b32 exec_lo, exec_lo, s16
	s_and_saveexec_b32 s16, s1
	s_cbranch_execz .LBB125_53
.LBB125_69:                             ;   in Loop: Header=BB125_51 Depth=1
	v_mov_b32_e32 v4, s30
	ds_load_b32 v4, v4
	s_waitcnt lgkmcnt(0)
	v_add_nc_u32_e32 v10, v10, v4
	s_or_b32 exec_lo, exec_lo, s16
	s_and_saveexec_b32 s16, s2
	s_cbranch_execz .LBB125_54
.LBB125_70:                             ;   in Loop: Header=BB125_51 Depth=1
	v_mov_b32_e32 v4, s31
	ds_load_b32 v4, v4
	s_waitcnt lgkmcnt(0)
	v_add_nc_u32_e32 v10, v10, v4
	s_or_b32 exec_lo, exec_lo, s16
	s_and_saveexec_b32 s16, s3
	s_cbranch_execz .LBB125_55
.LBB125_71:                             ;   in Loop: Header=BB125_51 Depth=1
	v_mov_b32_e32 v4, s33
	ds_load_b32 v4, v4
	s_waitcnt lgkmcnt(0)
	v_add_nc_u32_e32 v10, v10, v4
	s_or_b32 exec_lo, exec_lo, s16
	s_and_saveexec_b32 s16, s4
	s_cbranch_execz .LBB125_56
.LBB125_72:                             ;   in Loop: Header=BB125_51 Depth=1
	v_mov_b32_e32 v4, s34
	ds_load_b32 v4, v4
	s_waitcnt lgkmcnt(0)
	v_add_nc_u32_e32 v10, v10, v4
	s_or_b32 exec_lo, exec_lo, s16
	s_and_saveexec_b32 s16, s5
	s_cbranch_execz .LBB125_57
.LBB125_73:                             ;   in Loop: Header=BB125_51 Depth=1
	v_mov_b32_e32 v4, s35
	ds_load_b32 v4, v4
	s_waitcnt lgkmcnt(0)
	v_add_nc_u32_e32 v10, v10, v4
	s_or_b32 exec_lo, exec_lo, s16
	s_and_saveexec_b32 s16, s6
	s_cbranch_execz .LBB125_58
.LBB125_74:                             ;   in Loop: Header=BB125_51 Depth=1
	v_mov_b32_e32 v4, s36
	ds_load_b32 v4, v4
	s_waitcnt lgkmcnt(0)
	v_add_nc_u32_e32 v10, v10, v4
	s_or_b32 exec_lo, exec_lo, s16
	s_and_saveexec_b32 s16, s7
	s_cbranch_execz .LBB125_59
.LBB125_75:                             ;   in Loop: Header=BB125_51 Depth=1
	v_mov_b32_e32 v4, s37
	ds_load_b32 v4, v4
	s_waitcnt lgkmcnt(0)
	v_add_nc_u32_e32 v10, v10, v4
	s_or_b32 exec_lo, exec_lo, s16
	s_and_saveexec_b32 s16, s8
	s_cbranch_execz .LBB125_60
.LBB125_76:                             ;   in Loop: Header=BB125_51 Depth=1
	v_mov_b32_e32 v4, s38
	ds_load_b32 v4, v4
	s_waitcnt lgkmcnt(0)
	v_add_nc_u32_e32 v10, v10, v4
	s_or_b32 exec_lo, exec_lo, s16
	s_and_saveexec_b32 s16, s9
	s_cbranch_execz .LBB125_61
.LBB125_77:                             ;   in Loop: Header=BB125_51 Depth=1
	v_mov_b32_e32 v4, s39
	ds_load_b32 v4, v4
	s_waitcnt lgkmcnt(0)
	v_add_nc_u32_e32 v10, v10, v4
	s_or_b32 exec_lo, exec_lo, s16
	s_and_saveexec_b32 s16, s10
	s_cbranch_execz .LBB125_62
.LBB125_78:                             ;   in Loop: Header=BB125_51 Depth=1
	v_mov_b32_e32 v4, s40
	ds_load_b32 v4, v4
	s_waitcnt lgkmcnt(0)
	v_add_nc_u32_e32 v10, v10, v4
	s_or_b32 exec_lo, exec_lo, s16
	s_and_saveexec_b32 s16, s11
	s_cbranch_execz .LBB125_63
.LBB125_79:                             ;   in Loop: Header=BB125_51 Depth=1
	v_mov_b32_e32 v4, s42
	ds_load_b32 v4, v4
	s_waitcnt lgkmcnt(0)
	v_add_nc_u32_e32 v10, v10, v4
	s_or_b32 exec_lo, exec_lo, s16
	s_and_saveexec_b32 s16, s12
	s_cbranch_execz .LBB125_64
.LBB125_80:                             ;   in Loop: Header=BB125_51 Depth=1
	v_mov_b32_e32 v4, s43
	ds_load_b32 v4, v4
	s_waitcnt lgkmcnt(0)
	v_add_nc_u32_e32 v10, v10, v4
	s_or_b32 exec_lo, exec_lo, s16
	s_and_saveexec_b32 s16, s13
	s_cbranch_execz .LBB125_65
.LBB125_81:                             ;   in Loop: Header=BB125_51 Depth=1
	v_mov_b32_e32 v4, s44
	ds_load_b32 v4, v4
	s_waitcnt lgkmcnt(0)
	v_add_nc_u32_e32 v10, v10, v4
	s_or_b32 exec_lo, exec_lo, s16
	s_and_saveexec_b32 s16, s14
	s_cbranch_execz .LBB125_66
.LBB125_82:                             ;   in Loop: Header=BB125_51 Depth=1
	v_mov_b32_e32 v4, s45
	ds_load_b32 v4, v4
	s_waitcnt lgkmcnt(0)
	v_add_nc_u32_e32 v10, v10, v4
	s_or_b32 exec_lo, exec_lo, s16
	s_delay_alu instid0(VALU_DEP_1)
	v_ashrrev_i32_e32 v11, 31, v10
	s_and_saveexec_b32 s16, s15
	s_cbranch_execz .LBB125_67
.LBB125_83:                             ;   in Loop: Header=BB125_51 Depth=1
	v_add3_u32 v4, v2, -1, v10
	s_delay_alu instid0(VALU_DEP_1) | instskip(NEXT) | instid1(VALU_DEP_1)
	v_lshl_add_u32 v4, v4, 3, 0
	v_add_nc_u32_e32 v15, 0x10000, v4
	ds_store_b64 v4, v[6:7]
	ds_store_b64 v15, v[8:9]
	s_or_b32 exec_lo, exec_lo, s16
	s_and_saveexec_b32 s15, vcc_lo
	s_cbranch_execz .LBB125_50
.LBB125_84:                             ;   in Loop: Header=BB125_51 Depth=1
	v_mov_b32_e32 v4, s41
	ds_store_b64 v4, v[10:11]
	s_branch .LBB125_50
.LBB125_85:
	s_or_b32 exec_lo, exec_lo, s17
	s_lshl_b64 s[0:1], s[26:27], 3
	v_mov_b32_e32 v1, 0
	s_add_u32 s0, s20, s0
	s_addc_u32 s1, s21, s1
	s_mov_b32 s6, exec_lo
	s_load_b128 s[0:3], s[0:1], 0x0
	s_waitcnt lgkmcnt(0)
	s_sub_u32 s4, s2, s0
	s_subb_u32 s5, s3, s1
	s_delay_alu instid0(SALU_CYCLE_1)
	v_cmpx_gt_i64_e64 s[4:5], v[0:1]
	s_cbranch_execz .LBB125_95
; %bb.86:
	s_sub_u32 s8, s0, s18
	s_subb_u32 s9, s1, 0
	s_and_b32 s6, s4, 7
	s_sub_u32 s0, s0, s2
	s_subb_u32 s1, s1, s3
	s_mov_b32 s7, 0
	v_cmp_lt_u64_e64 s12, s[0:1], -7
	s_and_b32 s2, s4, -8
	s_cmp_lg_u64 s[6:7], 0
	s_mov_b32 s3, s5
	s_cselect_b32 s13, -1, 0
	s_mov_b32 s14, s7
	s_branch .LBB125_88
.LBB125_87:                             ;   in Loop: Header=BB125_88 Depth=1
	s_waitcnt lgkmcnt(1)
	v_add_co_u32 v4, vcc_lo, v4, s18
	v_lshlrev_b64 v[6:7], 3, v[6:7]
	v_add_co_ci_u32_e32 v5, vcc_lo, 0, v5, vcc_lo
	v_add_co_u32 v0, vcc_lo, 0x400, v0
	v_add_co_ci_u32_e32 v1, vcc_lo, 0, v1, vcc_lo
	s_delay_alu instid0(VALU_DEP_4) | instskip(SKIP_1) | instid1(VALU_DEP_3)
	v_add_co_u32 v8, vcc_lo, s22, v6
	v_add_co_ci_u32_e32 v9, vcc_lo, s23, v7, vcc_lo
	v_cmp_le_i64_e32 vcc_lo, s[4:5], v[0:1]
	v_add_co_u32 v6, s0, s28, v6
	s_delay_alu instid0(VALU_DEP_1) | instskip(SKIP_4) | instid1(SALU_CYCLE_1)
	v_add_co_ci_u32_e64 v7, s0, s29, v7, s0
	global_store_b64 v[8:9], v[4:5], off
	s_waitcnt lgkmcnt(0)
	global_store_b64 v[6:7], v[2:3], off
	s_or_b32 s14, vcc_lo, s14
	s_and_not1_b32 exec_lo, exec_lo, s14
	s_cbranch_execz .LBB125_95
.LBB125_88:                             ; =>This Loop Header: Depth=1
                                        ;     Child Loop BB125_90 Depth 2
                                        ;     Child Loop BB125_94 Depth 2
	v_lshl_add_u32 v2, v0, 3, 0
	s_and_not1_b32 vcc_lo, exec_lo, s12
	s_mov_b64 s[0:1], 0
	v_dual_mov_b32 v6, s8 :: v_dual_mov_b32 v7, s9
	s_delay_alu instid0(VALU_DEP_2)
	v_add_nc_u32_e32 v3, 0x10000, v2
	ds_load_b64 v[4:5], v2
	ds_load_b64 v[2:3], v3
	s_cbranch_vccnz .LBB125_92
; %bb.89:                               ;   in Loop: Header=BB125_88 Depth=1
	v_dual_mov_b32 v6, s8 :: v_dual_mov_b32 v7, s9
	s_mov_b64 s[10:11], 0
	s_mov_b32 s1, 0
.LBB125_90:                             ;   Parent Loop BB125_88 Depth=1
                                        ; =>  This Inner Loop Header: Depth=2
	s_delay_alu instid0(SALU_CYCLE_1)
	v_mov_b32_e32 v20, s1
	s_add_u32 s10, s10, 8
	s_addc_u32 s11, s11, 0
	s_add_i32 s1, s1, 64
	s_cmp_eq_u64 s[2:3], s[10:11]
	ds_load_2addr_b64 v[8:11], v20 offset1:1
	ds_load_2addr_b64 v[12:15], v20 offset0:2 offset1:3
	ds_load_2addr_b64 v[16:19], v20 offset0:4 offset1:5
	;; [unrolled: 1-line block ×3, first 2 shown]
	s_waitcnt lgkmcnt(3)
	v_cmp_gt_i64_e32 vcc_lo, v[4:5], v[8:9]
	v_cndmask_b32_e64 v8, 0, 1, vcc_lo
	v_cmp_gt_i64_e32 vcc_lo, v[4:5], v[10:11]
	v_cndmask_b32_e64 v9, 0, 1, vcc_lo
	s_waitcnt lgkmcnt(2)
	v_cmp_gt_i64_e32 vcc_lo, v[4:5], v[12:13]
	v_cndmask_b32_e64 v10, 0, 1, vcc_lo
	v_cmp_gt_i64_e32 vcc_lo, v[4:5], v[14:15]
	v_cndmask_b32_e64 v11, 0, 1, vcc_lo
	s_waitcnt lgkmcnt(1)
	v_cmp_gt_i64_e32 vcc_lo, v[4:5], v[16:17]
	v_cndmask_b32_e64 v12, 0, 1, vcc_lo
	v_add_co_u32 v6, vcc_lo, v6, v8
	v_add_co_ci_u32_e32 v7, vcc_lo, 0, v7, vcc_lo
	v_cmp_gt_i64_e32 vcc_lo, v[4:5], v[18:19]
	s_delay_alu instid0(VALU_DEP_3) | instskip(NEXT) | instid1(VALU_DEP_1)
	v_add_co_u32 v6, s0, v6, v9
	v_add_co_ci_u32_e64 v7, s0, 0, v7, s0
	v_cndmask_b32_e64 v8, 0, 1, vcc_lo
	s_delay_alu instid0(VALU_DEP_3) | instskip(NEXT) | instid1(VALU_DEP_3)
	v_add_co_u32 v6, vcc_lo, v6, v10
	v_add_co_ci_u32_e32 v7, vcc_lo, 0, v7, vcc_lo
	s_waitcnt lgkmcnt(0)
	v_cmp_gt_i64_e32 vcc_lo, v[4:5], v[20:21]
	s_delay_alu instid0(VALU_DEP_3) | instskip(NEXT) | instid1(VALU_DEP_1)
	v_add_co_u32 v6, s0, v6, v11
	v_add_co_ci_u32_e64 v7, s0, 0, v7, s0
	v_cndmask_b32_e64 v9, 0, 1, vcc_lo
	s_delay_alu instid0(VALU_DEP_3) | instskip(NEXT) | instid1(VALU_DEP_3)
	v_add_co_u32 v6, vcc_lo, v6, v12
	v_add_co_ci_u32_e32 v7, vcc_lo, 0, v7, vcc_lo
	v_cmp_gt_i64_e32 vcc_lo, v[4:5], v[22:23]
	s_delay_alu instid0(VALU_DEP_3) | instskip(NEXT) | instid1(VALU_DEP_1)
	v_add_co_u32 v6, s0, v6, v8
	v_add_co_ci_u32_e64 v7, s0, 0, v7, s0
	v_cndmask_b32_e64 v8, 0, 1, vcc_lo
	s_delay_alu instid0(VALU_DEP_3) | instskip(NEXT) | instid1(VALU_DEP_3)
	v_add_co_u32 v6, vcc_lo, v6, v9
	v_add_co_ci_u32_e32 v7, vcc_lo, 0, v7, vcc_lo
	s_delay_alu instid0(VALU_DEP_2) | instskip(NEXT) | instid1(VALU_DEP_2)
	v_add_co_u32 v6, vcc_lo, v6, v8
	v_add_co_ci_u32_e32 v7, vcc_lo, 0, v7, vcc_lo
	s_cbranch_scc0 .LBB125_90
; %bb.91:                               ;   in Loop: Header=BB125_88 Depth=1
	s_mov_b64 s[0:1], s[2:3]
.LBB125_92:                             ;   in Loop: Header=BB125_88 Depth=1
	s_and_not1_b32 vcc_lo, exec_lo, s13
	s_cbranch_vccnz .LBB125_87
; %bb.93:                               ;   in Loop: Header=BB125_88 Depth=1
	s_lshl_b32 s0, s0, 3
	s_delay_alu instid0(SALU_CYCLE_1)
	s_add_i32 s10, s0, 0
	s_mov_b64 s[0:1], s[6:7]
.LBB125_94:                             ;   Parent Loop BB125_88 Depth=1
                                        ; =>  This Inner Loop Header: Depth=2
	v_mov_b32_e32 v8, s10
	s_add_i32 s10, s10, 8
	s_add_u32 s0, s0, -1
	s_addc_u32 s1, s1, -1
	s_delay_alu instid0(SALU_CYCLE_1) | instskip(SKIP_4) | instid1(VALU_DEP_1)
	s_cmp_lg_u64 s[0:1], 0
	ds_load_b64 v[8:9], v8
	s_waitcnt lgkmcnt(0)
	v_cmp_gt_i64_e32 vcc_lo, v[4:5], v[8:9]
	v_cndmask_b32_e64 v8, 0, 1, vcc_lo
	v_add_co_u32 v6, vcc_lo, v6, v8
	v_add_co_ci_u32_e32 v7, vcc_lo, 0, v7, vcc_lo
	s_cbranch_scc1 .LBB125_94
	s_branch .LBB125_87
.LBB125_95:
	s_nop 0
	s_sendmsg sendmsg(MSG_DEALLOC_VGPRS)
	s_endpgm
	.section	.rodata,"a",@progbits
	.p2align	6, 0x0
	.amdhsa_kernel _ZN9rocsparseL26csrgemm_fill_block_per_rowILj1024ELj64ELj8192ELj137ELj64ElldEEvT5_PKS1_S3_NS_24const_host_device_scalarIT6_EEPKT4_S3_PKS5_S9_S3_SB_S6_S9_S3_SB_S9_PS1_PS5_21rocsparse_index_base_SE_SE_SE_bbb
		.amdhsa_group_segment_fixed_size 0
		.amdhsa_private_segment_fixed_size 0
		.amdhsa_kernarg_size 156
		.amdhsa_user_sgpr_count 15
		.amdhsa_user_sgpr_dispatch_ptr 0
		.amdhsa_user_sgpr_queue_ptr 0
		.amdhsa_user_sgpr_kernarg_segment_ptr 1
		.amdhsa_user_sgpr_dispatch_id 0
		.amdhsa_user_sgpr_private_segment_size 0
		.amdhsa_wavefront_size32 1
		.amdhsa_uses_dynamic_stack 0
		.amdhsa_enable_private_segment 0
		.amdhsa_system_sgpr_workgroup_id_x 1
		.amdhsa_system_sgpr_workgroup_id_y 0
		.amdhsa_system_sgpr_workgroup_id_z 0
		.amdhsa_system_sgpr_workgroup_info 0
		.amdhsa_system_vgpr_workitem_id 0
		.amdhsa_next_free_vgpr 27
		.amdhsa_next_free_sgpr 46
		.amdhsa_reserve_vcc 1
		.amdhsa_float_round_mode_32 0
		.amdhsa_float_round_mode_16_64 0
		.amdhsa_float_denorm_mode_32 3
		.amdhsa_float_denorm_mode_16_64 3
		.amdhsa_dx10_clamp 1
		.amdhsa_ieee_mode 1
		.amdhsa_fp16_overflow 0
		.amdhsa_workgroup_processor_mode 1
		.amdhsa_memory_ordered 1
		.amdhsa_forward_progress 0
		.amdhsa_shared_vgpr_count 0
		.amdhsa_exception_fp_ieee_invalid_op 0
		.amdhsa_exception_fp_denorm_src 0
		.amdhsa_exception_fp_ieee_div_zero 0
		.amdhsa_exception_fp_ieee_overflow 0
		.amdhsa_exception_fp_ieee_underflow 0
		.amdhsa_exception_fp_ieee_inexact 0
		.amdhsa_exception_int_div_zero 0
	.end_amdhsa_kernel
	.section	.text._ZN9rocsparseL26csrgemm_fill_block_per_rowILj1024ELj64ELj8192ELj137ELj64ElldEEvT5_PKS1_S3_NS_24const_host_device_scalarIT6_EEPKT4_S3_PKS5_S9_S3_SB_S6_S9_S3_SB_S9_PS1_PS5_21rocsparse_index_base_SE_SE_SE_bbb,"axG",@progbits,_ZN9rocsparseL26csrgemm_fill_block_per_rowILj1024ELj64ELj8192ELj137ELj64ElldEEvT5_PKS1_S3_NS_24const_host_device_scalarIT6_EEPKT4_S3_PKS5_S9_S3_SB_S6_S9_S3_SB_S9_PS1_PS5_21rocsparse_index_base_SE_SE_SE_bbb,comdat
.Lfunc_end125:
	.size	_ZN9rocsparseL26csrgemm_fill_block_per_rowILj1024ELj64ELj8192ELj137ELj64ElldEEvT5_PKS1_S3_NS_24const_host_device_scalarIT6_EEPKT4_S3_PKS5_S9_S3_SB_S6_S9_S3_SB_S9_PS1_PS5_21rocsparse_index_base_SE_SE_SE_bbb, .Lfunc_end125-_ZN9rocsparseL26csrgemm_fill_block_per_rowILj1024ELj64ELj8192ELj137ELj64ElldEEvT5_PKS1_S3_NS_24const_host_device_scalarIT6_EEPKT4_S3_PKS5_S9_S3_SB_S6_S9_S3_SB_S9_PS1_PS5_21rocsparse_index_base_SE_SE_SE_bbb
                                        ; -- End function
	.section	.AMDGPU.csdata,"",@progbits
; Kernel info:
; codeLenInByte = 4152
; NumSgprs: 48
; NumVgprs: 27
; ScratchSize: 0
; MemoryBound: 0
; FloatMode: 240
; IeeeMode: 1
; LDSByteSize: 0 bytes/workgroup (compile time only)
; SGPRBlocks: 5
; VGPRBlocks: 3
; NumSGPRsForWavesPerEU: 48
; NumVGPRsForWavesPerEU: 27
; Occupancy: 16
; WaveLimiterHint : 1
; COMPUTE_PGM_RSRC2:SCRATCH_EN: 0
; COMPUTE_PGM_RSRC2:USER_SGPR: 15
; COMPUTE_PGM_RSRC2:TRAP_HANDLER: 0
; COMPUTE_PGM_RSRC2:TGID_X_EN: 1
; COMPUTE_PGM_RSRC2:TGID_Y_EN: 0
; COMPUTE_PGM_RSRC2:TGID_Z_EN: 0
; COMPUTE_PGM_RSRC2:TIDIG_COMP_CNT: 0
	.section	.text._ZN9rocsparseL26csrgemm_fill_block_per_rowILj1024ELj64ELj16384ELj137ELj32ElldEEvT5_PKS1_S3_NS_24const_host_device_scalarIT6_EEPKT4_S3_PKS5_S9_S3_SB_S6_S9_S3_SB_S9_PS1_PS5_21rocsparse_index_base_SE_SE_SE_bbb,"axG",@progbits,_ZN9rocsparseL26csrgemm_fill_block_per_rowILj1024ELj64ELj16384ELj137ELj32ElldEEvT5_PKS1_S3_NS_24const_host_device_scalarIT6_EEPKT4_S3_PKS5_S9_S3_SB_S6_S9_S3_SB_S9_PS1_PS5_21rocsparse_index_base_SE_SE_SE_bbb,comdat
	.globl	_ZN9rocsparseL26csrgemm_fill_block_per_rowILj1024ELj64ELj16384ELj137ELj32ElldEEvT5_PKS1_S3_NS_24const_host_device_scalarIT6_EEPKT4_S3_PKS5_S9_S3_SB_S6_S9_S3_SB_S9_PS1_PS5_21rocsparse_index_base_SE_SE_SE_bbb ; -- Begin function _ZN9rocsparseL26csrgemm_fill_block_per_rowILj1024ELj64ELj16384ELj137ELj32ElldEEvT5_PKS1_S3_NS_24const_host_device_scalarIT6_EEPKT4_S3_PKS5_S9_S3_SB_S6_S9_S3_SB_S9_PS1_PS5_21rocsparse_index_base_SE_SE_SE_bbb
	.p2align	8
	.type	_ZN9rocsparseL26csrgemm_fill_block_per_rowILj1024ELj64ELj16384ELj137ELj32ElldEEvT5_PKS1_S3_NS_24const_host_device_scalarIT6_EEPKT4_S3_PKS5_S9_S3_SB_S6_S9_S3_SB_S9_PS1_PS5_21rocsparse_index_base_SE_SE_SE_bbb,@function
_ZN9rocsparseL26csrgemm_fill_block_per_rowILj1024ELj64ELj16384ELj137ELj32ElldEEvT5_PKS1_S3_NS_24const_host_device_scalarIT6_EEPKT4_S3_PKS5_S9_S3_SB_S6_S9_S3_SB_S9_PS1_PS5_21rocsparse_index_base_SE_SE_SE_bbb: ; @_ZN9rocsparseL26csrgemm_fill_block_per_rowILj1024ELj64ELj16384ELj137ELj32ElldEEvT5_PKS1_S3_NS_24const_host_device_scalarIT6_EEPKT4_S3_PKS5_S9_S3_SB_S6_S9_S3_SB_S9_PS1_PS5_21rocsparse_index_base_SE_SE_SE_bbb
; %bb.0:
	s_clause 0x3
	s_load_b32 s3, s[0:1], 0x98
	s_load_b64 s[4:5], s[0:1], 0x18
	s_load_b128 s[44:47], s[0:1], 0x88
	s_load_b64 s[20:21], s[0:1], 0x50
	s_mov_b32 s2, s15
	s_waitcnt lgkmcnt(0)
	s_and_b32 s6, 1, s3
	s_bitcmp1_b32 s3, 16
	s_cselect_b32 s24, -1, 0
	s_cmp_eq_u32 s6, 1
	s_cselect_b32 s23, -1, 0
	s_delay_alu instid0(SALU_CYCLE_1)
	s_and_b32 s6, s23, exec_lo
	s_cselect_b32 s7, s5, 0
	s_cselect_b32 s6, s4, 0
	s_xor_b32 s8, s23, -1
	v_dual_mov_b32 v3, s6 :: v_dual_mov_b32 v4, s7
	s_or_b32 s8, s8, s24
	s_delay_alu instid0(SALU_CYCLE_1)
	s_and_b32 vcc_lo, exec_lo, s8
	s_cbranch_vccnz .LBB126_2
; %bb.1:
	v_dual_mov_b32 v1, s4 :: v_dual_mov_b32 v2, s5
	flat_load_b64 v[3:4], v[1:2]
.LBB126_2:
	s_clause 0x4
	s_load_b128 s[48:51], s[0:1], 0x78
	s_load_b256 s[36:43], s[0:1], 0x58
	s_load_b128 s[12:15], s[0:1], 0x40
	s_load_b128 s[16:19], s[0:1], 0x8
	s_load_b256 s[4:11], s[0:1], 0x20
	s_bitcmp1_b32 s3, 8
	s_cselect_b32 s22, -1, 0
	s_delay_alu instid0(SALU_CYCLE_1)
	s_and_b32 s3, s22, exec_lo
	s_cselect_b32 s27, s21, 0
	s_cselect_b32 s26, s20, 0
	s_xor_b32 s3, s22, -1
	v_dual_mov_b32 v1, s26 :: v_dual_mov_b32 v2, s27
	s_or_b32 s3, s3, s24
	s_delay_alu instid0(SALU_CYCLE_1)
	s_and_b32 vcc_lo, exec_lo, s3
	s_cbranch_vccnz .LBB126_4
; %bb.3:
	v_dual_mov_b32 v1, s20 :: v_dual_mov_b32 v2, s21
	flat_load_b64 v[1:2], v[1:2]
.LBB126_4:
	s_load_b64 s[34:35], s[0:1], 0x0
	v_mov_b32_e32 v5, 0
	v_lshl_add_u32 v19, v0, 3, 0
	v_or_b32_e32 v20, 0xfffffc00, v0
	s_mov_b32 s0, 0
	s_delay_alu instid0(VALU_DEP_1)
	v_dual_mov_b32 v9, v19 :: v_dual_mov_b32 v10, v20
	s_waitcnt lgkmcnt(0)
	v_dual_mov_b32 v7, s34 :: v_dual_mov_b32 v8, s35
	v_mov_b32_e32 v6, v5
.LBB126_5:                              ; =>This Inner Loop Header: Depth=1
	s_delay_alu instid0(VALU_DEP_3)
	v_add_nc_u32_e32 v10, 0x400, v10
	v_add_nc_u32_e32 v11, 0x20000, v9
	ds_store_b64 v9, v[7:8]
	v_add_nc_u32_e32 v9, 0x2000, v9
	v_cmp_lt_u32_e32 vcc_lo, 0x3bff, v10
	ds_store_b64 v11, v[5:6]
	s_or_b32 s0, vcc_lo, s0
	s_delay_alu instid0(SALU_CYCLE_1)
	s_and_not1_b32 exec_lo, exec_lo, s0
	s_cbranch_execnz .LBB126_5
; %bb.6:
	s_or_b32 exec_lo, exec_lo, s0
	s_waitcnt vmcnt(0) lgkmcnt(0)
	s_barrier
	buffer_gl0_inv
	s_load_b64 s[0:1], s[16:17], 0x0
	s_mov_b32 s3, 0
	s_waitcnt lgkmcnt(0)
	s_lshl_b64 s[0:1], s[0:1], 3
	s_delay_alu instid0(SALU_CYCLE_1) | instskip(SKIP_2) | instid1(SALU_CYCLE_1)
	s_add_u32 s16, s18, s0
	s_addc_u32 s17, s19, s1
	s_lshl_b64 s[0:1], s[2:3], 3
	s_add_u32 s0, s16, s0
	s_addc_u32 s1, s17, s1
	s_and_b32 vcc_lo, exec_lo, s23
	s_load_b64 s[52:53], s[0:1], 0x0
	s_cbranch_vccz .LBB126_30
; %bb.7:
	s_waitcnt lgkmcnt(0)
	s_lshl_b64 s[0:1], s[52:53], 3
	v_lshrrev_b32_e32 v5, 6, v0
	s_add_u32 s0, s4, s0
	s_addc_u32 s1, s5, s1
	s_load_b128 s[0:3], s[0:1], 0x0
	s_delay_alu instid0(VALU_DEP_1) | instskip(NEXT) | instid1(VALU_DEP_1)
	v_sub_co_u32 v5, s4, v5, s44
	v_sub_co_ci_u32_e64 v6, null, 0, 0, s4
	s_waitcnt lgkmcnt(0)
	s_delay_alu instid0(VALU_DEP_2) | instskip(NEXT) | instid1(VALU_DEP_2)
	v_add_co_u32 v5, vcc_lo, s0, v5
	v_add_co_ci_u32_e32 v6, vcc_lo, s1, v6, vcc_lo
	s_sub_u32 s0, s2, s44
	s_subb_u32 s1, s3, 0
	s_mov_b32 s2, exec_lo
	s_delay_alu instid0(VALU_DEP_1)
	v_cmpx_gt_i64_e64 s[0:1], v[5:6]
	s_cbranch_execz .LBB126_29
; %bb.8:
	v_and_b32_e32 v7, 63, v0
	s_mov_b32 s4, s45
	s_delay_alu instid0(VALU_DEP_1) | instskip(NEXT) | instid1(VALU_DEP_1)
	v_sub_co_u32 v21, s3, v7, s45
	v_sub_co_ci_u32_e64 v22, null, 0, 0, s3
	s_mov_b32 s3, 0
	s_branch .LBB126_10
.LBB126_9:                              ;   in Loop: Header=BB126_10 Depth=1
	s_or_b32 exec_lo, exec_lo, s5
	v_add_co_u32 v5, vcc_lo, v5, 16
	v_add_co_ci_u32_e32 v6, vcc_lo, 0, v6, vcc_lo
	s_delay_alu instid0(VALU_DEP_1) | instskip(SKIP_1) | instid1(SALU_CYCLE_1)
	v_cmp_le_i64_e32 vcc_lo, s[0:1], v[5:6]
	s_or_b32 s3, vcc_lo, s3
	s_and_not1_b32 exec_lo, exec_lo, s3
	s_cbranch_execz .LBB126_29
.LBB126_10:                             ; =>This Loop Header: Depth=1
                                        ;     Child Loop BB126_13 Depth 2
                                        ;       Child Loop BB126_15 Depth 3
                                        ;         Child Loop BB126_21 Depth 4
                                        ;         Child Loop BB126_27 Depth 4
	v_lshlrev_b64 v[11:12], 3, v[5:6]
	s_mov_b32 s5, exec_lo
	s_delay_alu instid0(VALU_DEP_1) | instskip(NEXT) | instid1(VALU_DEP_2)
	v_add_co_u32 v7, vcc_lo, s6, v11
	v_add_co_ci_u32_e32 v8, vcc_lo, s7, v12, vcc_lo
	global_load_b64 v[7:8], v[7:8], off
	s_waitcnt vmcnt(0)
	v_sub_co_u32 v7, vcc_lo, v7, s44
	v_subrev_co_ci_u32_e32 v8, vcc_lo, 0, v8, vcc_lo
	s_delay_alu instid0(VALU_DEP_1) | instskip(NEXT) | instid1(VALU_DEP_1)
	v_lshlrev_b64 v[7:8], 3, v[7:8]
	v_add_co_u32 v7, vcc_lo, s10, v7
	s_delay_alu instid0(VALU_DEP_2)
	v_add_co_ci_u32_e32 v8, vcc_lo, s11, v8, vcc_lo
	global_load_b128 v[13:16], v[7:8], off
	s_waitcnt vmcnt(0)
	v_sub_co_u32 v7, vcc_lo, v15, s4
	v_subrev_co_ci_u32_e32 v8, vcc_lo, 0, v16, vcc_lo
	v_add_co_u32 v9, vcc_lo, v13, v21
	v_add_co_ci_u32_e32 v10, vcc_lo, v14, v22, vcc_lo
	s_delay_alu instid0(VALU_DEP_1)
	v_cmpx_lt_i64_e64 v[9:10], v[7:8]
	s_cbranch_execz .LBB126_9
; %bb.11:                               ;   in Loop: Header=BB126_10 Depth=1
	v_add_co_u32 v11, vcc_lo, s8, v11
	v_add_co_ci_u32_e32 v12, vcc_lo, s9, v12, vcc_lo
	s_mov_b32 s16, 0
	global_load_b64 v[11:12], v[11:12], off
	s_waitcnt vmcnt(0)
	v_mul_f64 v[11:12], v[3:4], v[11:12]
	s_branch .LBB126_13
.LBB126_12:                             ;   in Loop: Header=BB126_13 Depth=2
	s_or_b32 exec_lo, exec_lo, s17
	v_add_co_u32 v9, vcc_lo, v9, 64
	v_add_co_ci_u32_e32 v10, vcc_lo, 0, v10, vcc_lo
	s_delay_alu instid0(VALU_DEP_1) | instskip(SKIP_1) | instid1(SALU_CYCLE_1)
	v_cmp_ge_i64_e32 vcc_lo, v[9:10], v[7:8]
	s_or_b32 s16, vcc_lo, s16
	s_and_not1_b32 exec_lo, exec_lo, s16
	s_cbranch_execz .LBB126_9
.LBB126_13:                             ;   Parent Loop BB126_10 Depth=1
                                        ; =>  This Loop Header: Depth=2
                                        ;       Child Loop BB126_15 Depth 3
                                        ;         Child Loop BB126_21 Depth 4
                                        ;         Child Loop BB126_27 Depth 4
	v_lshlrev_b64 v[13:14], 3, v[9:10]
	s_mov_b32 s17, 0
	s_delay_alu instid0(VALU_DEP_1) | instskip(NEXT) | instid1(VALU_DEP_2)
	v_add_co_u32 v15, vcc_lo, s14, v13
	v_add_co_ci_u32_e32 v16, vcc_lo, s15, v14, vcc_lo
	v_add_co_u32 v13, vcc_lo, s12, v13
	v_add_co_ci_u32_e32 v14, vcc_lo, s13, v14, vcc_lo
	global_load_b64 v[15:16], v[15:16], off
	global_load_b64 v[17:18], v[13:14], off
	s_waitcnt vmcnt(1)
	v_mul_f64 v[13:14], v[11:12], v[15:16]
	s_waitcnt vmcnt(0)
	v_sub_co_u32 v15, vcc_lo, v17, s4
	v_subrev_co_ci_u32_e32 v16, vcc_lo, 0, v18, vcc_lo
	s_delay_alu instid0(VALU_DEP_2) | instskip(NEXT) | instid1(VALU_DEP_1)
	v_mul_lo_u32 v17, 0x89, v15
	v_and_b32_e32 v23, 0x3fff, v17
	s_branch .LBB126_15
.LBB126_14:                             ;   in Loop: Header=BB126_15 Depth=3
	s_or_b32 exec_lo, exec_lo, s18
	s_xor_b32 s18, s19, -1
	s_delay_alu instid0(SALU_CYCLE_1) | instskip(NEXT) | instid1(SALU_CYCLE_1)
	s_and_b32 s18, exec_lo, s18
	s_or_b32 s17, s18, s17
	s_delay_alu instid0(SALU_CYCLE_1)
	s_and_not1_b32 exec_lo, exec_lo, s17
	s_cbranch_execz .LBB126_12
.LBB126_15:                             ;   Parent Loop BB126_10 Depth=1
                                        ;     Parent Loop BB126_13 Depth=2
                                        ; =>    This Loop Header: Depth=3
                                        ;         Child Loop BB126_21 Depth 4
                                        ;         Child Loop BB126_27 Depth 4
	s_delay_alu instid0(VALU_DEP_1)
	v_lshl_add_u32 v24, v23, 3, 0
	s_mov_b32 s18, exec_lo
                                        ; implicit-def: $sgpr19
	ds_load_b64 v[17:18], v24
	s_waitcnt lgkmcnt(0)
	v_cmpx_ne_u64_e64 v[17:18], v[15:16]
	s_xor_b32 s18, exec_lo, s18
	s_cbranch_execz .LBB126_25
; %bb.16:                               ;   in Loop: Header=BB126_15 Depth=3
	s_mov_b32 s20, exec_lo
                                        ; implicit-def: $sgpr19
	v_cmpx_ne_u64_e64 s[34:35], v[17:18]
	s_xor_b32 s20, exec_lo, s20
; %bb.17:                               ;   in Loop: Header=BB126_15 Depth=3
	v_add_nc_u32_e32 v17, 1, v23
	s_mov_b32 s19, -1
                                        ; implicit-def: $vgpr24
	s_delay_alu instid0(VALU_DEP_1)
	v_and_b32_e32 v23, 0x3fff, v17
; %bb.18:                               ;   in Loop: Header=BB126_15 Depth=3
	s_and_not1_saveexec_b32 s20, s20
	s_cbranch_execz .LBB126_24
; %bb.19:                               ;   in Loop: Header=BB126_15 Depth=3
	v_dual_mov_b32 v17, s34 :: v_dual_mov_b32 v18, s35
	s_mov_b32 s23, -1
	s_mov_b32 s21, exec_lo
	ds_cmpstore_rtn_b64 v[17:18], v24, v[15:16], v[17:18]
	s_waitcnt lgkmcnt(0)
	v_cmpx_eq_u64_e64 s[34:35], v[17:18]
	s_cbranch_execz .LBB126_23
; %bb.20:                               ;   in Loop: Header=BB126_15 Depth=3
	v_lshlrev_b32_e32 v17, 3, v23
	s_mov_b32 s23, 0
	s_delay_alu instid0(VALU_DEP_1)
	v_add3_u32 v24, 0, v17, 0x20000
	ds_load_b64 v[17:18], v24
.LBB126_21:                             ;   Parent Loop BB126_10 Depth=1
                                        ;     Parent Loop BB126_13 Depth=2
                                        ;       Parent Loop BB126_15 Depth=3
                                        ; =>      This Inner Loop Header: Depth=4
	s_waitcnt lgkmcnt(0)
	v_add_f64 v[25:26], v[17:18], v[13:14]
	ds_cmpstore_rtn_b64 v[25:26], v24, v[25:26], v[17:18]
	s_waitcnt lgkmcnt(0)
	v_cmp_eq_u64_e32 vcc_lo, v[25:26], v[17:18]
	v_dual_mov_b32 v17, v25 :: v_dual_mov_b32 v18, v26
	s_or_b32 s23, vcc_lo, s23
	s_delay_alu instid0(SALU_CYCLE_1)
	s_and_not1_b32 exec_lo, exec_lo, s23
	s_cbranch_execnz .LBB126_21
; %bb.22:                               ;   in Loop: Header=BB126_15 Depth=3
	s_or_b32 exec_lo, exec_lo, s23
	s_delay_alu instid0(SALU_CYCLE_1)
	s_xor_b32 s23, exec_lo, -1
.LBB126_23:                             ;   in Loop: Header=BB126_15 Depth=3
	s_or_b32 exec_lo, exec_lo, s21
	s_delay_alu instid0(SALU_CYCLE_1) | instskip(SKIP_1) | instid1(SALU_CYCLE_1)
	s_and_not1_b32 s19, s19, exec_lo
	s_and_b32 s21, s23, exec_lo
	s_or_b32 s19, s19, s21
.LBB126_24:                             ;   in Loop: Header=BB126_15 Depth=3
	s_or_b32 exec_lo, exec_lo, s20
	s_delay_alu instid0(SALU_CYCLE_1)
	s_and_b32 s19, s19, exec_lo
.LBB126_25:                             ;   in Loop: Header=BB126_15 Depth=3
	s_and_not1_saveexec_b32 s18, s18
	s_cbranch_execz .LBB126_14
; %bb.26:                               ;   in Loop: Header=BB126_15 Depth=3
	v_lshlrev_b32_e32 v17, 3, v23
	s_mov_b32 s20, 0
	s_delay_alu instid0(VALU_DEP_1)
	v_add3_u32 v24, 0, v17, 0x20000
	ds_load_b64 v[17:18], v24
.LBB126_27:                             ;   Parent Loop BB126_10 Depth=1
                                        ;     Parent Loop BB126_13 Depth=2
                                        ;       Parent Loop BB126_15 Depth=3
                                        ; =>      This Inner Loop Header: Depth=4
	s_waitcnt lgkmcnt(0)
	v_add_f64 v[25:26], v[17:18], v[13:14]
	ds_cmpstore_rtn_b64 v[25:26], v24, v[25:26], v[17:18]
	s_waitcnt lgkmcnt(0)
	v_cmp_eq_u64_e32 vcc_lo, v[25:26], v[17:18]
	v_dual_mov_b32 v17, v25 :: v_dual_mov_b32 v18, v26
	s_or_b32 s20, vcc_lo, s20
	s_delay_alu instid0(SALU_CYCLE_1)
	s_and_not1_b32 exec_lo, exec_lo, s20
	s_cbranch_execnz .LBB126_27
; %bb.28:                               ;   in Loop: Header=BB126_15 Depth=3
	s_or_b32 exec_lo, exec_lo, s20
	s_delay_alu instid0(SALU_CYCLE_1)
	s_and_not1_b32 s19, s19, exec_lo
	s_branch .LBB126_14
.LBB126_29:
	s_or_b32 exec_lo, exec_lo, s2
.LBB126_30:
	s_delay_alu instid0(SALU_CYCLE_1)
	s_and_not1_b32 vcc_lo, exec_lo, s22
	s_cbranch_vccnz .LBB126_51
; %bb.31:
	s_waitcnt lgkmcnt(0)
	s_lshl_b64 s[0:1], s[52:53], 3
	v_sub_co_u32 v3, s4, v0, s47
	s_add_u32 s0, s36, s0
	s_addc_u32 s1, s37, s1
	v_sub_co_ci_u32_e64 v4, null, 0, 0, s4
	s_load_b128 s[0:3], s[0:1], 0x0
	s_waitcnt lgkmcnt(0)
	v_add_co_u32 v3, vcc_lo, s0, v3
	s_delay_alu instid0(VALU_DEP_2)
	v_add_co_ci_u32_e32 v4, vcc_lo, s1, v4, vcc_lo
	s_sub_u32 s0, s2, s47
	s_subb_u32 s1, s3, 0
	s_mov_b32 s2, 0
	s_mov_b32 s3, exec_lo
	v_cmpx_gt_i64_e64 s[0:1], v[3:4]
	s_cbranch_execz .LBB126_50
; %bb.32:
	s_mov_b32 s4, s47
	s_branch .LBB126_34
.LBB126_33:                             ;   in Loop: Header=BB126_34 Depth=1
	s_or_b32 exec_lo, exec_lo, s5
	v_add_co_u32 v3, vcc_lo, 0x400, v3
	v_add_co_ci_u32_e32 v4, vcc_lo, 0, v4, vcc_lo
	s_delay_alu instid0(VALU_DEP_1) | instskip(SKIP_1) | instid1(SALU_CYCLE_1)
	v_cmp_le_i64_e32 vcc_lo, s[0:1], v[3:4]
	s_or_b32 s2, vcc_lo, s2
	s_and_not1_b32 exec_lo, exec_lo, s2
	s_cbranch_execz .LBB126_50
.LBB126_34:                             ; =>This Loop Header: Depth=1
                                        ;     Child Loop BB126_36 Depth 2
                                        ;       Child Loop BB126_42 Depth 3
                                        ;       Child Loop BB126_48 Depth 3
	v_lshlrev_b64 v[5:6], 3, v[3:4]
	s_mov_b32 s5, 0
	s_delay_alu instid0(VALU_DEP_1) | instskip(NEXT) | instid1(VALU_DEP_2)
	v_add_co_u32 v7, vcc_lo, s40, v5
	v_add_co_ci_u32_e32 v8, vcc_lo, s41, v6, vcc_lo
	v_add_co_u32 v5, vcc_lo, s38, v5
	v_add_co_ci_u32_e32 v6, vcc_lo, s39, v6, vcc_lo
	global_load_b64 v[7:8], v[7:8], off
	global_load_b64 v[9:10], v[5:6], off
	s_waitcnt vmcnt(1)
	v_mul_f64 v[5:6], v[1:2], v[7:8]
	s_waitcnt vmcnt(0)
	v_sub_co_u32 v7, vcc_lo, v9, s4
	v_subrev_co_ci_u32_e32 v8, vcc_lo, 0, v10, vcc_lo
	s_delay_alu instid0(VALU_DEP_2) | instskip(NEXT) | instid1(VALU_DEP_1)
	v_mul_lo_u32 v9, 0x89, v7
	v_and_b32_e32 v11, 0x3fff, v9
	s_branch .LBB126_36
.LBB126_35:                             ;   in Loop: Header=BB126_36 Depth=2
	s_or_b32 exec_lo, exec_lo, s6
	s_xor_b32 s6, s7, -1
	s_delay_alu instid0(SALU_CYCLE_1) | instskip(NEXT) | instid1(SALU_CYCLE_1)
	s_and_b32 s6, exec_lo, s6
	s_or_b32 s5, s6, s5
	s_delay_alu instid0(SALU_CYCLE_1)
	s_and_not1_b32 exec_lo, exec_lo, s5
	s_cbranch_execz .LBB126_33
.LBB126_36:                             ;   Parent Loop BB126_34 Depth=1
                                        ; =>  This Loop Header: Depth=2
                                        ;       Child Loop BB126_42 Depth 3
                                        ;       Child Loop BB126_48 Depth 3
	s_delay_alu instid0(VALU_DEP_1)
	v_lshl_add_u32 v12, v11, 3, 0
	s_mov_b32 s6, exec_lo
                                        ; implicit-def: $sgpr7
	ds_load_b64 v[9:10], v12
	s_waitcnt lgkmcnt(0)
	v_cmpx_ne_u64_e64 v[9:10], v[7:8]
	s_xor_b32 s6, exec_lo, s6
	s_cbranch_execz .LBB126_46
; %bb.37:                               ;   in Loop: Header=BB126_36 Depth=2
	s_mov_b32 s8, exec_lo
                                        ; implicit-def: $sgpr7
	v_cmpx_ne_u64_e64 s[34:35], v[9:10]
	s_xor_b32 s8, exec_lo, s8
; %bb.38:                               ;   in Loop: Header=BB126_36 Depth=2
	v_add_nc_u32_e32 v9, 1, v11
	s_mov_b32 s7, -1
                                        ; implicit-def: $vgpr12
	s_delay_alu instid0(VALU_DEP_1)
	v_and_b32_e32 v11, 0x3fff, v9
; %bb.39:                               ;   in Loop: Header=BB126_36 Depth=2
	s_and_not1_saveexec_b32 s8, s8
	s_cbranch_execz .LBB126_45
; %bb.40:                               ;   in Loop: Header=BB126_36 Depth=2
	v_dual_mov_b32 v9, s34 :: v_dual_mov_b32 v10, s35
	s_mov_b32 s10, -1
	s_mov_b32 s9, exec_lo
	ds_cmpstore_rtn_b64 v[9:10], v12, v[7:8], v[9:10]
	s_waitcnt lgkmcnt(0)
	v_cmpx_eq_u64_e64 s[34:35], v[9:10]
	s_cbranch_execz .LBB126_44
; %bb.41:                               ;   in Loop: Header=BB126_36 Depth=2
	v_lshlrev_b32_e32 v9, 3, v11
	s_mov_b32 s10, 0
	s_delay_alu instid0(VALU_DEP_1)
	v_add3_u32 v12, 0, v9, 0x20000
	ds_load_b64 v[9:10], v12
.LBB126_42:                             ;   Parent Loop BB126_34 Depth=1
                                        ;     Parent Loop BB126_36 Depth=2
                                        ; =>    This Inner Loop Header: Depth=3
	s_waitcnt lgkmcnt(0)
	v_add_f64 v[13:14], v[9:10], v[5:6]
	ds_cmpstore_rtn_b64 v[13:14], v12, v[13:14], v[9:10]
	s_waitcnt lgkmcnt(0)
	v_cmp_eq_u64_e32 vcc_lo, v[13:14], v[9:10]
	v_dual_mov_b32 v9, v13 :: v_dual_mov_b32 v10, v14
	s_or_b32 s10, vcc_lo, s10
	s_delay_alu instid0(SALU_CYCLE_1)
	s_and_not1_b32 exec_lo, exec_lo, s10
	s_cbranch_execnz .LBB126_42
; %bb.43:                               ;   in Loop: Header=BB126_36 Depth=2
	s_or_b32 exec_lo, exec_lo, s10
	s_delay_alu instid0(SALU_CYCLE_1)
	s_xor_b32 s10, exec_lo, -1
.LBB126_44:                             ;   in Loop: Header=BB126_36 Depth=2
	s_or_b32 exec_lo, exec_lo, s9
	s_delay_alu instid0(SALU_CYCLE_1) | instskip(SKIP_1) | instid1(SALU_CYCLE_1)
	s_and_not1_b32 s7, s7, exec_lo
	s_and_b32 s9, s10, exec_lo
	s_or_b32 s7, s7, s9
.LBB126_45:                             ;   in Loop: Header=BB126_36 Depth=2
	s_or_b32 exec_lo, exec_lo, s8
	s_delay_alu instid0(SALU_CYCLE_1)
	s_and_b32 s7, s7, exec_lo
.LBB126_46:                             ;   in Loop: Header=BB126_36 Depth=2
	s_and_not1_saveexec_b32 s6, s6
	s_cbranch_execz .LBB126_35
; %bb.47:                               ;   in Loop: Header=BB126_36 Depth=2
	v_lshlrev_b32_e32 v9, 3, v11
	s_mov_b32 s8, 0
	s_delay_alu instid0(VALU_DEP_1)
	v_add3_u32 v12, 0, v9, 0x20000
	ds_load_b64 v[9:10], v12
.LBB126_48:                             ;   Parent Loop BB126_34 Depth=1
                                        ;     Parent Loop BB126_36 Depth=2
                                        ; =>    This Inner Loop Header: Depth=3
	s_waitcnt lgkmcnt(0)
	v_add_f64 v[13:14], v[9:10], v[5:6]
	ds_cmpstore_rtn_b64 v[13:14], v12, v[13:14], v[9:10]
	s_waitcnt lgkmcnt(0)
	v_cmp_eq_u64_e32 vcc_lo, v[13:14], v[9:10]
	v_dual_mov_b32 v9, v13 :: v_dual_mov_b32 v10, v14
	s_or_b32 s8, vcc_lo, s8
	s_delay_alu instid0(SALU_CYCLE_1)
	s_and_not1_b32 exec_lo, exec_lo, s8
	s_cbranch_execnz .LBB126_48
; %bb.49:                               ;   in Loop: Header=BB126_36 Depth=2
	s_or_b32 exec_lo, exec_lo, s8
	s_delay_alu instid0(SALU_CYCLE_1)
	s_and_not1_b32 s7, s7, exec_lo
	s_branch .LBB126_35
.LBB126_50:
	s_or_b32 exec_lo, exec_lo, s3
.LBB126_51:
	v_mbcnt_lo_u32_b32 v1, -1, 0
	v_lshrrev_b32_e32 v2, 2, v0
	s_add_i32 s73, 0, 0x400f8
	v_cmp_eq_u32_e32 vcc_lo, 0x3ff, v0
	v_cmp_lt_u32_e64 s0, 31, v0
	v_xor_b32_e32 v1, 63, v1
	v_and_b32_e32 v3, 0xf8, v2
	v_cmp_lt_u32_e64 s1, 63, v0
	v_cmp_lt_u32_e64 s2, 0x5f, v0
	;; [unrolled: 1-line block ×3, first 2 shown]
	v_lshrrev_b64 v[1:2], v1, -1
	v_add3_u32 v12, 0, 0x40000, v3
	v_dual_mov_b32 v2, 0 :: v_dual_mov_b32 v5, 0
	v_cmp_lt_u32_e64 s4, 0x9f, v0
	v_cmp_lt_u32_e64 s5, 0xbf, v0
	;; [unrolled: 1-line block ×27, first 2 shown]
	v_mov_b32_e32 v3, 0
	v_mov_b32_e32 v13, s73
	s_mov_b32 s36, 0
	s_add_i32 s37, 0, 0x40000
	s_add_i32 s38, 0, 0x40008
	;; [unrolled: 1-line block ×31, first 2 shown]
	s_waitcnt lgkmcnt(0)
	s_barrier
	buffer_gl0_inv
	s_branch .LBB126_53
.LBB126_52:                             ;   in Loop: Header=BB126_53 Depth=1
	s_or_b32 exec_lo, exec_lo, s31
	s_waitcnt lgkmcnt(0)
	s_barrier
	buffer_gl0_inv
	ds_load_b64 v[6:7], v13
	v_add_nc_u32_e32 v20, 0x400, v20
	v_add_nc_u32_e32 v19, 0x2000, v19
	s_delay_alu instid0(VALU_DEP_2) | instskip(NEXT) | instid1(VALU_DEP_1)
	v_cmp_lt_u32_e64 s31, 0x3bff, v20
	s_or_b32 s36, s31, s36
	s_waitcnt lgkmcnt(0)
	v_add_co_u32 v2, s33, v6, v2
	s_delay_alu instid0(VALU_DEP_1)
	v_add_co_ci_u32_e64 v3, s33, v7, v3, s33
	s_and_not1_b32 exec_lo, exec_lo, s36
	s_cbranch_execz .LBB126_119
.LBB126_53:                             ; =>This Inner Loop Header: Depth=1
	ds_load_b64 v[6:7], v19
	v_add_nc_u32_e32 v4, 0x20000, v19
	ds_load_b64 v[8:9], v4
	s_waitcnt lgkmcnt(0)
	s_barrier
	buffer_gl0_inv
	v_cmp_gt_i64_e64 s31, s[34:35], v[6:7]
	s_delay_alu instid0(VALU_DEP_1) | instskip(SKIP_1) | instid1(SALU_CYCLE_1)
	v_and_b32_e32 v10, s31, v1
	s_bcnt1_i32_b32 s33, s31
	v_mov_b32_e32 v4, s33
	s_delay_alu instid0(VALU_DEP_2)
	v_bcnt_u32_b32 v10, v10, 0
	ds_store_b64 v12, v[4:5]
	s_waitcnt lgkmcnt(0)
	s_barrier
	buffer_gl0_inv
	s_and_saveexec_b32 s33, s0
	s_cbranch_execnz .LBB126_86
; %bb.54:                               ;   in Loop: Header=BB126_53 Depth=1
	s_or_b32 exec_lo, exec_lo, s33
	s_and_saveexec_b32 s33, s1
	s_cbranch_execnz .LBB126_87
.LBB126_55:                             ;   in Loop: Header=BB126_53 Depth=1
	s_or_b32 exec_lo, exec_lo, s33
	s_and_saveexec_b32 s33, s2
	s_cbranch_execnz .LBB126_88
.LBB126_56:                             ;   in Loop: Header=BB126_53 Depth=1
	s_or_b32 exec_lo, exec_lo, s33
	s_and_saveexec_b32 s33, s3
	s_cbranch_execnz .LBB126_89
.LBB126_57:                             ;   in Loop: Header=BB126_53 Depth=1
	s_or_b32 exec_lo, exec_lo, s33
	s_and_saveexec_b32 s33, s4
	s_cbranch_execnz .LBB126_90
.LBB126_58:                             ;   in Loop: Header=BB126_53 Depth=1
	s_or_b32 exec_lo, exec_lo, s33
	s_and_saveexec_b32 s33, s5
	s_cbranch_execnz .LBB126_91
.LBB126_59:                             ;   in Loop: Header=BB126_53 Depth=1
	s_or_b32 exec_lo, exec_lo, s33
	s_and_saveexec_b32 s33, s6
	s_cbranch_execnz .LBB126_92
.LBB126_60:                             ;   in Loop: Header=BB126_53 Depth=1
	s_or_b32 exec_lo, exec_lo, s33
	s_and_saveexec_b32 s33, s7
	s_cbranch_execnz .LBB126_93
.LBB126_61:                             ;   in Loop: Header=BB126_53 Depth=1
	s_or_b32 exec_lo, exec_lo, s33
	s_and_saveexec_b32 s33, s8
	s_cbranch_execnz .LBB126_94
.LBB126_62:                             ;   in Loop: Header=BB126_53 Depth=1
	s_or_b32 exec_lo, exec_lo, s33
	s_and_saveexec_b32 s33, s9
	s_cbranch_execnz .LBB126_95
.LBB126_63:                             ;   in Loop: Header=BB126_53 Depth=1
	s_or_b32 exec_lo, exec_lo, s33
	s_and_saveexec_b32 s33, s10
	s_cbranch_execnz .LBB126_96
.LBB126_64:                             ;   in Loop: Header=BB126_53 Depth=1
	s_or_b32 exec_lo, exec_lo, s33
	s_and_saveexec_b32 s33, s11
	s_cbranch_execnz .LBB126_97
.LBB126_65:                             ;   in Loop: Header=BB126_53 Depth=1
	s_or_b32 exec_lo, exec_lo, s33
	s_and_saveexec_b32 s33, s12
	s_cbranch_execnz .LBB126_98
.LBB126_66:                             ;   in Loop: Header=BB126_53 Depth=1
	s_or_b32 exec_lo, exec_lo, s33
	s_and_saveexec_b32 s33, s13
	s_cbranch_execnz .LBB126_99
.LBB126_67:                             ;   in Loop: Header=BB126_53 Depth=1
	s_or_b32 exec_lo, exec_lo, s33
	s_and_saveexec_b32 s33, s14
	s_cbranch_execnz .LBB126_100
.LBB126_68:                             ;   in Loop: Header=BB126_53 Depth=1
	s_or_b32 exec_lo, exec_lo, s33
	s_and_saveexec_b32 s33, s15
	s_cbranch_execnz .LBB126_101
.LBB126_69:                             ;   in Loop: Header=BB126_53 Depth=1
	s_or_b32 exec_lo, exec_lo, s33
	s_and_saveexec_b32 s33, s16
	s_cbranch_execnz .LBB126_102
.LBB126_70:                             ;   in Loop: Header=BB126_53 Depth=1
	s_or_b32 exec_lo, exec_lo, s33
	s_and_saveexec_b32 s33, s17
	s_cbranch_execnz .LBB126_103
.LBB126_71:                             ;   in Loop: Header=BB126_53 Depth=1
	s_or_b32 exec_lo, exec_lo, s33
	s_and_saveexec_b32 s33, s18
	s_cbranch_execnz .LBB126_104
.LBB126_72:                             ;   in Loop: Header=BB126_53 Depth=1
	s_or_b32 exec_lo, exec_lo, s33
	s_and_saveexec_b32 s33, s19
	s_cbranch_execnz .LBB126_105
.LBB126_73:                             ;   in Loop: Header=BB126_53 Depth=1
	s_or_b32 exec_lo, exec_lo, s33
	s_and_saveexec_b32 s33, s20
	s_cbranch_execnz .LBB126_106
.LBB126_74:                             ;   in Loop: Header=BB126_53 Depth=1
	s_or_b32 exec_lo, exec_lo, s33
	s_and_saveexec_b32 s33, s21
	s_cbranch_execnz .LBB126_107
.LBB126_75:                             ;   in Loop: Header=BB126_53 Depth=1
	s_or_b32 exec_lo, exec_lo, s33
	s_and_saveexec_b32 s33, s22
	s_cbranch_execnz .LBB126_108
.LBB126_76:                             ;   in Loop: Header=BB126_53 Depth=1
	s_or_b32 exec_lo, exec_lo, s33
	s_and_saveexec_b32 s33, s23
	s_cbranch_execnz .LBB126_109
.LBB126_77:                             ;   in Loop: Header=BB126_53 Depth=1
	s_or_b32 exec_lo, exec_lo, s33
	s_and_saveexec_b32 s33, s24
	s_cbranch_execnz .LBB126_110
.LBB126_78:                             ;   in Loop: Header=BB126_53 Depth=1
	s_or_b32 exec_lo, exec_lo, s33
	s_and_saveexec_b32 s33, s25
	s_cbranch_execnz .LBB126_111
.LBB126_79:                             ;   in Loop: Header=BB126_53 Depth=1
	s_or_b32 exec_lo, exec_lo, s33
	s_and_saveexec_b32 s33, s26
	s_cbranch_execnz .LBB126_112
.LBB126_80:                             ;   in Loop: Header=BB126_53 Depth=1
	s_or_b32 exec_lo, exec_lo, s33
	s_and_saveexec_b32 s33, s27
	s_cbranch_execnz .LBB126_113
.LBB126_81:                             ;   in Loop: Header=BB126_53 Depth=1
	s_or_b32 exec_lo, exec_lo, s33
	s_and_saveexec_b32 s33, s28
	s_cbranch_execnz .LBB126_114
.LBB126_82:                             ;   in Loop: Header=BB126_53 Depth=1
	s_or_b32 exec_lo, exec_lo, s33
	s_and_saveexec_b32 s33, s29
	s_cbranch_execnz .LBB126_115
.LBB126_83:                             ;   in Loop: Header=BB126_53 Depth=1
	s_or_b32 exec_lo, exec_lo, s33
	s_and_saveexec_b32 s33, s30
	s_cbranch_execnz .LBB126_116
.LBB126_84:                             ;   in Loop: Header=BB126_53 Depth=1
	s_or_b32 exec_lo, exec_lo, s33
	v_ashrrev_i32_e32 v11, 31, v10
	s_and_saveexec_b32 s33, s31
	s_cbranch_execnz .LBB126_117
.LBB126_85:                             ;   in Loop: Header=BB126_53 Depth=1
	s_or_b32 exec_lo, exec_lo, s33
	s_and_saveexec_b32 s31, vcc_lo
	s_cbranch_execz .LBB126_52
	s_branch .LBB126_118
.LBB126_86:                             ;   in Loop: Header=BB126_53 Depth=1
	v_mov_b32_e32 v4, s37
	ds_load_b32 v4, v4
	s_waitcnt lgkmcnt(0)
	v_add_nc_u32_e32 v10, v4, v10
	s_or_b32 exec_lo, exec_lo, s33
	s_and_saveexec_b32 s33, s1
	s_cbranch_execz .LBB126_55
.LBB126_87:                             ;   in Loop: Header=BB126_53 Depth=1
	v_mov_b32_e32 v4, s38
	ds_load_b32 v4, v4
	s_waitcnt lgkmcnt(0)
	v_add_nc_u32_e32 v10, v10, v4
	s_or_b32 exec_lo, exec_lo, s33
	s_and_saveexec_b32 s33, s2
	s_cbranch_execz .LBB126_56
.LBB126_88:                             ;   in Loop: Header=BB126_53 Depth=1
	v_mov_b32_e32 v4, s39
	ds_load_b32 v4, v4
	s_waitcnt lgkmcnt(0)
	v_add_nc_u32_e32 v10, v10, v4
	s_or_b32 exec_lo, exec_lo, s33
	s_and_saveexec_b32 s33, s3
	s_cbranch_execz .LBB126_57
.LBB126_89:                             ;   in Loop: Header=BB126_53 Depth=1
	v_mov_b32_e32 v4, s40
	ds_load_b32 v4, v4
	s_waitcnt lgkmcnt(0)
	v_add_nc_u32_e32 v10, v10, v4
	s_or_b32 exec_lo, exec_lo, s33
	s_and_saveexec_b32 s33, s4
	s_cbranch_execz .LBB126_58
.LBB126_90:                             ;   in Loop: Header=BB126_53 Depth=1
	v_mov_b32_e32 v4, s41
	ds_load_b32 v4, v4
	s_waitcnt lgkmcnt(0)
	v_add_nc_u32_e32 v10, v10, v4
	s_or_b32 exec_lo, exec_lo, s33
	s_and_saveexec_b32 s33, s5
	s_cbranch_execz .LBB126_59
.LBB126_91:                             ;   in Loop: Header=BB126_53 Depth=1
	v_mov_b32_e32 v4, s44
	ds_load_b32 v4, v4
	s_waitcnt lgkmcnt(0)
	v_add_nc_u32_e32 v10, v10, v4
	s_or_b32 exec_lo, exec_lo, s33
	s_and_saveexec_b32 s33, s6
	s_cbranch_execz .LBB126_60
.LBB126_92:                             ;   in Loop: Header=BB126_53 Depth=1
	v_mov_b32_e32 v4, s45
	ds_load_b32 v4, v4
	s_waitcnt lgkmcnt(0)
	v_add_nc_u32_e32 v10, v10, v4
	s_or_b32 exec_lo, exec_lo, s33
	s_and_saveexec_b32 s33, s7
	s_cbranch_execz .LBB126_61
.LBB126_93:                             ;   in Loop: Header=BB126_53 Depth=1
	v_mov_b32_e32 v4, s47
	ds_load_b32 v4, v4
	s_waitcnt lgkmcnt(0)
	v_add_nc_u32_e32 v10, v10, v4
	s_or_b32 exec_lo, exec_lo, s33
	s_and_saveexec_b32 s33, s8
	s_cbranch_execz .LBB126_62
.LBB126_94:                             ;   in Loop: Header=BB126_53 Depth=1
	v_mov_b32_e32 v4, s54
	ds_load_b32 v4, v4
	s_waitcnt lgkmcnt(0)
	v_add_nc_u32_e32 v10, v10, v4
	s_or_b32 exec_lo, exec_lo, s33
	s_and_saveexec_b32 s33, s9
	s_cbranch_execz .LBB126_63
.LBB126_95:                             ;   in Loop: Header=BB126_53 Depth=1
	v_mov_b32_e32 v4, s55
	ds_load_b32 v4, v4
	s_waitcnt lgkmcnt(0)
	v_add_nc_u32_e32 v10, v10, v4
	s_or_b32 exec_lo, exec_lo, s33
	s_and_saveexec_b32 s33, s10
	s_cbranch_execz .LBB126_64
.LBB126_96:                             ;   in Loop: Header=BB126_53 Depth=1
	v_mov_b32_e32 v4, s56
	ds_load_b32 v4, v4
	s_waitcnt lgkmcnt(0)
	v_add_nc_u32_e32 v10, v10, v4
	s_or_b32 exec_lo, exec_lo, s33
	s_and_saveexec_b32 s33, s11
	s_cbranch_execz .LBB126_65
.LBB126_97:                             ;   in Loop: Header=BB126_53 Depth=1
	v_mov_b32_e32 v4, s57
	ds_load_b32 v4, v4
	s_waitcnt lgkmcnt(0)
	v_add_nc_u32_e32 v10, v10, v4
	s_or_b32 exec_lo, exec_lo, s33
	s_and_saveexec_b32 s33, s12
	s_cbranch_execz .LBB126_66
.LBB126_98:                             ;   in Loop: Header=BB126_53 Depth=1
	v_mov_b32_e32 v4, s58
	ds_load_b32 v4, v4
	s_waitcnt lgkmcnt(0)
	v_add_nc_u32_e32 v10, v10, v4
	s_or_b32 exec_lo, exec_lo, s33
	s_and_saveexec_b32 s33, s13
	s_cbranch_execz .LBB126_67
.LBB126_99:                             ;   in Loop: Header=BB126_53 Depth=1
	v_mov_b32_e32 v4, s59
	ds_load_b32 v4, v4
	s_waitcnt lgkmcnt(0)
	v_add_nc_u32_e32 v10, v10, v4
	s_or_b32 exec_lo, exec_lo, s33
	s_and_saveexec_b32 s33, s14
	s_cbranch_execz .LBB126_68
.LBB126_100:                            ;   in Loop: Header=BB126_53 Depth=1
	v_mov_b32_e32 v4, s60
	ds_load_b32 v4, v4
	s_waitcnt lgkmcnt(0)
	v_add_nc_u32_e32 v10, v10, v4
	s_or_b32 exec_lo, exec_lo, s33
	s_and_saveexec_b32 s33, s15
	s_cbranch_execz .LBB126_69
.LBB126_101:                            ;   in Loop: Header=BB126_53 Depth=1
	v_mov_b32_e32 v4, s61
	ds_load_b32 v4, v4
	s_waitcnt lgkmcnt(0)
	v_add_nc_u32_e32 v10, v10, v4
	s_or_b32 exec_lo, exec_lo, s33
	s_and_saveexec_b32 s33, s16
	s_cbranch_execz .LBB126_70
.LBB126_102:                            ;   in Loop: Header=BB126_53 Depth=1
	v_mov_b32_e32 v4, s62
	ds_load_b32 v4, v4
	s_waitcnt lgkmcnt(0)
	v_add_nc_u32_e32 v10, v10, v4
	s_or_b32 exec_lo, exec_lo, s33
	s_and_saveexec_b32 s33, s17
	s_cbranch_execz .LBB126_71
.LBB126_103:                            ;   in Loop: Header=BB126_53 Depth=1
	v_mov_b32_e32 v4, s63
	ds_load_b32 v4, v4
	s_waitcnt lgkmcnt(0)
	v_add_nc_u32_e32 v10, v10, v4
	s_or_b32 exec_lo, exec_lo, s33
	s_and_saveexec_b32 s33, s18
	s_cbranch_execz .LBB126_72
.LBB126_104:                            ;   in Loop: Header=BB126_53 Depth=1
	v_mov_b32_e32 v4, s64
	ds_load_b32 v4, v4
	s_waitcnt lgkmcnt(0)
	v_add_nc_u32_e32 v10, v10, v4
	s_or_b32 exec_lo, exec_lo, s33
	s_and_saveexec_b32 s33, s19
	s_cbranch_execz .LBB126_73
.LBB126_105:                            ;   in Loop: Header=BB126_53 Depth=1
	v_mov_b32_e32 v4, s65
	ds_load_b32 v4, v4
	s_waitcnt lgkmcnt(0)
	v_add_nc_u32_e32 v10, v10, v4
	s_or_b32 exec_lo, exec_lo, s33
	s_and_saveexec_b32 s33, s20
	s_cbranch_execz .LBB126_74
.LBB126_106:                            ;   in Loop: Header=BB126_53 Depth=1
	v_mov_b32_e32 v4, s66
	ds_load_b32 v4, v4
	s_waitcnt lgkmcnt(0)
	v_add_nc_u32_e32 v10, v10, v4
	s_or_b32 exec_lo, exec_lo, s33
	s_and_saveexec_b32 s33, s21
	s_cbranch_execz .LBB126_75
.LBB126_107:                            ;   in Loop: Header=BB126_53 Depth=1
	v_mov_b32_e32 v4, s67
	ds_load_b32 v4, v4
	s_waitcnt lgkmcnt(0)
	v_add_nc_u32_e32 v10, v10, v4
	s_or_b32 exec_lo, exec_lo, s33
	s_and_saveexec_b32 s33, s22
	s_cbranch_execz .LBB126_76
.LBB126_108:                            ;   in Loop: Header=BB126_53 Depth=1
	v_mov_b32_e32 v4, s68
	ds_load_b32 v4, v4
	s_waitcnt lgkmcnt(0)
	v_add_nc_u32_e32 v10, v10, v4
	s_or_b32 exec_lo, exec_lo, s33
	s_and_saveexec_b32 s33, s23
	s_cbranch_execz .LBB126_77
.LBB126_109:                            ;   in Loop: Header=BB126_53 Depth=1
	v_mov_b32_e32 v4, s69
	ds_load_b32 v4, v4
	s_waitcnt lgkmcnt(0)
	v_add_nc_u32_e32 v10, v10, v4
	s_or_b32 exec_lo, exec_lo, s33
	s_and_saveexec_b32 s33, s24
	s_cbranch_execz .LBB126_78
.LBB126_110:                            ;   in Loop: Header=BB126_53 Depth=1
	v_mov_b32_e32 v4, s70
	ds_load_b32 v4, v4
	s_waitcnt lgkmcnt(0)
	v_add_nc_u32_e32 v10, v10, v4
	s_or_b32 exec_lo, exec_lo, s33
	s_and_saveexec_b32 s33, s25
	s_cbranch_execz .LBB126_79
.LBB126_111:                            ;   in Loop: Header=BB126_53 Depth=1
	v_mov_b32_e32 v4, s71
	ds_load_b32 v4, v4
	s_waitcnt lgkmcnt(0)
	v_add_nc_u32_e32 v10, v10, v4
	s_or_b32 exec_lo, exec_lo, s33
	s_and_saveexec_b32 s33, s26
	s_cbranch_execz .LBB126_80
.LBB126_112:                            ;   in Loop: Header=BB126_53 Depth=1
	v_mov_b32_e32 v4, s72
	ds_load_b32 v4, v4
	s_waitcnt lgkmcnt(0)
	v_add_nc_u32_e32 v10, v10, v4
	s_or_b32 exec_lo, exec_lo, s33
	s_and_saveexec_b32 s33, s27
	s_cbranch_execz .LBB126_81
.LBB126_113:                            ;   in Loop: Header=BB126_53 Depth=1
	v_mov_b32_e32 v4, s74
	ds_load_b32 v4, v4
	s_waitcnt lgkmcnt(0)
	v_add_nc_u32_e32 v10, v10, v4
	s_or_b32 exec_lo, exec_lo, s33
	s_and_saveexec_b32 s33, s28
	s_cbranch_execz .LBB126_82
.LBB126_114:                            ;   in Loop: Header=BB126_53 Depth=1
	v_mov_b32_e32 v4, s75
	ds_load_b32 v4, v4
	s_waitcnt lgkmcnt(0)
	v_add_nc_u32_e32 v10, v10, v4
	s_or_b32 exec_lo, exec_lo, s33
	s_and_saveexec_b32 s33, s29
	s_cbranch_execz .LBB126_83
.LBB126_115:                            ;   in Loop: Header=BB126_53 Depth=1
	v_mov_b32_e32 v4, s76
	ds_load_b32 v4, v4
	s_waitcnt lgkmcnt(0)
	v_add_nc_u32_e32 v10, v10, v4
	s_or_b32 exec_lo, exec_lo, s33
	s_and_saveexec_b32 s33, s30
	s_cbranch_execz .LBB126_84
.LBB126_116:                            ;   in Loop: Header=BB126_53 Depth=1
	v_mov_b32_e32 v4, s77
	ds_load_b32 v4, v4
	s_waitcnt lgkmcnt(0)
	v_add_nc_u32_e32 v10, v10, v4
	s_or_b32 exec_lo, exec_lo, s33
	s_delay_alu instid0(VALU_DEP_1)
	v_ashrrev_i32_e32 v11, 31, v10
	s_and_saveexec_b32 s33, s31
	s_cbranch_execz .LBB126_85
.LBB126_117:                            ;   in Loop: Header=BB126_53 Depth=1
	v_add3_u32 v4, v2, -1, v10
	s_delay_alu instid0(VALU_DEP_1) | instskip(NEXT) | instid1(VALU_DEP_1)
	v_lshl_add_u32 v4, v4, 3, 0
	v_add_nc_u32_e32 v14, 0x20000, v4
	ds_store_b64 v4, v[6:7]
	ds_store_b64 v14, v[8:9]
	s_or_b32 exec_lo, exec_lo, s33
	s_and_saveexec_b32 s31, vcc_lo
	s_cbranch_execz .LBB126_52
.LBB126_118:                            ;   in Loop: Header=BB126_53 Depth=1
	v_mov_b32_e32 v4, s73
	ds_store_b64 v4, v[10:11]
	s_branch .LBB126_52
.LBB126_119:
	s_or_b32 exec_lo, exec_lo, s36
	s_lshl_b64 s[0:1], s[52:53], 3
	v_mov_b32_e32 v1, 0
	s_add_u32 s0, s42, s0
	s_addc_u32 s1, s43, s1
	s_mov_b32 s6, exec_lo
	s_load_b128 s[0:3], s[0:1], 0x0
	s_waitcnt lgkmcnt(0)
	s_sub_u32 s4, s2, s0
	s_subb_u32 s5, s3, s1
	s_delay_alu instid0(SALU_CYCLE_1)
	v_cmpx_gt_i64_e64 s[4:5], v[0:1]
	s_cbranch_execz .LBB126_129
; %bb.120:
	s_sub_u32 s8, s0, s46
	s_subb_u32 s9, s1, 0
	s_and_b32 s6, s4, 7
	s_sub_u32 s0, s0, s2
	s_subb_u32 s1, s1, s3
	s_mov_b32 s7, 0
	v_cmp_lt_u64_e64 s12, s[0:1], -7
	s_and_b32 s2, s4, -8
	s_cmp_lg_u64 s[6:7], 0
	s_mov_b32 s3, s5
	s_cselect_b32 s13, -1, 0
	s_mov_b32 s14, s7
	s_branch .LBB126_122
.LBB126_121:                            ;   in Loop: Header=BB126_122 Depth=1
	s_waitcnt lgkmcnt(1)
	v_add_co_u32 v4, vcc_lo, v4, s46
	v_lshlrev_b64 v[6:7], 3, v[6:7]
	v_add_co_ci_u32_e32 v5, vcc_lo, 0, v5, vcc_lo
	v_add_co_u32 v0, vcc_lo, 0x400, v0
	v_add_co_ci_u32_e32 v1, vcc_lo, 0, v1, vcc_lo
	s_delay_alu instid0(VALU_DEP_4) | instskip(SKIP_1) | instid1(VALU_DEP_3)
	v_add_co_u32 v8, vcc_lo, s48, v6
	v_add_co_ci_u32_e32 v9, vcc_lo, s49, v7, vcc_lo
	v_cmp_le_i64_e32 vcc_lo, s[4:5], v[0:1]
	v_add_co_u32 v6, s0, s50, v6
	s_delay_alu instid0(VALU_DEP_1) | instskip(SKIP_4) | instid1(SALU_CYCLE_1)
	v_add_co_ci_u32_e64 v7, s0, s51, v7, s0
	global_store_b64 v[8:9], v[4:5], off
	s_waitcnt lgkmcnt(0)
	global_store_b64 v[6:7], v[2:3], off
	s_or_b32 s14, vcc_lo, s14
	s_and_not1_b32 exec_lo, exec_lo, s14
	s_cbranch_execz .LBB126_129
.LBB126_122:                            ; =>This Loop Header: Depth=1
                                        ;     Child Loop BB126_124 Depth 2
                                        ;     Child Loop BB126_128 Depth 2
	v_lshl_add_u32 v2, v0, 3, 0
	s_and_not1_b32 vcc_lo, exec_lo, s12
	s_mov_b64 s[0:1], 0
	v_dual_mov_b32 v6, s8 :: v_dual_mov_b32 v7, s9
	s_delay_alu instid0(VALU_DEP_2)
	v_add_nc_u32_e32 v3, 0x20000, v2
	ds_load_b64 v[4:5], v2
	ds_load_b64 v[2:3], v3
	s_cbranch_vccnz .LBB126_126
; %bb.123:                              ;   in Loop: Header=BB126_122 Depth=1
	v_dual_mov_b32 v6, s8 :: v_dual_mov_b32 v7, s9
	s_mov_b64 s[10:11], 0
	s_mov_b32 s1, 0
.LBB126_124:                            ;   Parent Loop BB126_122 Depth=1
                                        ; =>  This Inner Loop Header: Depth=2
	s_delay_alu instid0(SALU_CYCLE_1)
	v_mov_b32_e32 v20, s1
	s_add_u32 s10, s10, 8
	s_addc_u32 s11, s11, 0
	s_add_i32 s1, s1, 64
	s_cmp_eq_u64 s[2:3], s[10:11]
	ds_load_2addr_b64 v[8:11], v20 offset1:1
	ds_load_2addr_b64 v[12:15], v20 offset0:2 offset1:3
	ds_load_2addr_b64 v[16:19], v20 offset0:4 offset1:5
	;; [unrolled: 1-line block ×3, first 2 shown]
	s_waitcnt lgkmcnt(3)
	v_cmp_gt_i64_e32 vcc_lo, v[4:5], v[8:9]
	v_cndmask_b32_e64 v8, 0, 1, vcc_lo
	v_cmp_gt_i64_e32 vcc_lo, v[4:5], v[10:11]
	v_cndmask_b32_e64 v9, 0, 1, vcc_lo
	s_waitcnt lgkmcnt(2)
	v_cmp_gt_i64_e32 vcc_lo, v[4:5], v[12:13]
	v_cndmask_b32_e64 v10, 0, 1, vcc_lo
	v_cmp_gt_i64_e32 vcc_lo, v[4:5], v[14:15]
	v_cndmask_b32_e64 v11, 0, 1, vcc_lo
	s_waitcnt lgkmcnt(1)
	v_cmp_gt_i64_e32 vcc_lo, v[4:5], v[16:17]
	v_cndmask_b32_e64 v12, 0, 1, vcc_lo
	v_add_co_u32 v6, vcc_lo, v6, v8
	v_add_co_ci_u32_e32 v7, vcc_lo, 0, v7, vcc_lo
	v_cmp_gt_i64_e32 vcc_lo, v[4:5], v[18:19]
	s_delay_alu instid0(VALU_DEP_3) | instskip(NEXT) | instid1(VALU_DEP_1)
	v_add_co_u32 v6, s0, v6, v9
	v_add_co_ci_u32_e64 v7, s0, 0, v7, s0
	v_cndmask_b32_e64 v8, 0, 1, vcc_lo
	s_delay_alu instid0(VALU_DEP_3) | instskip(NEXT) | instid1(VALU_DEP_3)
	v_add_co_u32 v6, vcc_lo, v6, v10
	v_add_co_ci_u32_e32 v7, vcc_lo, 0, v7, vcc_lo
	s_waitcnt lgkmcnt(0)
	v_cmp_gt_i64_e32 vcc_lo, v[4:5], v[20:21]
	s_delay_alu instid0(VALU_DEP_3) | instskip(NEXT) | instid1(VALU_DEP_1)
	v_add_co_u32 v6, s0, v6, v11
	v_add_co_ci_u32_e64 v7, s0, 0, v7, s0
	v_cndmask_b32_e64 v9, 0, 1, vcc_lo
	s_delay_alu instid0(VALU_DEP_3) | instskip(NEXT) | instid1(VALU_DEP_3)
	v_add_co_u32 v6, vcc_lo, v6, v12
	v_add_co_ci_u32_e32 v7, vcc_lo, 0, v7, vcc_lo
	v_cmp_gt_i64_e32 vcc_lo, v[4:5], v[22:23]
	s_delay_alu instid0(VALU_DEP_3) | instskip(NEXT) | instid1(VALU_DEP_1)
	v_add_co_u32 v6, s0, v6, v8
	v_add_co_ci_u32_e64 v7, s0, 0, v7, s0
	v_cndmask_b32_e64 v8, 0, 1, vcc_lo
	s_delay_alu instid0(VALU_DEP_3) | instskip(NEXT) | instid1(VALU_DEP_3)
	v_add_co_u32 v6, vcc_lo, v6, v9
	v_add_co_ci_u32_e32 v7, vcc_lo, 0, v7, vcc_lo
	s_delay_alu instid0(VALU_DEP_2) | instskip(NEXT) | instid1(VALU_DEP_2)
	v_add_co_u32 v6, vcc_lo, v6, v8
	v_add_co_ci_u32_e32 v7, vcc_lo, 0, v7, vcc_lo
	s_cbranch_scc0 .LBB126_124
; %bb.125:                              ;   in Loop: Header=BB126_122 Depth=1
	s_mov_b64 s[0:1], s[2:3]
.LBB126_126:                            ;   in Loop: Header=BB126_122 Depth=1
	s_and_not1_b32 vcc_lo, exec_lo, s13
	s_cbranch_vccnz .LBB126_121
; %bb.127:                              ;   in Loop: Header=BB126_122 Depth=1
	s_lshl_b32 s0, s0, 3
	s_delay_alu instid0(SALU_CYCLE_1)
	s_add_i32 s10, s0, 0
	s_mov_b64 s[0:1], s[6:7]
.LBB126_128:                            ;   Parent Loop BB126_122 Depth=1
                                        ; =>  This Inner Loop Header: Depth=2
	v_mov_b32_e32 v8, s10
	s_add_i32 s10, s10, 8
	s_add_u32 s0, s0, -1
	s_addc_u32 s1, s1, -1
	s_delay_alu instid0(SALU_CYCLE_1) | instskip(SKIP_4) | instid1(VALU_DEP_1)
	s_cmp_lg_u64 s[0:1], 0
	ds_load_b64 v[8:9], v8
	s_waitcnt lgkmcnt(0)
	v_cmp_gt_i64_e32 vcc_lo, v[4:5], v[8:9]
	v_cndmask_b32_e64 v8, 0, 1, vcc_lo
	v_add_co_u32 v6, vcc_lo, v6, v8
	v_add_co_ci_u32_e32 v7, vcc_lo, 0, v7, vcc_lo
	s_cbranch_scc1 .LBB126_128
	s_branch .LBB126_121
.LBB126_129:
	s_nop 0
	s_sendmsg sendmsg(MSG_DEALLOC_VGPRS)
	s_endpgm
	.section	.rodata,"a",@progbits
	.p2align	6, 0x0
	.amdhsa_kernel _ZN9rocsparseL26csrgemm_fill_block_per_rowILj1024ELj64ELj16384ELj137ELj32ElldEEvT5_PKS1_S3_NS_24const_host_device_scalarIT6_EEPKT4_S3_PKS5_S9_S3_SB_S6_S9_S3_SB_S9_PS1_PS5_21rocsparse_index_base_SE_SE_SE_bbb
		.amdhsa_group_segment_fixed_size 0
		.amdhsa_private_segment_fixed_size 0
		.amdhsa_kernarg_size 156
		.amdhsa_user_sgpr_count 15
		.amdhsa_user_sgpr_dispatch_ptr 0
		.amdhsa_user_sgpr_queue_ptr 0
		.amdhsa_user_sgpr_kernarg_segment_ptr 1
		.amdhsa_user_sgpr_dispatch_id 0
		.amdhsa_user_sgpr_private_segment_size 0
		.amdhsa_wavefront_size32 1
		.amdhsa_uses_dynamic_stack 0
		.amdhsa_enable_private_segment 0
		.amdhsa_system_sgpr_workgroup_id_x 1
		.amdhsa_system_sgpr_workgroup_id_y 0
		.amdhsa_system_sgpr_workgroup_id_z 0
		.amdhsa_system_sgpr_workgroup_info 0
		.amdhsa_system_vgpr_workitem_id 0
		.amdhsa_next_free_vgpr 27
		.amdhsa_next_free_sgpr 78
		.amdhsa_reserve_vcc 1
		.amdhsa_float_round_mode_32 0
		.amdhsa_float_round_mode_16_64 0
		.amdhsa_float_denorm_mode_32 3
		.amdhsa_float_denorm_mode_16_64 3
		.amdhsa_dx10_clamp 1
		.amdhsa_ieee_mode 1
		.amdhsa_fp16_overflow 0
		.amdhsa_workgroup_processor_mode 1
		.amdhsa_memory_ordered 1
		.amdhsa_forward_progress 0
		.amdhsa_shared_vgpr_count 0
		.amdhsa_exception_fp_ieee_invalid_op 0
		.amdhsa_exception_fp_denorm_src 0
		.amdhsa_exception_fp_ieee_div_zero 0
		.amdhsa_exception_fp_ieee_overflow 0
		.amdhsa_exception_fp_ieee_underflow 0
		.amdhsa_exception_fp_ieee_inexact 0
		.amdhsa_exception_int_div_zero 0
	.end_amdhsa_kernel
	.section	.text._ZN9rocsparseL26csrgemm_fill_block_per_rowILj1024ELj64ELj16384ELj137ELj32ElldEEvT5_PKS1_S3_NS_24const_host_device_scalarIT6_EEPKT4_S3_PKS5_S9_S3_SB_S6_S9_S3_SB_S9_PS1_PS5_21rocsparse_index_base_SE_SE_SE_bbb,"axG",@progbits,_ZN9rocsparseL26csrgemm_fill_block_per_rowILj1024ELj64ELj16384ELj137ELj32ElldEEvT5_PKS1_S3_NS_24const_host_device_scalarIT6_EEPKT4_S3_PKS5_S9_S3_SB_S6_S9_S3_SB_S9_PS1_PS5_21rocsparse_index_base_SE_SE_SE_bbb,comdat
.Lfunc_end126:
	.size	_ZN9rocsparseL26csrgemm_fill_block_per_rowILj1024ELj64ELj16384ELj137ELj32ElldEEvT5_PKS1_S3_NS_24const_host_device_scalarIT6_EEPKT4_S3_PKS5_S9_S3_SB_S6_S9_S3_SB_S9_PS1_PS5_21rocsparse_index_base_SE_SE_SE_bbb, .Lfunc_end126-_ZN9rocsparseL26csrgemm_fill_block_per_rowILj1024ELj64ELj16384ELj137ELj32ElldEEvT5_PKS1_S3_NS_24const_host_device_scalarIT6_EEPKT4_S3_PKS5_S9_S3_SB_S6_S9_S3_SB_S9_PS1_PS5_21rocsparse_index_base_SE_SE_SE_bbb
                                        ; -- End function
	.section	.AMDGPU.csdata,"",@progbits
; Kernel info:
; codeLenInByte = 5088
; NumSgprs: 80
; NumVgprs: 27
; ScratchSize: 0
; MemoryBound: 0
; FloatMode: 240
; IeeeMode: 1
; LDSByteSize: 0 bytes/workgroup (compile time only)
; SGPRBlocks: 9
; VGPRBlocks: 3
; NumSGPRsForWavesPerEU: 80
; NumVGPRsForWavesPerEU: 27
; Occupancy: 16
; WaveLimiterHint : 1
; COMPUTE_PGM_RSRC2:SCRATCH_EN: 0
; COMPUTE_PGM_RSRC2:USER_SGPR: 15
; COMPUTE_PGM_RSRC2:TRAP_HANDLER: 0
; COMPUTE_PGM_RSRC2:TGID_X_EN: 1
; COMPUTE_PGM_RSRC2:TGID_Y_EN: 0
; COMPUTE_PGM_RSRC2:TGID_Z_EN: 0
; COMPUTE_PGM_RSRC2:TIDIG_COMP_CNT: 0
	.section	.text._ZN9rocsparseL26csrgemm_fill_block_per_rowILj1024ELj64ELj16384ELj137ELj64ElldEEvT5_PKS1_S3_NS_24const_host_device_scalarIT6_EEPKT4_S3_PKS5_S9_S3_SB_S6_S9_S3_SB_S9_PS1_PS5_21rocsparse_index_base_SE_SE_SE_bbb,"axG",@progbits,_ZN9rocsparseL26csrgemm_fill_block_per_rowILj1024ELj64ELj16384ELj137ELj64ElldEEvT5_PKS1_S3_NS_24const_host_device_scalarIT6_EEPKT4_S3_PKS5_S9_S3_SB_S6_S9_S3_SB_S9_PS1_PS5_21rocsparse_index_base_SE_SE_SE_bbb,comdat
	.globl	_ZN9rocsparseL26csrgemm_fill_block_per_rowILj1024ELj64ELj16384ELj137ELj64ElldEEvT5_PKS1_S3_NS_24const_host_device_scalarIT6_EEPKT4_S3_PKS5_S9_S3_SB_S6_S9_S3_SB_S9_PS1_PS5_21rocsparse_index_base_SE_SE_SE_bbb ; -- Begin function _ZN9rocsparseL26csrgemm_fill_block_per_rowILj1024ELj64ELj16384ELj137ELj64ElldEEvT5_PKS1_S3_NS_24const_host_device_scalarIT6_EEPKT4_S3_PKS5_S9_S3_SB_S6_S9_S3_SB_S9_PS1_PS5_21rocsparse_index_base_SE_SE_SE_bbb
	.p2align	8
	.type	_ZN9rocsparseL26csrgemm_fill_block_per_rowILj1024ELj64ELj16384ELj137ELj64ElldEEvT5_PKS1_S3_NS_24const_host_device_scalarIT6_EEPKT4_S3_PKS5_S9_S3_SB_S6_S9_S3_SB_S9_PS1_PS5_21rocsparse_index_base_SE_SE_SE_bbb,@function
_ZN9rocsparseL26csrgemm_fill_block_per_rowILj1024ELj64ELj16384ELj137ELj64ElldEEvT5_PKS1_S3_NS_24const_host_device_scalarIT6_EEPKT4_S3_PKS5_S9_S3_SB_S6_S9_S3_SB_S9_PS1_PS5_21rocsparse_index_base_SE_SE_SE_bbb: ; @_ZN9rocsparseL26csrgemm_fill_block_per_rowILj1024ELj64ELj16384ELj137ELj64ElldEEvT5_PKS1_S3_NS_24const_host_device_scalarIT6_EEPKT4_S3_PKS5_S9_S3_SB_S6_S9_S3_SB_S9_PS1_PS5_21rocsparse_index_base_SE_SE_SE_bbb
; %bb.0:
	s_clause 0x3
	s_load_b32 s3, s[0:1], 0x98
	s_load_b64 s[4:5], s[0:1], 0x18
	s_load_b128 s[20:23], s[0:1], 0x88
	s_load_b64 s[34:35], s[0:1], 0x50
	s_mov_b32 s2, s15
	s_waitcnt lgkmcnt(0)
	s_and_b32 s6, 1, s3
	s_bitcmp1_b32 s3, 16
	s_cselect_b32 s41, -1, 0
	s_cmp_eq_u32 s6, 1
	s_cselect_b32 s40, -1, 0
	s_delay_alu instid0(SALU_CYCLE_1)
	s_and_b32 s6, s40, exec_lo
	s_cselect_b32 s7, s5, 0
	s_cselect_b32 s6, s4, 0
	s_xor_b32 s8, s40, -1
	v_dual_mov_b32 v3, s6 :: v_dual_mov_b32 v4, s7
	s_or_b32 s8, s8, s41
	s_delay_alu instid0(SALU_CYCLE_1)
	s_and_b32 vcc_lo, exec_lo, s8
	s_cbranch_vccnz .LBB127_2
; %bb.1:
	v_dual_mov_b32 v1, s4 :: v_dual_mov_b32 v2, s5
	flat_load_b64 v[3:4], v[1:2]
.LBB127_2:
	s_clause 0x4
	s_load_b128 s[24:27], s[0:1], 0x78
	s_load_b256 s[12:19], s[0:1], 0x58
	s_load_b128 s[28:31], s[0:1], 0x40
	s_load_b128 s[36:39], s[0:1], 0x8
	s_load_b256 s[4:11], s[0:1], 0x20
	s_bitcmp1_b32 s3, 8
	s_cselect_b32 s33, -1, 0
	s_delay_alu instid0(SALU_CYCLE_1)
	s_and_b32 s3, s33, exec_lo
	s_cselect_b32 s43, s35, 0
	s_cselect_b32 s42, s34, 0
	s_xor_b32 s3, s33, -1
	v_dual_mov_b32 v1, s42 :: v_dual_mov_b32 v2, s43
	s_or_b32 s3, s3, s41
	s_delay_alu instid0(SALU_CYCLE_1)
	s_and_b32 vcc_lo, exec_lo, s3
	s_cbranch_vccnz .LBB127_4
; %bb.3:
	v_dual_mov_b32 v1, s34 :: v_dual_mov_b32 v2, s35
	flat_load_b64 v[1:2], v[1:2]
.LBB127_4:
	s_load_b64 s[34:35], s[0:1], 0x0
	v_mov_b32_e32 v5, 0
	v_lshl_add_u32 v19, v0, 3, 0
	v_or_b32_e32 v20, 0xfffffc00, v0
	s_mov_b32 s0, 0
	s_delay_alu instid0(VALU_DEP_1)
	v_dual_mov_b32 v9, v19 :: v_dual_mov_b32 v10, v20
	s_waitcnt lgkmcnt(0)
	v_dual_mov_b32 v7, s34 :: v_dual_mov_b32 v8, s35
	v_mov_b32_e32 v6, v5
.LBB127_5:                              ; =>This Inner Loop Header: Depth=1
	s_delay_alu instid0(VALU_DEP_3)
	v_add_nc_u32_e32 v10, 0x400, v10
	v_add_nc_u32_e32 v11, 0x20000, v9
	ds_store_b64 v9, v[7:8]
	v_add_nc_u32_e32 v9, 0x2000, v9
	v_cmp_lt_u32_e32 vcc_lo, 0x3bff, v10
	ds_store_b64 v11, v[5:6]
	s_or_b32 s0, vcc_lo, s0
	s_delay_alu instid0(SALU_CYCLE_1)
	s_and_not1_b32 exec_lo, exec_lo, s0
	s_cbranch_execnz .LBB127_5
; %bb.6:
	s_or_b32 exec_lo, exec_lo, s0
	s_waitcnt vmcnt(0) lgkmcnt(0)
	s_barrier
	buffer_gl0_inv
	s_load_b64 s[0:1], s[36:37], 0x0
	s_mov_b32 s3, 0
	v_lshrrev_b32_e32 v21, 6, v0
	s_waitcnt lgkmcnt(0)
	s_lshl_b64 s[0:1], s[0:1], 3
	s_delay_alu instid0(SALU_CYCLE_1) | instskip(SKIP_2) | instid1(SALU_CYCLE_1)
	s_add_u32 s36, s38, s0
	s_addc_u32 s37, s39, s1
	s_lshl_b64 s[0:1], s[2:3], 3
	s_add_u32 s0, s36, s0
	s_addc_u32 s1, s37, s1
	s_and_b32 vcc_lo, exec_lo, s40
	s_load_b64 s[36:37], s[0:1], 0x0
	s_cbranch_vccz .LBB127_30
; %bb.7:
	s_waitcnt lgkmcnt(0)
	s_lshl_b64 s[0:1], s[36:37], 3
	s_delay_alu instid0(SALU_CYCLE_1)
	s_add_u32 s0, s4, s0
	s_addc_u32 s1, s5, s1
	v_sub_co_u32 v5, s4, v21, s20
	s_load_b128 s[0:3], s[0:1], 0x0
	v_sub_co_ci_u32_e64 v6, null, 0, 0, s4
	s_waitcnt lgkmcnt(0)
	s_delay_alu instid0(VALU_DEP_2) | instskip(NEXT) | instid1(VALU_DEP_2)
	v_add_co_u32 v5, vcc_lo, s0, v5
	v_add_co_ci_u32_e32 v6, vcc_lo, s1, v6, vcc_lo
	s_sub_u32 s0, s2, s20
	s_subb_u32 s1, s3, 0
	s_mov_b32 s2, exec_lo
	s_delay_alu instid0(VALU_DEP_1)
	v_cmpx_gt_i64_e64 s[0:1], v[5:6]
	s_cbranch_execz .LBB127_29
; %bb.8:
	v_and_b32_e32 v7, 63, v0
	s_mov_b32 s4, s21
	s_delay_alu instid0(VALU_DEP_1) | instskip(NEXT) | instid1(VALU_DEP_1)
	v_sub_co_u32 v22, s3, v7, s21
	v_sub_co_ci_u32_e64 v23, null, 0, 0, s3
	s_mov_b32 s3, 0
	s_branch .LBB127_10
.LBB127_9:                              ;   in Loop: Header=BB127_10 Depth=1
	s_or_b32 exec_lo, exec_lo, s5
	v_add_co_u32 v5, vcc_lo, v5, 16
	v_add_co_ci_u32_e32 v6, vcc_lo, 0, v6, vcc_lo
	s_delay_alu instid0(VALU_DEP_1) | instskip(SKIP_1) | instid1(SALU_CYCLE_1)
	v_cmp_le_i64_e32 vcc_lo, s[0:1], v[5:6]
	s_or_b32 s3, vcc_lo, s3
	s_and_not1_b32 exec_lo, exec_lo, s3
	s_cbranch_execz .LBB127_29
.LBB127_10:                             ; =>This Loop Header: Depth=1
                                        ;     Child Loop BB127_13 Depth 2
                                        ;       Child Loop BB127_15 Depth 3
                                        ;         Child Loop BB127_21 Depth 4
                                        ;         Child Loop BB127_27 Depth 4
	v_lshlrev_b64 v[11:12], 3, v[5:6]
	s_mov_b32 s5, exec_lo
	s_delay_alu instid0(VALU_DEP_1) | instskip(NEXT) | instid1(VALU_DEP_2)
	v_add_co_u32 v7, vcc_lo, s6, v11
	v_add_co_ci_u32_e32 v8, vcc_lo, s7, v12, vcc_lo
	global_load_b64 v[7:8], v[7:8], off
	s_waitcnt vmcnt(0)
	v_sub_co_u32 v7, vcc_lo, v7, s20
	v_subrev_co_ci_u32_e32 v8, vcc_lo, 0, v8, vcc_lo
	s_delay_alu instid0(VALU_DEP_1) | instskip(NEXT) | instid1(VALU_DEP_1)
	v_lshlrev_b64 v[7:8], 3, v[7:8]
	v_add_co_u32 v7, vcc_lo, s10, v7
	s_delay_alu instid0(VALU_DEP_2)
	v_add_co_ci_u32_e32 v8, vcc_lo, s11, v8, vcc_lo
	global_load_b128 v[13:16], v[7:8], off
	s_waitcnt vmcnt(0)
	v_sub_co_u32 v7, vcc_lo, v15, s4
	v_subrev_co_ci_u32_e32 v8, vcc_lo, 0, v16, vcc_lo
	v_add_co_u32 v9, vcc_lo, v13, v22
	v_add_co_ci_u32_e32 v10, vcc_lo, v14, v23, vcc_lo
	s_delay_alu instid0(VALU_DEP_1)
	v_cmpx_lt_i64_e64 v[9:10], v[7:8]
	s_cbranch_execz .LBB127_9
; %bb.11:                               ;   in Loop: Header=BB127_10 Depth=1
	v_add_co_u32 v11, vcc_lo, s8, v11
	v_add_co_ci_u32_e32 v12, vcc_lo, s9, v12, vcc_lo
	s_mov_b32 s21, 0
	global_load_b64 v[11:12], v[11:12], off
	s_waitcnt vmcnt(0)
	v_mul_f64 v[11:12], v[3:4], v[11:12]
	s_branch .LBB127_13
.LBB127_12:                             ;   in Loop: Header=BB127_13 Depth=2
	s_or_b32 exec_lo, exec_lo, s38
	v_add_co_u32 v9, vcc_lo, v9, 64
	v_add_co_ci_u32_e32 v10, vcc_lo, 0, v10, vcc_lo
	s_delay_alu instid0(VALU_DEP_1) | instskip(SKIP_1) | instid1(SALU_CYCLE_1)
	v_cmp_ge_i64_e32 vcc_lo, v[9:10], v[7:8]
	s_or_b32 s21, vcc_lo, s21
	s_and_not1_b32 exec_lo, exec_lo, s21
	s_cbranch_execz .LBB127_9
.LBB127_13:                             ;   Parent Loop BB127_10 Depth=1
                                        ; =>  This Loop Header: Depth=2
                                        ;       Child Loop BB127_15 Depth 3
                                        ;         Child Loop BB127_21 Depth 4
                                        ;         Child Loop BB127_27 Depth 4
	v_lshlrev_b64 v[13:14], 3, v[9:10]
	s_mov_b32 s38, 0
	s_delay_alu instid0(VALU_DEP_1) | instskip(NEXT) | instid1(VALU_DEP_2)
	v_add_co_u32 v15, vcc_lo, s30, v13
	v_add_co_ci_u32_e32 v16, vcc_lo, s31, v14, vcc_lo
	v_add_co_u32 v13, vcc_lo, s28, v13
	v_add_co_ci_u32_e32 v14, vcc_lo, s29, v14, vcc_lo
	global_load_b64 v[15:16], v[15:16], off
	global_load_b64 v[17:18], v[13:14], off
	s_waitcnt vmcnt(1)
	v_mul_f64 v[13:14], v[11:12], v[15:16]
	s_waitcnt vmcnt(0)
	v_sub_co_u32 v15, vcc_lo, v17, s4
	v_subrev_co_ci_u32_e32 v16, vcc_lo, 0, v18, vcc_lo
	s_delay_alu instid0(VALU_DEP_2) | instskip(NEXT) | instid1(VALU_DEP_1)
	v_mul_lo_u32 v17, 0x89, v15
	v_and_b32_e32 v24, 0x3fff, v17
	s_branch .LBB127_15
.LBB127_14:                             ;   in Loop: Header=BB127_15 Depth=3
	s_or_b32 exec_lo, exec_lo, s39
	s_xor_b32 s39, s40, -1
	s_delay_alu instid0(SALU_CYCLE_1) | instskip(NEXT) | instid1(SALU_CYCLE_1)
	s_and_b32 s39, exec_lo, s39
	s_or_b32 s38, s39, s38
	s_delay_alu instid0(SALU_CYCLE_1)
	s_and_not1_b32 exec_lo, exec_lo, s38
	s_cbranch_execz .LBB127_12
.LBB127_15:                             ;   Parent Loop BB127_10 Depth=1
                                        ;     Parent Loop BB127_13 Depth=2
                                        ; =>    This Loop Header: Depth=3
                                        ;         Child Loop BB127_21 Depth 4
                                        ;         Child Loop BB127_27 Depth 4
	s_delay_alu instid0(VALU_DEP_1)
	v_lshl_add_u32 v25, v24, 3, 0
	s_mov_b32 s39, exec_lo
                                        ; implicit-def: $sgpr40
	ds_load_b64 v[17:18], v25
	s_waitcnt lgkmcnt(0)
	v_cmpx_ne_u64_e64 v[17:18], v[15:16]
	s_xor_b32 s39, exec_lo, s39
	s_cbranch_execz .LBB127_25
; %bb.16:                               ;   in Loop: Header=BB127_15 Depth=3
	s_mov_b32 s41, exec_lo
                                        ; implicit-def: $sgpr40
	v_cmpx_ne_u64_e64 s[34:35], v[17:18]
	s_xor_b32 s41, exec_lo, s41
; %bb.17:                               ;   in Loop: Header=BB127_15 Depth=3
	v_add_nc_u32_e32 v17, 1, v24
	s_mov_b32 s40, -1
                                        ; implicit-def: $vgpr25
	s_delay_alu instid0(VALU_DEP_1)
	v_and_b32_e32 v24, 0x3fff, v17
; %bb.18:                               ;   in Loop: Header=BB127_15 Depth=3
	s_and_not1_saveexec_b32 s41, s41
	s_cbranch_execz .LBB127_24
; %bb.19:                               ;   in Loop: Header=BB127_15 Depth=3
	v_dual_mov_b32 v17, s34 :: v_dual_mov_b32 v18, s35
	s_mov_b32 s43, -1
	s_mov_b32 s42, exec_lo
	ds_cmpstore_rtn_b64 v[17:18], v25, v[15:16], v[17:18]
	s_waitcnt lgkmcnt(0)
	v_cmpx_eq_u64_e64 s[34:35], v[17:18]
	s_cbranch_execz .LBB127_23
; %bb.20:                               ;   in Loop: Header=BB127_15 Depth=3
	v_lshlrev_b32_e32 v17, 3, v24
	s_mov_b32 s43, 0
	s_delay_alu instid0(VALU_DEP_1)
	v_add3_u32 v25, 0, v17, 0x20000
	ds_load_b64 v[17:18], v25
.LBB127_21:                             ;   Parent Loop BB127_10 Depth=1
                                        ;     Parent Loop BB127_13 Depth=2
                                        ;       Parent Loop BB127_15 Depth=3
                                        ; =>      This Inner Loop Header: Depth=4
	s_waitcnt lgkmcnt(0)
	v_add_f64 v[26:27], v[17:18], v[13:14]
	ds_cmpstore_rtn_b64 v[26:27], v25, v[26:27], v[17:18]
	s_waitcnt lgkmcnt(0)
	v_cmp_eq_u64_e32 vcc_lo, v[26:27], v[17:18]
	v_dual_mov_b32 v17, v26 :: v_dual_mov_b32 v18, v27
	s_or_b32 s43, vcc_lo, s43
	s_delay_alu instid0(SALU_CYCLE_1)
	s_and_not1_b32 exec_lo, exec_lo, s43
	s_cbranch_execnz .LBB127_21
; %bb.22:                               ;   in Loop: Header=BB127_15 Depth=3
	s_or_b32 exec_lo, exec_lo, s43
	s_delay_alu instid0(SALU_CYCLE_1)
	s_xor_b32 s43, exec_lo, -1
.LBB127_23:                             ;   in Loop: Header=BB127_15 Depth=3
	s_or_b32 exec_lo, exec_lo, s42
	s_delay_alu instid0(SALU_CYCLE_1) | instskip(SKIP_1) | instid1(SALU_CYCLE_1)
	s_and_not1_b32 s40, s40, exec_lo
	s_and_b32 s42, s43, exec_lo
	s_or_b32 s40, s40, s42
.LBB127_24:                             ;   in Loop: Header=BB127_15 Depth=3
	s_or_b32 exec_lo, exec_lo, s41
	s_delay_alu instid0(SALU_CYCLE_1)
	s_and_b32 s40, s40, exec_lo
.LBB127_25:                             ;   in Loop: Header=BB127_15 Depth=3
	s_and_not1_saveexec_b32 s39, s39
	s_cbranch_execz .LBB127_14
; %bb.26:                               ;   in Loop: Header=BB127_15 Depth=3
	v_lshlrev_b32_e32 v17, 3, v24
	s_mov_b32 s41, 0
	s_delay_alu instid0(VALU_DEP_1)
	v_add3_u32 v25, 0, v17, 0x20000
	ds_load_b64 v[17:18], v25
.LBB127_27:                             ;   Parent Loop BB127_10 Depth=1
                                        ;     Parent Loop BB127_13 Depth=2
                                        ;       Parent Loop BB127_15 Depth=3
                                        ; =>      This Inner Loop Header: Depth=4
	s_waitcnt lgkmcnt(0)
	v_add_f64 v[26:27], v[17:18], v[13:14]
	ds_cmpstore_rtn_b64 v[26:27], v25, v[26:27], v[17:18]
	s_waitcnt lgkmcnt(0)
	v_cmp_eq_u64_e32 vcc_lo, v[26:27], v[17:18]
	v_dual_mov_b32 v17, v26 :: v_dual_mov_b32 v18, v27
	s_or_b32 s41, vcc_lo, s41
	s_delay_alu instid0(SALU_CYCLE_1)
	s_and_not1_b32 exec_lo, exec_lo, s41
	s_cbranch_execnz .LBB127_27
; %bb.28:                               ;   in Loop: Header=BB127_15 Depth=3
	s_or_b32 exec_lo, exec_lo, s41
	s_delay_alu instid0(SALU_CYCLE_1)
	s_and_not1_b32 s40, s40, exec_lo
	s_branch .LBB127_14
.LBB127_29:
	s_or_b32 exec_lo, exec_lo, s2
.LBB127_30:
	s_delay_alu instid0(SALU_CYCLE_1)
	s_and_not1_b32 vcc_lo, exec_lo, s33
	s_cbranch_vccnz .LBB127_51
; %bb.31:
	s_waitcnt lgkmcnt(0)
	s_lshl_b64 s[0:1], s[36:37], 3
	v_sub_co_u32 v3, s4, v0, s23
	s_add_u32 s0, s12, s0
	s_addc_u32 s1, s13, s1
	v_sub_co_ci_u32_e64 v4, null, 0, 0, s4
	s_load_b128 s[0:3], s[0:1], 0x0
	s_waitcnt lgkmcnt(0)
	v_add_co_u32 v3, vcc_lo, s0, v3
	s_delay_alu instid0(VALU_DEP_2)
	v_add_co_ci_u32_e32 v4, vcc_lo, s1, v4, vcc_lo
	s_sub_u32 s0, s2, s23
	s_subb_u32 s1, s3, 0
	s_mov_b32 s2, 0
	s_mov_b32 s3, exec_lo
	v_cmpx_gt_i64_e64 s[0:1], v[3:4]
	s_cbranch_execz .LBB127_50
; %bb.32:
	s_mov_b32 s4, s23
	s_branch .LBB127_34
.LBB127_33:                             ;   in Loop: Header=BB127_34 Depth=1
	s_or_b32 exec_lo, exec_lo, s5
	v_add_co_u32 v3, vcc_lo, 0x400, v3
	v_add_co_ci_u32_e32 v4, vcc_lo, 0, v4, vcc_lo
	s_delay_alu instid0(VALU_DEP_1) | instskip(SKIP_1) | instid1(SALU_CYCLE_1)
	v_cmp_le_i64_e32 vcc_lo, s[0:1], v[3:4]
	s_or_b32 s2, vcc_lo, s2
	s_and_not1_b32 exec_lo, exec_lo, s2
	s_cbranch_execz .LBB127_50
.LBB127_34:                             ; =>This Loop Header: Depth=1
                                        ;     Child Loop BB127_36 Depth 2
                                        ;       Child Loop BB127_42 Depth 3
                                        ;       Child Loop BB127_48 Depth 3
	v_lshlrev_b64 v[5:6], 3, v[3:4]
	s_mov_b32 s5, 0
	s_delay_alu instid0(VALU_DEP_1) | instskip(NEXT) | instid1(VALU_DEP_2)
	v_add_co_u32 v7, vcc_lo, s16, v5
	v_add_co_ci_u32_e32 v8, vcc_lo, s17, v6, vcc_lo
	v_add_co_u32 v5, vcc_lo, s14, v5
	v_add_co_ci_u32_e32 v6, vcc_lo, s15, v6, vcc_lo
	global_load_b64 v[7:8], v[7:8], off
	global_load_b64 v[9:10], v[5:6], off
	s_waitcnt vmcnt(1)
	v_mul_f64 v[5:6], v[1:2], v[7:8]
	s_waitcnt vmcnt(0)
	v_sub_co_u32 v7, vcc_lo, v9, s4
	v_subrev_co_ci_u32_e32 v8, vcc_lo, 0, v10, vcc_lo
	s_delay_alu instid0(VALU_DEP_2) | instskip(NEXT) | instid1(VALU_DEP_1)
	v_mul_lo_u32 v9, 0x89, v7
	v_and_b32_e32 v11, 0x3fff, v9
	s_branch .LBB127_36
.LBB127_35:                             ;   in Loop: Header=BB127_36 Depth=2
	s_or_b32 exec_lo, exec_lo, s6
	s_xor_b32 s6, s7, -1
	s_delay_alu instid0(SALU_CYCLE_1) | instskip(NEXT) | instid1(SALU_CYCLE_1)
	s_and_b32 s6, exec_lo, s6
	s_or_b32 s5, s6, s5
	s_delay_alu instid0(SALU_CYCLE_1)
	s_and_not1_b32 exec_lo, exec_lo, s5
	s_cbranch_execz .LBB127_33
.LBB127_36:                             ;   Parent Loop BB127_34 Depth=1
                                        ; =>  This Loop Header: Depth=2
                                        ;       Child Loop BB127_42 Depth 3
                                        ;       Child Loop BB127_48 Depth 3
	s_delay_alu instid0(VALU_DEP_1)
	v_lshl_add_u32 v12, v11, 3, 0
	s_mov_b32 s6, exec_lo
                                        ; implicit-def: $sgpr7
	ds_load_b64 v[9:10], v12
	s_waitcnt lgkmcnt(0)
	v_cmpx_ne_u64_e64 v[9:10], v[7:8]
	s_xor_b32 s6, exec_lo, s6
	s_cbranch_execz .LBB127_46
; %bb.37:                               ;   in Loop: Header=BB127_36 Depth=2
	s_mov_b32 s8, exec_lo
                                        ; implicit-def: $sgpr7
	v_cmpx_ne_u64_e64 s[34:35], v[9:10]
	s_xor_b32 s8, exec_lo, s8
; %bb.38:                               ;   in Loop: Header=BB127_36 Depth=2
	v_add_nc_u32_e32 v9, 1, v11
	s_mov_b32 s7, -1
                                        ; implicit-def: $vgpr12
	s_delay_alu instid0(VALU_DEP_1)
	v_and_b32_e32 v11, 0x3fff, v9
; %bb.39:                               ;   in Loop: Header=BB127_36 Depth=2
	s_and_not1_saveexec_b32 s8, s8
	s_cbranch_execz .LBB127_45
; %bb.40:                               ;   in Loop: Header=BB127_36 Depth=2
	v_dual_mov_b32 v9, s34 :: v_dual_mov_b32 v10, s35
	s_mov_b32 s10, -1
	s_mov_b32 s9, exec_lo
	ds_cmpstore_rtn_b64 v[9:10], v12, v[7:8], v[9:10]
	s_waitcnt lgkmcnt(0)
	v_cmpx_eq_u64_e64 s[34:35], v[9:10]
	s_cbranch_execz .LBB127_44
; %bb.41:                               ;   in Loop: Header=BB127_36 Depth=2
	v_lshlrev_b32_e32 v9, 3, v11
	s_mov_b32 s10, 0
	s_delay_alu instid0(VALU_DEP_1)
	v_add3_u32 v12, 0, v9, 0x20000
	ds_load_b64 v[9:10], v12
.LBB127_42:                             ;   Parent Loop BB127_34 Depth=1
                                        ;     Parent Loop BB127_36 Depth=2
                                        ; =>    This Inner Loop Header: Depth=3
	s_waitcnt lgkmcnt(0)
	v_add_f64 v[13:14], v[9:10], v[5:6]
	ds_cmpstore_rtn_b64 v[13:14], v12, v[13:14], v[9:10]
	s_waitcnt lgkmcnt(0)
	v_cmp_eq_u64_e32 vcc_lo, v[13:14], v[9:10]
	v_dual_mov_b32 v9, v13 :: v_dual_mov_b32 v10, v14
	s_or_b32 s10, vcc_lo, s10
	s_delay_alu instid0(SALU_CYCLE_1)
	s_and_not1_b32 exec_lo, exec_lo, s10
	s_cbranch_execnz .LBB127_42
; %bb.43:                               ;   in Loop: Header=BB127_36 Depth=2
	s_or_b32 exec_lo, exec_lo, s10
	s_delay_alu instid0(SALU_CYCLE_1)
	s_xor_b32 s10, exec_lo, -1
.LBB127_44:                             ;   in Loop: Header=BB127_36 Depth=2
	s_or_b32 exec_lo, exec_lo, s9
	s_delay_alu instid0(SALU_CYCLE_1) | instskip(SKIP_1) | instid1(SALU_CYCLE_1)
	s_and_not1_b32 s7, s7, exec_lo
	s_and_b32 s9, s10, exec_lo
	s_or_b32 s7, s7, s9
.LBB127_45:                             ;   in Loop: Header=BB127_36 Depth=2
	s_or_b32 exec_lo, exec_lo, s8
	s_delay_alu instid0(SALU_CYCLE_1)
	s_and_b32 s7, s7, exec_lo
.LBB127_46:                             ;   in Loop: Header=BB127_36 Depth=2
	s_and_not1_saveexec_b32 s6, s6
	s_cbranch_execz .LBB127_35
; %bb.47:                               ;   in Loop: Header=BB127_36 Depth=2
	v_lshlrev_b32_e32 v9, 3, v11
	s_mov_b32 s8, 0
	s_delay_alu instid0(VALU_DEP_1)
	v_add3_u32 v12, 0, v9, 0x20000
	ds_load_b64 v[9:10], v12
.LBB127_48:                             ;   Parent Loop BB127_34 Depth=1
                                        ;     Parent Loop BB127_36 Depth=2
                                        ; =>    This Inner Loop Header: Depth=3
	s_waitcnt lgkmcnt(0)
	v_add_f64 v[13:14], v[9:10], v[5:6]
	ds_cmpstore_rtn_b64 v[13:14], v12, v[13:14], v[9:10]
	s_waitcnt lgkmcnt(0)
	v_cmp_eq_u64_e32 vcc_lo, v[13:14], v[9:10]
	v_dual_mov_b32 v9, v13 :: v_dual_mov_b32 v10, v14
	s_or_b32 s8, vcc_lo, s8
	s_delay_alu instid0(SALU_CYCLE_1)
	s_and_not1_b32 exec_lo, exec_lo, s8
	s_cbranch_execnz .LBB127_48
; %bb.49:                               ;   in Loop: Header=BB127_36 Depth=2
	s_or_b32 exec_lo, exec_lo, s8
	s_delay_alu instid0(SALU_CYCLE_1)
	s_and_not1_b32 s7, s7, exec_lo
	s_branch .LBB127_35
.LBB127_50:
	s_or_b32 exec_lo, exec_lo, s3
.LBB127_51:
	v_mbcnt_lo_u32_b32 v1, -1, 0
	v_dual_mov_b32 v5, 0 :: v_dual_lshlrev_b32 v2, 3, v21
	s_add_i32 s41, 0, 0x40078
	v_cmp_eq_u32_e32 vcc_lo, 0x3ff, v0
	s_delay_alu instid0(VALU_DEP_3) | instskip(NEXT) | instid1(VALU_DEP_3)
	v_xor_b32_e32 v1, 63, v1
	v_add3_u32 v12, 0, 0x40000, v2
	v_cmp_lt_u32_e64 s0, 63, v0
	v_cmp_lt_u32_e64 s1, 0x7f, v0
	;; [unrolled: 1-line block ×3, first 2 shown]
	v_lshrrev_b64 v[1:2], v1, -1
	v_dual_mov_b32 v2, 0 :: v_dual_mov_b32 v13, s41
	v_cmp_lt_u32_e64 s3, 0xff, v0
	v_cmp_lt_u32_e64 s4, 0x13f, v0
	v_cmp_lt_u32_e64 s5, 0x17f, v0
	v_cmp_lt_u32_e64 s6, 0x1bf, v0
	v_cmp_lt_u32_e64 s7, 0x1ff, v0
	v_cmp_lt_u32_e64 s8, 0x23f, v0
	v_cmp_lt_u32_e64 s9, 0x27f, v0
	v_cmp_lt_u32_e64 s10, 0x2bf, v0
	v_cmp_lt_u32_e64 s11, 0x2ff, v0
	v_cmp_lt_u32_e64 s12, 0x33f, v0
	v_cmp_lt_u32_e64 s13, 0x37f, v0
	v_cmp_lt_u32_e64 s14, 0x3bf, v0
	v_mov_b32_e32 v3, 0
	s_mov_b32 s17, 0
	s_add_i32 s20, 0, 0x40000
	s_add_i32 s21, 0, 0x40008
	;; [unrolled: 1-line block ×15, first 2 shown]
	s_waitcnt lgkmcnt(0)
	s_barrier
	buffer_gl0_inv
	s_branch .LBB127_53
.LBB127_52:                             ;   in Loop: Header=BB127_53 Depth=1
	s_or_b32 exec_lo, exec_lo, s15
	s_waitcnt lgkmcnt(0)
	s_barrier
	buffer_gl0_inv
	ds_load_b64 v[6:7], v13
	v_add_nc_u32_e32 v20, 0x400, v20
	v_add_nc_u32_e32 v19, 0x2000, v19
	s_delay_alu instid0(VALU_DEP_2) | instskip(NEXT) | instid1(VALU_DEP_1)
	v_cmp_lt_u32_e64 s15, 0x3bff, v20
	s_or_b32 s17, s15, s17
	s_waitcnt lgkmcnt(0)
	v_add_co_u32 v2, s16, v6, v2
	s_delay_alu instid0(VALU_DEP_1)
	v_add_co_ci_u32_e64 v3, s16, v7, v3, s16
	s_and_not1_b32 exec_lo, exec_lo, s17
	s_cbranch_execz .LBB127_87
.LBB127_53:                             ; =>This Inner Loop Header: Depth=1
	ds_load_b64 v[6:7], v19
	v_add_nc_u32_e32 v4, 0x20000, v19
	ds_load_b64 v[8:9], v4
	s_waitcnt lgkmcnt(0)
	s_barrier
	buffer_gl0_inv
	v_cmp_gt_i64_e64 s15, s[34:35], v[6:7]
	s_delay_alu instid0(VALU_DEP_1) | instskip(SKIP_1) | instid1(SALU_CYCLE_1)
	v_and_b32_e32 v10, s15, v1
	s_bcnt1_i32_b32 s16, s15
	v_mov_b32_e32 v4, s16
	s_delay_alu instid0(VALU_DEP_2)
	v_bcnt_u32_b32 v10, v10, 0
	ds_store_b64 v12, v[4:5]
	s_waitcnt lgkmcnt(0)
	s_barrier
	buffer_gl0_inv
	s_and_saveexec_b32 s16, s0
	s_cbranch_execnz .LBB127_70
; %bb.54:                               ;   in Loop: Header=BB127_53 Depth=1
	s_or_b32 exec_lo, exec_lo, s16
	s_and_saveexec_b32 s16, s1
	s_cbranch_execnz .LBB127_71
.LBB127_55:                             ;   in Loop: Header=BB127_53 Depth=1
	s_or_b32 exec_lo, exec_lo, s16
	s_and_saveexec_b32 s16, s2
	s_cbranch_execnz .LBB127_72
.LBB127_56:                             ;   in Loop: Header=BB127_53 Depth=1
	s_or_b32 exec_lo, exec_lo, s16
	s_and_saveexec_b32 s16, s3
	s_cbranch_execnz .LBB127_73
.LBB127_57:                             ;   in Loop: Header=BB127_53 Depth=1
	s_or_b32 exec_lo, exec_lo, s16
	s_and_saveexec_b32 s16, s4
	s_cbranch_execnz .LBB127_74
.LBB127_58:                             ;   in Loop: Header=BB127_53 Depth=1
	s_or_b32 exec_lo, exec_lo, s16
	s_and_saveexec_b32 s16, s5
	s_cbranch_execnz .LBB127_75
.LBB127_59:                             ;   in Loop: Header=BB127_53 Depth=1
	s_or_b32 exec_lo, exec_lo, s16
	s_and_saveexec_b32 s16, s6
	s_cbranch_execnz .LBB127_76
.LBB127_60:                             ;   in Loop: Header=BB127_53 Depth=1
	s_or_b32 exec_lo, exec_lo, s16
	s_and_saveexec_b32 s16, s7
	s_cbranch_execnz .LBB127_77
.LBB127_61:                             ;   in Loop: Header=BB127_53 Depth=1
	s_or_b32 exec_lo, exec_lo, s16
	s_and_saveexec_b32 s16, s8
	s_cbranch_execnz .LBB127_78
.LBB127_62:                             ;   in Loop: Header=BB127_53 Depth=1
	s_or_b32 exec_lo, exec_lo, s16
	s_and_saveexec_b32 s16, s9
	s_cbranch_execnz .LBB127_79
.LBB127_63:                             ;   in Loop: Header=BB127_53 Depth=1
	s_or_b32 exec_lo, exec_lo, s16
	s_and_saveexec_b32 s16, s10
	s_cbranch_execnz .LBB127_80
.LBB127_64:                             ;   in Loop: Header=BB127_53 Depth=1
	s_or_b32 exec_lo, exec_lo, s16
	s_and_saveexec_b32 s16, s11
	s_cbranch_execnz .LBB127_81
.LBB127_65:                             ;   in Loop: Header=BB127_53 Depth=1
	s_or_b32 exec_lo, exec_lo, s16
	s_and_saveexec_b32 s16, s12
	s_cbranch_execnz .LBB127_82
.LBB127_66:                             ;   in Loop: Header=BB127_53 Depth=1
	s_or_b32 exec_lo, exec_lo, s16
	s_and_saveexec_b32 s16, s13
	s_cbranch_execnz .LBB127_83
.LBB127_67:                             ;   in Loop: Header=BB127_53 Depth=1
	s_or_b32 exec_lo, exec_lo, s16
	s_and_saveexec_b32 s16, s14
	s_cbranch_execnz .LBB127_84
.LBB127_68:                             ;   in Loop: Header=BB127_53 Depth=1
	s_or_b32 exec_lo, exec_lo, s16
	v_ashrrev_i32_e32 v11, 31, v10
	s_and_saveexec_b32 s16, s15
	s_cbranch_execnz .LBB127_85
.LBB127_69:                             ;   in Loop: Header=BB127_53 Depth=1
	s_or_b32 exec_lo, exec_lo, s16
	s_and_saveexec_b32 s15, vcc_lo
	s_cbranch_execz .LBB127_52
	s_branch .LBB127_86
.LBB127_70:                             ;   in Loop: Header=BB127_53 Depth=1
	v_mov_b32_e32 v4, s20
	ds_load_b32 v4, v4
	s_waitcnt lgkmcnt(0)
	v_add_nc_u32_e32 v10, v4, v10
	s_or_b32 exec_lo, exec_lo, s16
	s_and_saveexec_b32 s16, s1
	s_cbranch_execz .LBB127_55
.LBB127_71:                             ;   in Loop: Header=BB127_53 Depth=1
	v_mov_b32_e32 v4, s21
	ds_load_b32 v4, v4
	s_waitcnt lgkmcnt(0)
	v_add_nc_u32_e32 v10, v10, v4
	s_or_b32 exec_lo, exec_lo, s16
	s_and_saveexec_b32 s16, s2
	s_cbranch_execz .LBB127_56
.LBB127_72:                             ;   in Loop: Header=BB127_53 Depth=1
	v_mov_b32_e32 v4, s23
	ds_load_b32 v4, v4
	s_waitcnt lgkmcnt(0)
	v_add_nc_u32_e32 v10, v10, v4
	s_or_b32 exec_lo, exec_lo, s16
	s_and_saveexec_b32 s16, s3
	s_cbranch_execz .LBB127_57
.LBB127_73:                             ;   in Loop: Header=BB127_53 Depth=1
	v_mov_b32_e32 v4, s28
	ds_load_b32 v4, v4
	s_waitcnt lgkmcnt(0)
	v_add_nc_u32_e32 v10, v10, v4
	s_or_b32 exec_lo, exec_lo, s16
	s_and_saveexec_b32 s16, s4
	s_cbranch_execz .LBB127_58
.LBB127_74:                             ;   in Loop: Header=BB127_53 Depth=1
	v_mov_b32_e32 v4, s29
	ds_load_b32 v4, v4
	s_waitcnt lgkmcnt(0)
	v_add_nc_u32_e32 v10, v10, v4
	s_or_b32 exec_lo, exec_lo, s16
	s_and_saveexec_b32 s16, s5
	s_cbranch_execz .LBB127_59
.LBB127_75:                             ;   in Loop: Header=BB127_53 Depth=1
	v_mov_b32_e32 v4, s30
	ds_load_b32 v4, v4
	s_waitcnt lgkmcnt(0)
	v_add_nc_u32_e32 v10, v10, v4
	s_or_b32 exec_lo, exec_lo, s16
	s_and_saveexec_b32 s16, s6
	s_cbranch_execz .LBB127_60
.LBB127_76:                             ;   in Loop: Header=BB127_53 Depth=1
	v_mov_b32_e32 v4, s31
	ds_load_b32 v4, v4
	s_waitcnt lgkmcnt(0)
	v_add_nc_u32_e32 v10, v10, v4
	s_or_b32 exec_lo, exec_lo, s16
	s_and_saveexec_b32 s16, s7
	s_cbranch_execz .LBB127_61
.LBB127_77:                             ;   in Loop: Header=BB127_53 Depth=1
	v_mov_b32_e32 v4, s33
	ds_load_b32 v4, v4
	s_waitcnt lgkmcnt(0)
	v_add_nc_u32_e32 v10, v10, v4
	s_or_b32 exec_lo, exec_lo, s16
	s_and_saveexec_b32 s16, s8
	s_cbranch_execz .LBB127_62
.LBB127_78:                             ;   in Loop: Header=BB127_53 Depth=1
	v_mov_b32_e32 v4, s38
	ds_load_b32 v4, v4
	s_waitcnt lgkmcnt(0)
	v_add_nc_u32_e32 v10, v10, v4
	s_or_b32 exec_lo, exec_lo, s16
	s_and_saveexec_b32 s16, s9
	s_cbranch_execz .LBB127_63
.LBB127_79:                             ;   in Loop: Header=BB127_53 Depth=1
	v_mov_b32_e32 v4, s39
	ds_load_b32 v4, v4
	s_waitcnt lgkmcnt(0)
	v_add_nc_u32_e32 v10, v10, v4
	s_or_b32 exec_lo, exec_lo, s16
	s_and_saveexec_b32 s16, s10
	s_cbranch_execz .LBB127_64
.LBB127_80:                             ;   in Loop: Header=BB127_53 Depth=1
	v_mov_b32_e32 v4, s40
	ds_load_b32 v4, v4
	s_waitcnt lgkmcnt(0)
	v_add_nc_u32_e32 v10, v10, v4
	s_or_b32 exec_lo, exec_lo, s16
	s_and_saveexec_b32 s16, s11
	s_cbranch_execz .LBB127_65
.LBB127_81:                             ;   in Loop: Header=BB127_53 Depth=1
	v_mov_b32_e32 v4, s42
	ds_load_b32 v4, v4
	s_waitcnt lgkmcnt(0)
	v_add_nc_u32_e32 v10, v10, v4
	s_or_b32 exec_lo, exec_lo, s16
	s_and_saveexec_b32 s16, s12
	s_cbranch_execz .LBB127_66
.LBB127_82:                             ;   in Loop: Header=BB127_53 Depth=1
	v_mov_b32_e32 v4, s43
	ds_load_b32 v4, v4
	s_waitcnt lgkmcnt(0)
	v_add_nc_u32_e32 v10, v10, v4
	s_or_b32 exec_lo, exec_lo, s16
	s_and_saveexec_b32 s16, s13
	s_cbranch_execz .LBB127_67
.LBB127_83:                             ;   in Loop: Header=BB127_53 Depth=1
	v_mov_b32_e32 v4, s44
	ds_load_b32 v4, v4
	s_waitcnt lgkmcnt(0)
	v_add_nc_u32_e32 v10, v10, v4
	s_or_b32 exec_lo, exec_lo, s16
	s_and_saveexec_b32 s16, s14
	s_cbranch_execz .LBB127_68
.LBB127_84:                             ;   in Loop: Header=BB127_53 Depth=1
	v_mov_b32_e32 v4, s45
	ds_load_b32 v4, v4
	s_waitcnt lgkmcnt(0)
	v_add_nc_u32_e32 v10, v10, v4
	s_or_b32 exec_lo, exec_lo, s16
	s_delay_alu instid0(VALU_DEP_1)
	v_ashrrev_i32_e32 v11, 31, v10
	s_and_saveexec_b32 s16, s15
	s_cbranch_execz .LBB127_69
.LBB127_85:                             ;   in Loop: Header=BB127_53 Depth=1
	v_add3_u32 v4, v2, -1, v10
	s_delay_alu instid0(VALU_DEP_1) | instskip(NEXT) | instid1(VALU_DEP_1)
	v_lshl_add_u32 v4, v4, 3, 0
	v_add_nc_u32_e32 v14, 0x20000, v4
	ds_store_b64 v4, v[6:7]
	ds_store_b64 v14, v[8:9]
	s_or_b32 exec_lo, exec_lo, s16
	s_and_saveexec_b32 s15, vcc_lo
	s_cbranch_execz .LBB127_52
.LBB127_86:                             ;   in Loop: Header=BB127_53 Depth=1
	v_mov_b32_e32 v4, s41
	ds_store_b64 v4, v[10:11]
	s_branch .LBB127_52
.LBB127_87:
	s_or_b32 exec_lo, exec_lo, s17
	s_lshl_b64 s[0:1], s[36:37], 3
	v_mov_b32_e32 v1, 0
	s_add_u32 s0, s18, s0
	s_addc_u32 s1, s19, s1
	s_mov_b32 s6, exec_lo
	s_load_b128 s[0:3], s[0:1], 0x0
	s_waitcnt lgkmcnt(0)
	s_sub_u32 s4, s2, s0
	s_subb_u32 s5, s3, s1
	s_delay_alu instid0(SALU_CYCLE_1)
	v_cmpx_gt_i64_e64 s[4:5], v[0:1]
	s_cbranch_execz .LBB127_97
; %bb.88:
	s_sub_u32 s8, s0, s22
	s_subb_u32 s9, s1, 0
	s_and_b32 s6, s4, 7
	s_sub_u32 s0, s0, s2
	s_subb_u32 s1, s1, s3
	s_mov_b32 s7, 0
	v_cmp_lt_u64_e64 s12, s[0:1], -7
	s_and_b32 s2, s4, -8
	s_cmp_lg_u64 s[6:7], 0
	s_mov_b32 s3, s5
	s_cselect_b32 s13, -1, 0
	s_mov_b32 s14, s7
	s_branch .LBB127_90
.LBB127_89:                             ;   in Loop: Header=BB127_90 Depth=1
	s_waitcnt lgkmcnt(1)
	v_add_co_u32 v4, vcc_lo, v4, s22
	v_lshlrev_b64 v[6:7], 3, v[6:7]
	v_add_co_ci_u32_e32 v5, vcc_lo, 0, v5, vcc_lo
	v_add_co_u32 v0, vcc_lo, 0x400, v0
	v_add_co_ci_u32_e32 v1, vcc_lo, 0, v1, vcc_lo
	s_delay_alu instid0(VALU_DEP_4) | instskip(SKIP_1) | instid1(VALU_DEP_3)
	v_add_co_u32 v8, vcc_lo, s24, v6
	v_add_co_ci_u32_e32 v9, vcc_lo, s25, v7, vcc_lo
	v_cmp_le_i64_e32 vcc_lo, s[4:5], v[0:1]
	v_add_co_u32 v6, s0, s26, v6
	s_delay_alu instid0(VALU_DEP_1) | instskip(SKIP_4) | instid1(SALU_CYCLE_1)
	v_add_co_ci_u32_e64 v7, s0, s27, v7, s0
	global_store_b64 v[8:9], v[4:5], off
	s_waitcnt lgkmcnt(0)
	global_store_b64 v[6:7], v[2:3], off
	s_or_b32 s14, vcc_lo, s14
	s_and_not1_b32 exec_lo, exec_lo, s14
	s_cbranch_execz .LBB127_97
.LBB127_90:                             ; =>This Loop Header: Depth=1
                                        ;     Child Loop BB127_92 Depth 2
                                        ;     Child Loop BB127_96 Depth 2
	v_lshl_add_u32 v2, v0, 3, 0
	s_and_not1_b32 vcc_lo, exec_lo, s12
	s_mov_b64 s[0:1], 0
	v_dual_mov_b32 v6, s8 :: v_dual_mov_b32 v7, s9
	s_delay_alu instid0(VALU_DEP_2)
	v_add_nc_u32_e32 v3, 0x20000, v2
	ds_load_b64 v[4:5], v2
	ds_load_b64 v[2:3], v3
	s_cbranch_vccnz .LBB127_94
; %bb.91:                               ;   in Loop: Header=BB127_90 Depth=1
	v_dual_mov_b32 v6, s8 :: v_dual_mov_b32 v7, s9
	s_mov_b64 s[10:11], 0
	s_mov_b32 s1, 0
.LBB127_92:                             ;   Parent Loop BB127_90 Depth=1
                                        ; =>  This Inner Loop Header: Depth=2
	s_delay_alu instid0(SALU_CYCLE_1)
	v_mov_b32_e32 v20, s1
	s_add_u32 s10, s10, 8
	s_addc_u32 s11, s11, 0
	s_add_i32 s1, s1, 64
	s_cmp_eq_u64 s[2:3], s[10:11]
	ds_load_2addr_b64 v[8:11], v20 offset1:1
	ds_load_2addr_b64 v[12:15], v20 offset0:2 offset1:3
	ds_load_2addr_b64 v[16:19], v20 offset0:4 offset1:5
	;; [unrolled: 1-line block ×3, first 2 shown]
	s_waitcnt lgkmcnt(3)
	v_cmp_gt_i64_e32 vcc_lo, v[4:5], v[8:9]
	v_cndmask_b32_e64 v8, 0, 1, vcc_lo
	v_cmp_gt_i64_e32 vcc_lo, v[4:5], v[10:11]
	v_cndmask_b32_e64 v9, 0, 1, vcc_lo
	s_waitcnt lgkmcnt(2)
	v_cmp_gt_i64_e32 vcc_lo, v[4:5], v[12:13]
	v_cndmask_b32_e64 v10, 0, 1, vcc_lo
	v_cmp_gt_i64_e32 vcc_lo, v[4:5], v[14:15]
	v_cndmask_b32_e64 v11, 0, 1, vcc_lo
	s_waitcnt lgkmcnt(1)
	v_cmp_gt_i64_e32 vcc_lo, v[4:5], v[16:17]
	v_cndmask_b32_e64 v12, 0, 1, vcc_lo
	v_add_co_u32 v6, vcc_lo, v6, v8
	v_add_co_ci_u32_e32 v7, vcc_lo, 0, v7, vcc_lo
	v_cmp_gt_i64_e32 vcc_lo, v[4:5], v[18:19]
	s_delay_alu instid0(VALU_DEP_3) | instskip(NEXT) | instid1(VALU_DEP_1)
	v_add_co_u32 v6, s0, v6, v9
	v_add_co_ci_u32_e64 v7, s0, 0, v7, s0
	v_cndmask_b32_e64 v8, 0, 1, vcc_lo
	s_delay_alu instid0(VALU_DEP_3) | instskip(NEXT) | instid1(VALU_DEP_3)
	v_add_co_u32 v6, vcc_lo, v6, v10
	v_add_co_ci_u32_e32 v7, vcc_lo, 0, v7, vcc_lo
	s_waitcnt lgkmcnt(0)
	v_cmp_gt_i64_e32 vcc_lo, v[4:5], v[20:21]
	s_delay_alu instid0(VALU_DEP_3) | instskip(NEXT) | instid1(VALU_DEP_1)
	v_add_co_u32 v6, s0, v6, v11
	v_add_co_ci_u32_e64 v7, s0, 0, v7, s0
	v_cndmask_b32_e64 v9, 0, 1, vcc_lo
	s_delay_alu instid0(VALU_DEP_3) | instskip(NEXT) | instid1(VALU_DEP_3)
	v_add_co_u32 v6, vcc_lo, v6, v12
	v_add_co_ci_u32_e32 v7, vcc_lo, 0, v7, vcc_lo
	v_cmp_gt_i64_e32 vcc_lo, v[4:5], v[22:23]
	s_delay_alu instid0(VALU_DEP_3) | instskip(NEXT) | instid1(VALU_DEP_1)
	v_add_co_u32 v6, s0, v6, v8
	v_add_co_ci_u32_e64 v7, s0, 0, v7, s0
	v_cndmask_b32_e64 v8, 0, 1, vcc_lo
	s_delay_alu instid0(VALU_DEP_3) | instskip(NEXT) | instid1(VALU_DEP_3)
	v_add_co_u32 v6, vcc_lo, v6, v9
	v_add_co_ci_u32_e32 v7, vcc_lo, 0, v7, vcc_lo
	s_delay_alu instid0(VALU_DEP_2) | instskip(NEXT) | instid1(VALU_DEP_2)
	v_add_co_u32 v6, vcc_lo, v6, v8
	v_add_co_ci_u32_e32 v7, vcc_lo, 0, v7, vcc_lo
	s_cbranch_scc0 .LBB127_92
; %bb.93:                               ;   in Loop: Header=BB127_90 Depth=1
	s_mov_b64 s[0:1], s[2:3]
.LBB127_94:                             ;   in Loop: Header=BB127_90 Depth=1
	s_and_not1_b32 vcc_lo, exec_lo, s13
	s_cbranch_vccnz .LBB127_89
; %bb.95:                               ;   in Loop: Header=BB127_90 Depth=1
	s_lshl_b32 s0, s0, 3
	s_delay_alu instid0(SALU_CYCLE_1)
	s_add_i32 s10, s0, 0
	s_mov_b64 s[0:1], s[6:7]
.LBB127_96:                             ;   Parent Loop BB127_90 Depth=1
                                        ; =>  This Inner Loop Header: Depth=2
	v_mov_b32_e32 v8, s10
	s_add_i32 s10, s10, 8
	s_add_u32 s0, s0, -1
	s_addc_u32 s1, s1, -1
	s_delay_alu instid0(SALU_CYCLE_1) | instskip(SKIP_4) | instid1(VALU_DEP_1)
	s_cmp_lg_u64 s[0:1], 0
	ds_load_b64 v[8:9], v8
	s_waitcnt lgkmcnt(0)
	v_cmp_gt_i64_e32 vcc_lo, v[4:5], v[8:9]
	v_cndmask_b32_e64 v8, 0, 1, vcc_lo
	v_add_co_u32 v6, vcc_lo, v6, v8
	v_add_co_ci_u32_e32 v7, vcc_lo, 0, v7, vcc_lo
	s_cbranch_scc1 .LBB127_96
	s_branch .LBB127_89
.LBB127_97:
	s_nop 0
	s_sendmsg sendmsg(MSG_DEALLOC_VGPRS)
	s_endpgm
	.section	.rodata,"a",@progbits
	.p2align	6, 0x0
	.amdhsa_kernel _ZN9rocsparseL26csrgemm_fill_block_per_rowILj1024ELj64ELj16384ELj137ELj64ElldEEvT5_PKS1_S3_NS_24const_host_device_scalarIT6_EEPKT4_S3_PKS5_S9_S3_SB_S6_S9_S3_SB_S9_PS1_PS5_21rocsparse_index_base_SE_SE_SE_bbb
		.amdhsa_group_segment_fixed_size 0
		.amdhsa_private_segment_fixed_size 0
		.amdhsa_kernarg_size 156
		.amdhsa_user_sgpr_count 15
		.amdhsa_user_sgpr_dispatch_ptr 0
		.amdhsa_user_sgpr_queue_ptr 0
		.amdhsa_user_sgpr_kernarg_segment_ptr 1
		.amdhsa_user_sgpr_dispatch_id 0
		.amdhsa_user_sgpr_private_segment_size 0
		.amdhsa_wavefront_size32 1
		.amdhsa_uses_dynamic_stack 0
		.amdhsa_enable_private_segment 0
		.amdhsa_system_sgpr_workgroup_id_x 1
		.amdhsa_system_sgpr_workgroup_id_y 0
		.amdhsa_system_sgpr_workgroup_id_z 0
		.amdhsa_system_sgpr_workgroup_info 0
		.amdhsa_system_vgpr_workitem_id 0
		.amdhsa_next_free_vgpr 28
		.amdhsa_next_free_sgpr 46
		.amdhsa_reserve_vcc 1
		.amdhsa_float_round_mode_32 0
		.amdhsa_float_round_mode_16_64 0
		.amdhsa_float_denorm_mode_32 3
		.amdhsa_float_denorm_mode_16_64 3
		.amdhsa_dx10_clamp 1
		.amdhsa_ieee_mode 1
		.amdhsa_fp16_overflow 0
		.amdhsa_workgroup_processor_mode 1
		.amdhsa_memory_ordered 1
		.amdhsa_forward_progress 0
		.amdhsa_shared_vgpr_count 0
		.amdhsa_exception_fp_ieee_invalid_op 0
		.amdhsa_exception_fp_denorm_src 0
		.amdhsa_exception_fp_ieee_div_zero 0
		.amdhsa_exception_fp_ieee_overflow 0
		.amdhsa_exception_fp_ieee_underflow 0
		.amdhsa_exception_fp_ieee_inexact 0
		.amdhsa_exception_int_div_zero 0
	.end_amdhsa_kernel
	.section	.text._ZN9rocsparseL26csrgemm_fill_block_per_rowILj1024ELj64ELj16384ELj137ELj64ElldEEvT5_PKS1_S3_NS_24const_host_device_scalarIT6_EEPKT4_S3_PKS5_S9_S3_SB_S6_S9_S3_SB_S9_PS1_PS5_21rocsparse_index_base_SE_SE_SE_bbb,"axG",@progbits,_ZN9rocsparseL26csrgemm_fill_block_per_rowILj1024ELj64ELj16384ELj137ELj64ElldEEvT5_PKS1_S3_NS_24const_host_device_scalarIT6_EEPKT4_S3_PKS5_S9_S3_SB_S6_S9_S3_SB_S9_PS1_PS5_21rocsparse_index_base_SE_SE_SE_bbb,comdat
.Lfunc_end127:
	.size	_ZN9rocsparseL26csrgemm_fill_block_per_rowILj1024ELj64ELj16384ELj137ELj64ElldEEvT5_PKS1_S3_NS_24const_host_device_scalarIT6_EEPKT4_S3_PKS5_S9_S3_SB_S6_S9_S3_SB_S9_PS1_PS5_21rocsparse_index_base_SE_SE_SE_bbb, .Lfunc_end127-_ZN9rocsparseL26csrgemm_fill_block_per_rowILj1024ELj64ELj16384ELj137ELj64ElldEEvT5_PKS1_S3_NS_24const_host_device_scalarIT6_EEPKT4_S3_PKS5_S9_S3_SB_S6_S9_S3_SB_S9_PS1_PS5_21rocsparse_index_base_SE_SE_SE_bbb
                                        ; -- End function
	.section	.AMDGPU.csdata,"",@progbits
; Kernel info:
; codeLenInByte = 4064
; NumSgprs: 48
; NumVgprs: 28
; ScratchSize: 0
; MemoryBound: 0
; FloatMode: 240
; IeeeMode: 1
; LDSByteSize: 0 bytes/workgroup (compile time only)
; SGPRBlocks: 5
; VGPRBlocks: 3
; NumSGPRsForWavesPerEU: 48
; NumVGPRsForWavesPerEU: 28
; Occupancy: 16
; WaveLimiterHint : 1
; COMPUTE_PGM_RSRC2:SCRATCH_EN: 0
; COMPUTE_PGM_RSRC2:USER_SGPR: 15
; COMPUTE_PGM_RSRC2:TRAP_HANDLER: 0
; COMPUTE_PGM_RSRC2:TGID_X_EN: 1
; COMPUTE_PGM_RSRC2:TGID_Y_EN: 0
; COMPUTE_PGM_RSRC2:TGID_Z_EN: 0
; COMPUTE_PGM_RSRC2:TIDIG_COMP_CNT: 0
	.section	.text._ZN9rocsparseL26csrgemm_fill_block_per_rowILj1024ELj64ELj32768ELj137ELj32ElldEEvT5_PKS1_S3_NS_24const_host_device_scalarIT6_EEPKT4_S3_PKS5_S9_S3_SB_S6_S9_S3_SB_S9_PS1_PS5_21rocsparse_index_base_SE_SE_SE_bbb,"axG",@progbits,_ZN9rocsparseL26csrgemm_fill_block_per_rowILj1024ELj64ELj32768ELj137ELj32ElldEEvT5_PKS1_S3_NS_24const_host_device_scalarIT6_EEPKT4_S3_PKS5_S9_S3_SB_S6_S9_S3_SB_S9_PS1_PS5_21rocsparse_index_base_SE_SE_SE_bbb,comdat
	.globl	_ZN9rocsparseL26csrgemm_fill_block_per_rowILj1024ELj64ELj32768ELj137ELj32ElldEEvT5_PKS1_S3_NS_24const_host_device_scalarIT6_EEPKT4_S3_PKS5_S9_S3_SB_S6_S9_S3_SB_S9_PS1_PS5_21rocsparse_index_base_SE_SE_SE_bbb ; -- Begin function _ZN9rocsparseL26csrgemm_fill_block_per_rowILj1024ELj64ELj32768ELj137ELj32ElldEEvT5_PKS1_S3_NS_24const_host_device_scalarIT6_EEPKT4_S3_PKS5_S9_S3_SB_S6_S9_S3_SB_S9_PS1_PS5_21rocsparse_index_base_SE_SE_SE_bbb
	.p2align	8
	.type	_ZN9rocsparseL26csrgemm_fill_block_per_rowILj1024ELj64ELj32768ELj137ELj32ElldEEvT5_PKS1_S3_NS_24const_host_device_scalarIT6_EEPKT4_S3_PKS5_S9_S3_SB_S6_S9_S3_SB_S9_PS1_PS5_21rocsparse_index_base_SE_SE_SE_bbb,@function
_ZN9rocsparseL26csrgemm_fill_block_per_rowILj1024ELj64ELj32768ELj137ELj32ElldEEvT5_PKS1_S3_NS_24const_host_device_scalarIT6_EEPKT4_S3_PKS5_S9_S3_SB_S6_S9_S3_SB_S9_PS1_PS5_21rocsparse_index_base_SE_SE_SE_bbb: ; @_ZN9rocsparseL26csrgemm_fill_block_per_rowILj1024ELj64ELj32768ELj137ELj32ElldEEvT5_PKS1_S3_NS_24const_host_device_scalarIT6_EEPKT4_S3_PKS5_S9_S3_SB_S6_S9_S3_SB_S9_PS1_PS5_21rocsparse_index_base_SE_SE_SE_bbb
; %bb.0:
	s_clause 0x3
	s_load_b32 s3, s[0:1], 0x98
	s_load_b64 s[4:5], s[0:1], 0x18
	s_load_b128 s[44:47], s[0:1], 0x88
	s_load_b64 s[20:21], s[0:1], 0x50
	s_mov_b32 s2, s15
	s_waitcnt lgkmcnt(0)
	s_and_b32 s6, 1, s3
	s_bitcmp1_b32 s3, 16
	s_cselect_b32 s24, -1, 0
	s_cmp_eq_u32 s6, 1
	s_cselect_b32 s23, -1, 0
	s_delay_alu instid0(SALU_CYCLE_1)
	s_and_b32 s6, s23, exec_lo
	s_cselect_b32 s7, s5, 0
	s_cselect_b32 s6, s4, 0
	s_xor_b32 s8, s23, -1
	v_dual_mov_b32 v3, s6 :: v_dual_mov_b32 v4, s7
	s_or_b32 s8, s8, s24
	s_delay_alu instid0(SALU_CYCLE_1)
	s_and_b32 vcc_lo, exec_lo, s8
	s_cbranch_vccnz .LBB128_2
; %bb.1:
	v_dual_mov_b32 v1, s4 :: v_dual_mov_b32 v2, s5
	flat_load_b64 v[3:4], v[1:2]
.LBB128_2:
	s_clause 0x4
	s_load_b128 s[48:51], s[0:1], 0x78
	s_load_b256 s[36:43], s[0:1], 0x58
	s_load_b128 s[12:15], s[0:1], 0x40
	s_load_b128 s[16:19], s[0:1], 0x8
	s_load_b256 s[4:11], s[0:1], 0x20
	s_bitcmp1_b32 s3, 8
	s_cselect_b32 s22, -1, 0
	s_delay_alu instid0(SALU_CYCLE_1)
	s_and_b32 s3, s22, exec_lo
	s_cselect_b32 s27, s21, 0
	s_cselect_b32 s26, s20, 0
	s_xor_b32 s3, s22, -1
	v_dual_mov_b32 v1, s26 :: v_dual_mov_b32 v2, s27
	s_or_b32 s3, s3, s24
	s_delay_alu instid0(SALU_CYCLE_1)
	s_and_b32 vcc_lo, exec_lo, s3
	s_cbranch_vccnz .LBB128_4
; %bb.3:
	v_dual_mov_b32 v1, s20 :: v_dual_mov_b32 v2, s21
	flat_load_b64 v[1:2], v[1:2]
.LBB128_4:
	s_load_b64 s[34:35], s[0:1], 0x0
	v_mov_b32_e32 v5, 0
	v_lshl_add_u32 v19, v0, 3, 0
	v_or_b32_e32 v20, 0xfffffc00, v0
	s_mov_b32 s0, 0
	s_delay_alu instid0(VALU_DEP_1)
	v_dual_mov_b32 v9, v19 :: v_dual_mov_b32 v10, v20
	s_waitcnt lgkmcnt(0)
	v_dual_mov_b32 v7, s34 :: v_dual_mov_b32 v8, s35
	v_mov_b32_e32 v6, v5
.LBB128_5:                              ; =>This Inner Loop Header: Depth=1
	s_delay_alu instid0(VALU_DEP_3)
	v_add_nc_u32_e32 v10, 0x400, v10
	v_add_nc_u32_e32 v11, 0x40000, v9
	ds_store_b64 v9, v[7:8]
	v_add_nc_u32_e32 v9, 0x2000, v9
	v_cmp_lt_u32_e32 vcc_lo, 0x7bff, v10
	ds_store_b64 v11, v[5:6]
	s_or_b32 s0, vcc_lo, s0
	s_delay_alu instid0(SALU_CYCLE_1)
	s_and_not1_b32 exec_lo, exec_lo, s0
	s_cbranch_execnz .LBB128_5
; %bb.6:
	s_or_b32 exec_lo, exec_lo, s0
	s_waitcnt vmcnt(0) lgkmcnt(0)
	s_barrier
	buffer_gl0_inv
	s_load_b64 s[0:1], s[16:17], 0x0
	s_mov_b32 s3, 0
	s_waitcnt lgkmcnt(0)
	s_lshl_b64 s[0:1], s[0:1], 3
	s_delay_alu instid0(SALU_CYCLE_1) | instskip(SKIP_2) | instid1(SALU_CYCLE_1)
	s_add_u32 s16, s18, s0
	s_addc_u32 s17, s19, s1
	s_lshl_b64 s[0:1], s[2:3], 3
	s_add_u32 s0, s16, s0
	s_addc_u32 s1, s17, s1
	s_and_b32 vcc_lo, exec_lo, s23
	s_load_b64 s[52:53], s[0:1], 0x0
	s_cbranch_vccz .LBB128_30
; %bb.7:
	s_waitcnt lgkmcnt(0)
	s_lshl_b64 s[0:1], s[52:53], 3
	v_lshrrev_b32_e32 v5, 6, v0
	s_add_u32 s0, s4, s0
	s_addc_u32 s1, s5, s1
	s_load_b128 s[0:3], s[0:1], 0x0
	s_delay_alu instid0(VALU_DEP_1) | instskip(NEXT) | instid1(VALU_DEP_1)
	v_sub_co_u32 v5, s4, v5, s44
	v_sub_co_ci_u32_e64 v6, null, 0, 0, s4
	s_waitcnt lgkmcnt(0)
	s_delay_alu instid0(VALU_DEP_2) | instskip(NEXT) | instid1(VALU_DEP_2)
	v_add_co_u32 v5, vcc_lo, s0, v5
	v_add_co_ci_u32_e32 v6, vcc_lo, s1, v6, vcc_lo
	s_sub_u32 s0, s2, s44
	s_subb_u32 s1, s3, 0
	s_mov_b32 s2, exec_lo
	s_delay_alu instid0(VALU_DEP_1)
	v_cmpx_gt_i64_e64 s[0:1], v[5:6]
	s_cbranch_execz .LBB128_29
; %bb.8:
	v_and_b32_e32 v7, 63, v0
	s_mov_b32 s4, s45
	s_delay_alu instid0(VALU_DEP_1) | instskip(NEXT) | instid1(VALU_DEP_1)
	v_sub_co_u32 v21, s3, v7, s45
	v_sub_co_ci_u32_e64 v22, null, 0, 0, s3
	s_mov_b32 s3, 0
	s_branch .LBB128_10
.LBB128_9:                              ;   in Loop: Header=BB128_10 Depth=1
	s_or_b32 exec_lo, exec_lo, s5
	v_add_co_u32 v5, vcc_lo, v5, 16
	v_add_co_ci_u32_e32 v6, vcc_lo, 0, v6, vcc_lo
	s_delay_alu instid0(VALU_DEP_1) | instskip(SKIP_1) | instid1(SALU_CYCLE_1)
	v_cmp_le_i64_e32 vcc_lo, s[0:1], v[5:6]
	s_or_b32 s3, vcc_lo, s3
	s_and_not1_b32 exec_lo, exec_lo, s3
	s_cbranch_execz .LBB128_29
.LBB128_10:                             ; =>This Loop Header: Depth=1
                                        ;     Child Loop BB128_13 Depth 2
                                        ;       Child Loop BB128_15 Depth 3
                                        ;         Child Loop BB128_21 Depth 4
                                        ;         Child Loop BB128_27 Depth 4
	v_lshlrev_b64 v[11:12], 3, v[5:6]
	s_mov_b32 s5, exec_lo
	s_delay_alu instid0(VALU_DEP_1) | instskip(NEXT) | instid1(VALU_DEP_2)
	v_add_co_u32 v7, vcc_lo, s6, v11
	v_add_co_ci_u32_e32 v8, vcc_lo, s7, v12, vcc_lo
	global_load_b64 v[7:8], v[7:8], off
	s_waitcnt vmcnt(0)
	v_sub_co_u32 v7, vcc_lo, v7, s44
	v_subrev_co_ci_u32_e32 v8, vcc_lo, 0, v8, vcc_lo
	s_delay_alu instid0(VALU_DEP_1) | instskip(NEXT) | instid1(VALU_DEP_1)
	v_lshlrev_b64 v[7:8], 3, v[7:8]
	v_add_co_u32 v7, vcc_lo, s10, v7
	s_delay_alu instid0(VALU_DEP_2)
	v_add_co_ci_u32_e32 v8, vcc_lo, s11, v8, vcc_lo
	global_load_b128 v[13:16], v[7:8], off
	s_waitcnt vmcnt(0)
	v_sub_co_u32 v7, vcc_lo, v15, s4
	v_subrev_co_ci_u32_e32 v8, vcc_lo, 0, v16, vcc_lo
	v_add_co_u32 v9, vcc_lo, v13, v21
	v_add_co_ci_u32_e32 v10, vcc_lo, v14, v22, vcc_lo
	s_delay_alu instid0(VALU_DEP_1)
	v_cmpx_lt_i64_e64 v[9:10], v[7:8]
	s_cbranch_execz .LBB128_9
; %bb.11:                               ;   in Loop: Header=BB128_10 Depth=1
	v_add_co_u32 v11, vcc_lo, s8, v11
	v_add_co_ci_u32_e32 v12, vcc_lo, s9, v12, vcc_lo
	s_mov_b32 s16, 0
	global_load_b64 v[11:12], v[11:12], off
	s_waitcnt vmcnt(0)
	v_mul_f64 v[11:12], v[3:4], v[11:12]
	s_branch .LBB128_13
.LBB128_12:                             ;   in Loop: Header=BB128_13 Depth=2
	s_or_b32 exec_lo, exec_lo, s17
	v_add_co_u32 v9, vcc_lo, v9, 64
	v_add_co_ci_u32_e32 v10, vcc_lo, 0, v10, vcc_lo
	s_delay_alu instid0(VALU_DEP_1) | instskip(SKIP_1) | instid1(SALU_CYCLE_1)
	v_cmp_ge_i64_e32 vcc_lo, v[9:10], v[7:8]
	s_or_b32 s16, vcc_lo, s16
	s_and_not1_b32 exec_lo, exec_lo, s16
	s_cbranch_execz .LBB128_9
.LBB128_13:                             ;   Parent Loop BB128_10 Depth=1
                                        ; =>  This Loop Header: Depth=2
                                        ;       Child Loop BB128_15 Depth 3
                                        ;         Child Loop BB128_21 Depth 4
                                        ;         Child Loop BB128_27 Depth 4
	v_lshlrev_b64 v[13:14], 3, v[9:10]
	s_mov_b32 s17, 0
	s_delay_alu instid0(VALU_DEP_1) | instskip(NEXT) | instid1(VALU_DEP_2)
	v_add_co_u32 v15, vcc_lo, s14, v13
	v_add_co_ci_u32_e32 v16, vcc_lo, s15, v14, vcc_lo
	v_add_co_u32 v13, vcc_lo, s12, v13
	v_add_co_ci_u32_e32 v14, vcc_lo, s13, v14, vcc_lo
	global_load_b64 v[15:16], v[15:16], off
	global_load_b64 v[17:18], v[13:14], off
	s_waitcnt vmcnt(1)
	v_mul_f64 v[13:14], v[11:12], v[15:16]
	s_waitcnt vmcnt(0)
	v_sub_co_u32 v15, vcc_lo, v17, s4
	v_subrev_co_ci_u32_e32 v16, vcc_lo, 0, v18, vcc_lo
	s_delay_alu instid0(VALU_DEP_2) | instskip(NEXT) | instid1(VALU_DEP_1)
	v_mul_lo_u32 v17, 0x89, v15
	v_and_b32_e32 v23, 0x7fff, v17
	s_branch .LBB128_15
.LBB128_14:                             ;   in Loop: Header=BB128_15 Depth=3
	s_or_b32 exec_lo, exec_lo, s18
	s_xor_b32 s18, s19, -1
	s_delay_alu instid0(SALU_CYCLE_1) | instskip(NEXT) | instid1(SALU_CYCLE_1)
	s_and_b32 s18, exec_lo, s18
	s_or_b32 s17, s18, s17
	s_delay_alu instid0(SALU_CYCLE_1)
	s_and_not1_b32 exec_lo, exec_lo, s17
	s_cbranch_execz .LBB128_12
.LBB128_15:                             ;   Parent Loop BB128_10 Depth=1
                                        ;     Parent Loop BB128_13 Depth=2
                                        ; =>    This Loop Header: Depth=3
                                        ;         Child Loop BB128_21 Depth 4
                                        ;         Child Loop BB128_27 Depth 4
	s_delay_alu instid0(VALU_DEP_1)
	v_lshl_add_u32 v24, v23, 3, 0
	s_mov_b32 s18, exec_lo
                                        ; implicit-def: $sgpr19
	ds_load_b64 v[17:18], v24
	s_waitcnt lgkmcnt(0)
	v_cmpx_ne_u64_e64 v[17:18], v[15:16]
	s_xor_b32 s18, exec_lo, s18
	s_cbranch_execz .LBB128_25
; %bb.16:                               ;   in Loop: Header=BB128_15 Depth=3
	s_mov_b32 s20, exec_lo
                                        ; implicit-def: $sgpr19
	v_cmpx_ne_u64_e64 s[34:35], v[17:18]
	s_xor_b32 s20, exec_lo, s20
; %bb.17:                               ;   in Loop: Header=BB128_15 Depth=3
	v_add_nc_u32_e32 v17, 1, v23
	s_mov_b32 s19, -1
                                        ; implicit-def: $vgpr24
	s_delay_alu instid0(VALU_DEP_1)
	v_and_b32_e32 v23, 0x7fff, v17
; %bb.18:                               ;   in Loop: Header=BB128_15 Depth=3
	s_and_not1_saveexec_b32 s20, s20
	s_cbranch_execz .LBB128_24
; %bb.19:                               ;   in Loop: Header=BB128_15 Depth=3
	v_dual_mov_b32 v17, s34 :: v_dual_mov_b32 v18, s35
	s_mov_b32 s23, -1
	s_mov_b32 s21, exec_lo
	ds_cmpstore_rtn_b64 v[17:18], v24, v[15:16], v[17:18]
	s_waitcnt lgkmcnt(0)
	v_cmpx_eq_u64_e64 s[34:35], v[17:18]
	s_cbranch_execz .LBB128_23
; %bb.20:                               ;   in Loop: Header=BB128_15 Depth=3
	v_lshlrev_b32_e32 v17, 3, v23
	s_mov_b32 s23, 0
	s_delay_alu instid0(VALU_DEP_1)
	v_add3_u32 v24, 0, v17, 0x40000
	ds_load_b64 v[17:18], v24
.LBB128_21:                             ;   Parent Loop BB128_10 Depth=1
                                        ;     Parent Loop BB128_13 Depth=2
                                        ;       Parent Loop BB128_15 Depth=3
                                        ; =>      This Inner Loop Header: Depth=4
	s_waitcnt lgkmcnt(0)
	v_add_f64 v[25:26], v[17:18], v[13:14]
	ds_cmpstore_rtn_b64 v[25:26], v24, v[25:26], v[17:18]
	s_waitcnt lgkmcnt(0)
	v_cmp_eq_u64_e32 vcc_lo, v[25:26], v[17:18]
	v_dual_mov_b32 v17, v25 :: v_dual_mov_b32 v18, v26
	s_or_b32 s23, vcc_lo, s23
	s_delay_alu instid0(SALU_CYCLE_1)
	s_and_not1_b32 exec_lo, exec_lo, s23
	s_cbranch_execnz .LBB128_21
; %bb.22:                               ;   in Loop: Header=BB128_15 Depth=3
	s_or_b32 exec_lo, exec_lo, s23
	s_delay_alu instid0(SALU_CYCLE_1)
	s_xor_b32 s23, exec_lo, -1
.LBB128_23:                             ;   in Loop: Header=BB128_15 Depth=3
	s_or_b32 exec_lo, exec_lo, s21
	s_delay_alu instid0(SALU_CYCLE_1) | instskip(SKIP_1) | instid1(SALU_CYCLE_1)
	s_and_not1_b32 s19, s19, exec_lo
	s_and_b32 s21, s23, exec_lo
	s_or_b32 s19, s19, s21
.LBB128_24:                             ;   in Loop: Header=BB128_15 Depth=3
	s_or_b32 exec_lo, exec_lo, s20
	s_delay_alu instid0(SALU_CYCLE_1)
	s_and_b32 s19, s19, exec_lo
.LBB128_25:                             ;   in Loop: Header=BB128_15 Depth=3
	s_and_not1_saveexec_b32 s18, s18
	s_cbranch_execz .LBB128_14
; %bb.26:                               ;   in Loop: Header=BB128_15 Depth=3
	v_lshlrev_b32_e32 v17, 3, v23
	s_mov_b32 s20, 0
	s_delay_alu instid0(VALU_DEP_1)
	v_add3_u32 v24, 0, v17, 0x40000
	ds_load_b64 v[17:18], v24
.LBB128_27:                             ;   Parent Loop BB128_10 Depth=1
                                        ;     Parent Loop BB128_13 Depth=2
                                        ;       Parent Loop BB128_15 Depth=3
                                        ; =>      This Inner Loop Header: Depth=4
	s_waitcnt lgkmcnt(0)
	v_add_f64 v[25:26], v[17:18], v[13:14]
	ds_cmpstore_rtn_b64 v[25:26], v24, v[25:26], v[17:18]
	s_waitcnt lgkmcnt(0)
	v_cmp_eq_u64_e32 vcc_lo, v[25:26], v[17:18]
	v_dual_mov_b32 v17, v25 :: v_dual_mov_b32 v18, v26
	s_or_b32 s20, vcc_lo, s20
	s_delay_alu instid0(SALU_CYCLE_1)
	s_and_not1_b32 exec_lo, exec_lo, s20
	s_cbranch_execnz .LBB128_27
; %bb.28:                               ;   in Loop: Header=BB128_15 Depth=3
	s_or_b32 exec_lo, exec_lo, s20
	s_delay_alu instid0(SALU_CYCLE_1)
	s_and_not1_b32 s19, s19, exec_lo
	s_branch .LBB128_14
.LBB128_29:
	s_or_b32 exec_lo, exec_lo, s2
.LBB128_30:
	s_delay_alu instid0(SALU_CYCLE_1)
	s_and_not1_b32 vcc_lo, exec_lo, s22
	s_cbranch_vccnz .LBB128_51
; %bb.31:
	s_waitcnt lgkmcnt(0)
	s_lshl_b64 s[0:1], s[52:53], 3
	v_sub_co_u32 v3, s4, v0, s47
	s_add_u32 s0, s36, s0
	s_addc_u32 s1, s37, s1
	v_sub_co_ci_u32_e64 v4, null, 0, 0, s4
	s_load_b128 s[0:3], s[0:1], 0x0
	s_waitcnt lgkmcnt(0)
	v_add_co_u32 v3, vcc_lo, s0, v3
	s_delay_alu instid0(VALU_DEP_2)
	v_add_co_ci_u32_e32 v4, vcc_lo, s1, v4, vcc_lo
	s_sub_u32 s0, s2, s47
	s_subb_u32 s1, s3, 0
	s_mov_b32 s2, 0
	s_mov_b32 s3, exec_lo
	v_cmpx_gt_i64_e64 s[0:1], v[3:4]
	s_cbranch_execz .LBB128_50
; %bb.32:
	s_mov_b32 s4, s47
	s_branch .LBB128_34
.LBB128_33:                             ;   in Loop: Header=BB128_34 Depth=1
	s_or_b32 exec_lo, exec_lo, s5
	v_add_co_u32 v3, vcc_lo, 0x400, v3
	v_add_co_ci_u32_e32 v4, vcc_lo, 0, v4, vcc_lo
	s_delay_alu instid0(VALU_DEP_1) | instskip(SKIP_1) | instid1(SALU_CYCLE_1)
	v_cmp_le_i64_e32 vcc_lo, s[0:1], v[3:4]
	s_or_b32 s2, vcc_lo, s2
	s_and_not1_b32 exec_lo, exec_lo, s2
	s_cbranch_execz .LBB128_50
.LBB128_34:                             ; =>This Loop Header: Depth=1
                                        ;     Child Loop BB128_36 Depth 2
                                        ;       Child Loop BB128_42 Depth 3
                                        ;       Child Loop BB128_48 Depth 3
	v_lshlrev_b64 v[5:6], 3, v[3:4]
	s_mov_b32 s5, 0
	s_delay_alu instid0(VALU_DEP_1) | instskip(NEXT) | instid1(VALU_DEP_2)
	v_add_co_u32 v7, vcc_lo, s40, v5
	v_add_co_ci_u32_e32 v8, vcc_lo, s41, v6, vcc_lo
	v_add_co_u32 v5, vcc_lo, s38, v5
	v_add_co_ci_u32_e32 v6, vcc_lo, s39, v6, vcc_lo
	global_load_b64 v[7:8], v[7:8], off
	global_load_b64 v[9:10], v[5:6], off
	s_waitcnt vmcnt(1)
	v_mul_f64 v[5:6], v[1:2], v[7:8]
	s_waitcnt vmcnt(0)
	v_sub_co_u32 v7, vcc_lo, v9, s4
	v_subrev_co_ci_u32_e32 v8, vcc_lo, 0, v10, vcc_lo
	s_delay_alu instid0(VALU_DEP_2) | instskip(NEXT) | instid1(VALU_DEP_1)
	v_mul_lo_u32 v9, 0x89, v7
	v_and_b32_e32 v11, 0x7fff, v9
	s_branch .LBB128_36
.LBB128_35:                             ;   in Loop: Header=BB128_36 Depth=2
	s_or_b32 exec_lo, exec_lo, s6
	s_xor_b32 s6, s7, -1
	s_delay_alu instid0(SALU_CYCLE_1) | instskip(NEXT) | instid1(SALU_CYCLE_1)
	s_and_b32 s6, exec_lo, s6
	s_or_b32 s5, s6, s5
	s_delay_alu instid0(SALU_CYCLE_1)
	s_and_not1_b32 exec_lo, exec_lo, s5
	s_cbranch_execz .LBB128_33
.LBB128_36:                             ;   Parent Loop BB128_34 Depth=1
                                        ; =>  This Loop Header: Depth=2
                                        ;       Child Loop BB128_42 Depth 3
                                        ;       Child Loop BB128_48 Depth 3
	s_delay_alu instid0(VALU_DEP_1)
	v_lshl_add_u32 v12, v11, 3, 0
	s_mov_b32 s6, exec_lo
                                        ; implicit-def: $sgpr7
	ds_load_b64 v[9:10], v12
	s_waitcnt lgkmcnt(0)
	v_cmpx_ne_u64_e64 v[9:10], v[7:8]
	s_xor_b32 s6, exec_lo, s6
	s_cbranch_execz .LBB128_46
; %bb.37:                               ;   in Loop: Header=BB128_36 Depth=2
	s_mov_b32 s8, exec_lo
                                        ; implicit-def: $sgpr7
	v_cmpx_ne_u64_e64 s[34:35], v[9:10]
	s_xor_b32 s8, exec_lo, s8
; %bb.38:                               ;   in Loop: Header=BB128_36 Depth=2
	v_add_nc_u32_e32 v9, 1, v11
	s_mov_b32 s7, -1
                                        ; implicit-def: $vgpr12
	s_delay_alu instid0(VALU_DEP_1)
	v_and_b32_e32 v11, 0x7fff, v9
; %bb.39:                               ;   in Loop: Header=BB128_36 Depth=2
	s_and_not1_saveexec_b32 s8, s8
	s_cbranch_execz .LBB128_45
; %bb.40:                               ;   in Loop: Header=BB128_36 Depth=2
	v_dual_mov_b32 v9, s34 :: v_dual_mov_b32 v10, s35
	s_mov_b32 s10, -1
	s_mov_b32 s9, exec_lo
	ds_cmpstore_rtn_b64 v[9:10], v12, v[7:8], v[9:10]
	s_waitcnt lgkmcnt(0)
	v_cmpx_eq_u64_e64 s[34:35], v[9:10]
	s_cbranch_execz .LBB128_44
; %bb.41:                               ;   in Loop: Header=BB128_36 Depth=2
	v_lshlrev_b32_e32 v9, 3, v11
	s_mov_b32 s10, 0
	s_delay_alu instid0(VALU_DEP_1)
	v_add3_u32 v12, 0, v9, 0x40000
	ds_load_b64 v[9:10], v12
.LBB128_42:                             ;   Parent Loop BB128_34 Depth=1
                                        ;     Parent Loop BB128_36 Depth=2
                                        ; =>    This Inner Loop Header: Depth=3
	s_waitcnt lgkmcnt(0)
	v_add_f64 v[13:14], v[9:10], v[5:6]
	ds_cmpstore_rtn_b64 v[13:14], v12, v[13:14], v[9:10]
	s_waitcnt lgkmcnt(0)
	v_cmp_eq_u64_e32 vcc_lo, v[13:14], v[9:10]
	v_dual_mov_b32 v9, v13 :: v_dual_mov_b32 v10, v14
	s_or_b32 s10, vcc_lo, s10
	s_delay_alu instid0(SALU_CYCLE_1)
	s_and_not1_b32 exec_lo, exec_lo, s10
	s_cbranch_execnz .LBB128_42
; %bb.43:                               ;   in Loop: Header=BB128_36 Depth=2
	s_or_b32 exec_lo, exec_lo, s10
	s_delay_alu instid0(SALU_CYCLE_1)
	s_xor_b32 s10, exec_lo, -1
.LBB128_44:                             ;   in Loop: Header=BB128_36 Depth=2
	s_or_b32 exec_lo, exec_lo, s9
	s_delay_alu instid0(SALU_CYCLE_1) | instskip(SKIP_1) | instid1(SALU_CYCLE_1)
	s_and_not1_b32 s7, s7, exec_lo
	s_and_b32 s9, s10, exec_lo
	s_or_b32 s7, s7, s9
.LBB128_45:                             ;   in Loop: Header=BB128_36 Depth=2
	s_or_b32 exec_lo, exec_lo, s8
	s_delay_alu instid0(SALU_CYCLE_1)
	s_and_b32 s7, s7, exec_lo
.LBB128_46:                             ;   in Loop: Header=BB128_36 Depth=2
	s_and_not1_saveexec_b32 s6, s6
	s_cbranch_execz .LBB128_35
; %bb.47:                               ;   in Loop: Header=BB128_36 Depth=2
	v_lshlrev_b32_e32 v9, 3, v11
	s_mov_b32 s8, 0
	s_delay_alu instid0(VALU_DEP_1)
	v_add3_u32 v12, 0, v9, 0x40000
	ds_load_b64 v[9:10], v12
.LBB128_48:                             ;   Parent Loop BB128_34 Depth=1
                                        ;     Parent Loop BB128_36 Depth=2
                                        ; =>    This Inner Loop Header: Depth=3
	s_waitcnt lgkmcnt(0)
	v_add_f64 v[13:14], v[9:10], v[5:6]
	ds_cmpstore_rtn_b64 v[13:14], v12, v[13:14], v[9:10]
	s_waitcnt lgkmcnt(0)
	v_cmp_eq_u64_e32 vcc_lo, v[13:14], v[9:10]
	v_dual_mov_b32 v9, v13 :: v_dual_mov_b32 v10, v14
	s_or_b32 s8, vcc_lo, s8
	s_delay_alu instid0(SALU_CYCLE_1)
	s_and_not1_b32 exec_lo, exec_lo, s8
	s_cbranch_execnz .LBB128_48
; %bb.49:                               ;   in Loop: Header=BB128_36 Depth=2
	s_or_b32 exec_lo, exec_lo, s8
	s_delay_alu instid0(SALU_CYCLE_1)
	s_and_not1_b32 s7, s7, exec_lo
	s_branch .LBB128_35
.LBB128_50:
	s_or_b32 exec_lo, exec_lo, s3
.LBB128_51:
	v_mbcnt_lo_u32_b32 v1, -1, 0
	v_lshrrev_b32_e32 v2, 2, v0
	s_add_i32 s73, 0, 0x800f8
	v_cmp_eq_u32_e32 vcc_lo, 0x3ff, v0
	v_cmp_lt_u32_e64 s0, 31, v0
	v_xor_b32_e32 v1, 63, v1
	v_and_b32_e32 v3, 0xf8, v2
	v_cmp_lt_u32_e64 s1, 63, v0
	v_cmp_lt_u32_e64 s2, 0x5f, v0
	;; [unrolled: 1-line block ×3, first 2 shown]
	v_lshrrev_b64 v[1:2], v1, -1
	v_add3_u32 v12, 0, 0x80000, v3
	v_dual_mov_b32 v2, 0 :: v_dual_mov_b32 v5, 0
	v_cmp_lt_u32_e64 s4, 0x9f, v0
	v_cmp_lt_u32_e64 s5, 0xbf, v0
	;; [unrolled: 1-line block ×27, first 2 shown]
	v_mov_b32_e32 v3, 0
	v_mov_b32_e32 v13, s73
	s_mov_b32 s36, 0
	s_add_i32 s37, 0, 0x80000
	s_add_i32 s38, 0, 0x80008
	;; [unrolled: 1-line block ×31, first 2 shown]
	s_waitcnt lgkmcnt(0)
	s_barrier
	buffer_gl0_inv
	s_branch .LBB128_53
.LBB128_52:                             ;   in Loop: Header=BB128_53 Depth=1
	s_or_b32 exec_lo, exec_lo, s31
	s_waitcnt lgkmcnt(0)
	s_barrier
	buffer_gl0_inv
	ds_load_b64 v[6:7], v13
	v_add_nc_u32_e32 v20, 0x400, v20
	v_add_nc_u32_e32 v19, 0x2000, v19
	s_delay_alu instid0(VALU_DEP_2) | instskip(NEXT) | instid1(VALU_DEP_1)
	v_cmp_lt_u32_e64 s31, 0x7bff, v20
	s_or_b32 s36, s31, s36
	s_waitcnt lgkmcnt(0)
	v_add_co_u32 v2, s33, v6, v2
	s_delay_alu instid0(VALU_DEP_1)
	v_add_co_ci_u32_e64 v3, s33, v7, v3, s33
	s_and_not1_b32 exec_lo, exec_lo, s36
	s_cbranch_execz .LBB128_119
.LBB128_53:                             ; =>This Inner Loop Header: Depth=1
	ds_load_b64 v[6:7], v19
	v_add_nc_u32_e32 v4, 0x40000, v19
	ds_load_b64 v[8:9], v4
	s_waitcnt lgkmcnt(0)
	s_barrier
	buffer_gl0_inv
	v_cmp_gt_i64_e64 s31, s[34:35], v[6:7]
	s_delay_alu instid0(VALU_DEP_1) | instskip(SKIP_1) | instid1(SALU_CYCLE_1)
	v_and_b32_e32 v10, s31, v1
	s_bcnt1_i32_b32 s33, s31
	v_mov_b32_e32 v4, s33
	s_delay_alu instid0(VALU_DEP_2)
	v_bcnt_u32_b32 v10, v10, 0
	ds_store_b64 v12, v[4:5]
	s_waitcnt lgkmcnt(0)
	s_barrier
	buffer_gl0_inv
	s_and_saveexec_b32 s33, s0
	s_cbranch_execnz .LBB128_86
; %bb.54:                               ;   in Loop: Header=BB128_53 Depth=1
	s_or_b32 exec_lo, exec_lo, s33
	s_and_saveexec_b32 s33, s1
	s_cbranch_execnz .LBB128_87
.LBB128_55:                             ;   in Loop: Header=BB128_53 Depth=1
	s_or_b32 exec_lo, exec_lo, s33
	s_and_saveexec_b32 s33, s2
	s_cbranch_execnz .LBB128_88
.LBB128_56:                             ;   in Loop: Header=BB128_53 Depth=1
	s_or_b32 exec_lo, exec_lo, s33
	s_and_saveexec_b32 s33, s3
	s_cbranch_execnz .LBB128_89
.LBB128_57:                             ;   in Loop: Header=BB128_53 Depth=1
	s_or_b32 exec_lo, exec_lo, s33
	s_and_saveexec_b32 s33, s4
	s_cbranch_execnz .LBB128_90
.LBB128_58:                             ;   in Loop: Header=BB128_53 Depth=1
	s_or_b32 exec_lo, exec_lo, s33
	s_and_saveexec_b32 s33, s5
	s_cbranch_execnz .LBB128_91
.LBB128_59:                             ;   in Loop: Header=BB128_53 Depth=1
	s_or_b32 exec_lo, exec_lo, s33
	s_and_saveexec_b32 s33, s6
	s_cbranch_execnz .LBB128_92
.LBB128_60:                             ;   in Loop: Header=BB128_53 Depth=1
	s_or_b32 exec_lo, exec_lo, s33
	s_and_saveexec_b32 s33, s7
	s_cbranch_execnz .LBB128_93
.LBB128_61:                             ;   in Loop: Header=BB128_53 Depth=1
	s_or_b32 exec_lo, exec_lo, s33
	s_and_saveexec_b32 s33, s8
	s_cbranch_execnz .LBB128_94
.LBB128_62:                             ;   in Loop: Header=BB128_53 Depth=1
	s_or_b32 exec_lo, exec_lo, s33
	s_and_saveexec_b32 s33, s9
	s_cbranch_execnz .LBB128_95
.LBB128_63:                             ;   in Loop: Header=BB128_53 Depth=1
	s_or_b32 exec_lo, exec_lo, s33
	s_and_saveexec_b32 s33, s10
	s_cbranch_execnz .LBB128_96
.LBB128_64:                             ;   in Loop: Header=BB128_53 Depth=1
	s_or_b32 exec_lo, exec_lo, s33
	s_and_saveexec_b32 s33, s11
	s_cbranch_execnz .LBB128_97
.LBB128_65:                             ;   in Loop: Header=BB128_53 Depth=1
	s_or_b32 exec_lo, exec_lo, s33
	s_and_saveexec_b32 s33, s12
	s_cbranch_execnz .LBB128_98
.LBB128_66:                             ;   in Loop: Header=BB128_53 Depth=1
	s_or_b32 exec_lo, exec_lo, s33
	s_and_saveexec_b32 s33, s13
	s_cbranch_execnz .LBB128_99
.LBB128_67:                             ;   in Loop: Header=BB128_53 Depth=1
	s_or_b32 exec_lo, exec_lo, s33
	s_and_saveexec_b32 s33, s14
	s_cbranch_execnz .LBB128_100
.LBB128_68:                             ;   in Loop: Header=BB128_53 Depth=1
	s_or_b32 exec_lo, exec_lo, s33
	s_and_saveexec_b32 s33, s15
	s_cbranch_execnz .LBB128_101
.LBB128_69:                             ;   in Loop: Header=BB128_53 Depth=1
	s_or_b32 exec_lo, exec_lo, s33
	s_and_saveexec_b32 s33, s16
	s_cbranch_execnz .LBB128_102
.LBB128_70:                             ;   in Loop: Header=BB128_53 Depth=1
	s_or_b32 exec_lo, exec_lo, s33
	s_and_saveexec_b32 s33, s17
	s_cbranch_execnz .LBB128_103
.LBB128_71:                             ;   in Loop: Header=BB128_53 Depth=1
	s_or_b32 exec_lo, exec_lo, s33
	s_and_saveexec_b32 s33, s18
	s_cbranch_execnz .LBB128_104
.LBB128_72:                             ;   in Loop: Header=BB128_53 Depth=1
	s_or_b32 exec_lo, exec_lo, s33
	s_and_saveexec_b32 s33, s19
	s_cbranch_execnz .LBB128_105
.LBB128_73:                             ;   in Loop: Header=BB128_53 Depth=1
	s_or_b32 exec_lo, exec_lo, s33
	s_and_saveexec_b32 s33, s20
	s_cbranch_execnz .LBB128_106
.LBB128_74:                             ;   in Loop: Header=BB128_53 Depth=1
	s_or_b32 exec_lo, exec_lo, s33
	s_and_saveexec_b32 s33, s21
	s_cbranch_execnz .LBB128_107
.LBB128_75:                             ;   in Loop: Header=BB128_53 Depth=1
	s_or_b32 exec_lo, exec_lo, s33
	s_and_saveexec_b32 s33, s22
	s_cbranch_execnz .LBB128_108
.LBB128_76:                             ;   in Loop: Header=BB128_53 Depth=1
	s_or_b32 exec_lo, exec_lo, s33
	s_and_saveexec_b32 s33, s23
	s_cbranch_execnz .LBB128_109
.LBB128_77:                             ;   in Loop: Header=BB128_53 Depth=1
	s_or_b32 exec_lo, exec_lo, s33
	s_and_saveexec_b32 s33, s24
	s_cbranch_execnz .LBB128_110
.LBB128_78:                             ;   in Loop: Header=BB128_53 Depth=1
	s_or_b32 exec_lo, exec_lo, s33
	s_and_saveexec_b32 s33, s25
	s_cbranch_execnz .LBB128_111
.LBB128_79:                             ;   in Loop: Header=BB128_53 Depth=1
	s_or_b32 exec_lo, exec_lo, s33
	s_and_saveexec_b32 s33, s26
	s_cbranch_execnz .LBB128_112
.LBB128_80:                             ;   in Loop: Header=BB128_53 Depth=1
	s_or_b32 exec_lo, exec_lo, s33
	s_and_saveexec_b32 s33, s27
	s_cbranch_execnz .LBB128_113
.LBB128_81:                             ;   in Loop: Header=BB128_53 Depth=1
	s_or_b32 exec_lo, exec_lo, s33
	s_and_saveexec_b32 s33, s28
	s_cbranch_execnz .LBB128_114
.LBB128_82:                             ;   in Loop: Header=BB128_53 Depth=1
	s_or_b32 exec_lo, exec_lo, s33
	s_and_saveexec_b32 s33, s29
	s_cbranch_execnz .LBB128_115
.LBB128_83:                             ;   in Loop: Header=BB128_53 Depth=1
	s_or_b32 exec_lo, exec_lo, s33
	s_and_saveexec_b32 s33, s30
	s_cbranch_execnz .LBB128_116
.LBB128_84:                             ;   in Loop: Header=BB128_53 Depth=1
	s_or_b32 exec_lo, exec_lo, s33
	v_ashrrev_i32_e32 v11, 31, v10
	s_and_saveexec_b32 s33, s31
	s_cbranch_execnz .LBB128_117
.LBB128_85:                             ;   in Loop: Header=BB128_53 Depth=1
	s_or_b32 exec_lo, exec_lo, s33
	s_and_saveexec_b32 s31, vcc_lo
	s_cbranch_execz .LBB128_52
	s_branch .LBB128_118
.LBB128_86:                             ;   in Loop: Header=BB128_53 Depth=1
	v_mov_b32_e32 v4, s37
	ds_load_b32 v4, v4
	s_waitcnt lgkmcnt(0)
	v_add_nc_u32_e32 v10, v4, v10
	s_or_b32 exec_lo, exec_lo, s33
	s_and_saveexec_b32 s33, s1
	s_cbranch_execz .LBB128_55
.LBB128_87:                             ;   in Loop: Header=BB128_53 Depth=1
	v_mov_b32_e32 v4, s38
	ds_load_b32 v4, v4
	s_waitcnt lgkmcnt(0)
	v_add_nc_u32_e32 v10, v10, v4
	s_or_b32 exec_lo, exec_lo, s33
	s_and_saveexec_b32 s33, s2
	s_cbranch_execz .LBB128_56
.LBB128_88:                             ;   in Loop: Header=BB128_53 Depth=1
	v_mov_b32_e32 v4, s39
	ds_load_b32 v4, v4
	s_waitcnt lgkmcnt(0)
	v_add_nc_u32_e32 v10, v10, v4
	s_or_b32 exec_lo, exec_lo, s33
	s_and_saveexec_b32 s33, s3
	s_cbranch_execz .LBB128_57
.LBB128_89:                             ;   in Loop: Header=BB128_53 Depth=1
	v_mov_b32_e32 v4, s40
	ds_load_b32 v4, v4
	s_waitcnt lgkmcnt(0)
	v_add_nc_u32_e32 v10, v10, v4
	s_or_b32 exec_lo, exec_lo, s33
	s_and_saveexec_b32 s33, s4
	s_cbranch_execz .LBB128_58
.LBB128_90:                             ;   in Loop: Header=BB128_53 Depth=1
	v_mov_b32_e32 v4, s41
	ds_load_b32 v4, v4
	s_waitcnt lgkmcnt(0)
	v_add_nc_u32_e32 v10, v10, v4
	s_or_b32 exec_lo, exec_lo, s33
	s_and_saveexec_b32 s33, s5
	s_cbranch_execz .LBB128_59
.LBB128_91:                             ;   in Loop: Header=BB128_53 Depth=1
	v_mov_b32_e32 v4, s44
	ds_load_b32 v4, v4
	s_waitcnt lgkmcnt(0)
	v_add_nc_u32_e32 v10, v10, v4
	s_or_b32 exec_lo, exec_lo, s33
	s_and_saveexec_b32 s33, s6
	s_cbranch_execz .LBB128_60
.LBB128_92:                             ;   in Loop: Header=BB128_53 Depth=1
	v_mov_b32_e32 v4, s45
	ds_load_b32 v4, v4
	s_waitcnt lgkmcnt(0)
	v_add_nc_u32_e32 v10, v10, v4
	s_or_b32 exec_lo, exec_lo, s33
	s_and_saveexec_b32 s33, s7
	s_cbranch_execz .LBB128_61
.LBB128_93:                             ;   in Loop: Header=BB128_53 Depth=1
	v_mov_b32_e32 v4, s47
	ds_load_b32 v4, v4
	s_waitcnt lgkmcnt(0)
	v_add_nc_u32_e32 v10, v10, v4
	s_or_b32 exec_lo, exec_lo, s33
	s_and_saveexec_b32 s33, s8
	s_cbranch_execz .LBB128_62
.LBB128_94:                             ;   in Loop: Header=BB128_53 Depth=1
	v_mov_b32_e32 v4, s54
	ds_load_b32 v4, v4
	s_waitcnt lgkmcnt(0)
	v_add_nc_u32_e32 v10, v10, v4
	s_or_b32 exec_lo, exec_lo, s33
	s_and_saveexec_b32 s33, s9
	s_cbranch_execz .LBB128_63
.LBB128_95:                             ;   in Loop: Header=BB128_53 Depth=1
	v_mov_b32_e32 v4, s55
	ds_load_b32 v4, v4
	s_waitcnt lgkmcnt(0)
	v_add_nc_u32_e32 v10, v10, v4
	s_or_b32 exec_lo, exec_lo, s33
	s_and_saveexec_b32 s33, s10
	s_cbranch_execz .LBB128_64
.LBB128_96:                             ;   in Loop: Header=BB128_53 Depth=1
	v_mov_b32_e32 v4, s56
	ds_load_b32 v4, v4
	s_waitcnt lgkmcnt(0)
	v_add_nc_u32_e32 v10, v10, v4
	s_or_b32 exec_lo, exec_lo, s33
	s_and_saveexec_b32 s33, s11
	s_cbranch_execz .LBB128_65
.LBB128_97:                             ;   in Loop: Header=BB128_53 Depth=1
	v_mov_b32_e32 v4, s57
	ds_load_b32 v4, v4
	s_waitcnt lgkmcnt(0)
	v_add_nc_u32_e32 v10, v10, v4
	s_or_b32 exec_lo, exec_lo, s33
	s_and_saveexec_b32 s33, s12
	s_cbranch_execz .LBB128_66
.LBB128_98:                             ;   in Loop: Header=BB128_53 Depth=1
	v_mov_b32_e32 v4, s58
	ds_load_b32 v4, v4
	s_waitcnt lgkmcnt(0)
	v_add_nc_u32_e32 v10, v10, v4
	s_or_b32 exec_lo, exec_lo, s33
	s_and_saveexec_b32 s33, s13
	s_cbranch_execz .LBB128_67
.LBB128_99:                             ;   in Loop: Header=BB128_53 Depth=1
	v_mov_b32_e32 v4, s59
	ds_load_b32 v4, v4
	s_waitcnt lgkmcnt(0)
	v_add_nc_u32_e32 v10, v10, v4
	s_or_b32 exec_lo, exec_lo, s33
	s_and_saveexec_b32 s33, s14
	s_cbranch_execz .LBB128_68
.LBB128_100:                            ;   in Loop: Header=BB128_53 Depth=1
	v_mov_b32_e32 v4, s60
	ds_load_b32 v4, v4
	s_waitcnt lgkmcnt(0)
	v_add_nc_u32_e32 v10, v10, v4
	s_or_b32 exec_lo, exec_lo, s33
	s_and_saveexec_b32 s33, s15
	s_cbranch_execz .LBB128_69
.LBB128_101:                            ;   in Loop: Header=BB128_53 Depth=1
	v_mov_b32_e32 v4, s61
	ds_load_b32 v4, v4
	s_waitcnt lgkmcnt(0)
	v_add_nc_u32_e32 v10, v10, v4
	s_or_b32 exec_lo, exec_lo, s33
	s_and_saveexec_b32 s33, s16
	s_cbranch_execz .LBB128_70
.LBB128_102:                            ;   in Loop: Header=BB128_53 Depth=1
	v_mov_b32_e32 v4, s62
	ds_load_b32 v4, v4
	s_waitcnt lgkmcnt(0)
	v_add_nc_u32_e32 v10, v10, v4
	s_or_b32 exec_lo, exec_lo, s33
	s_and_saveexec_b32 s33, s17
	s_cbranch_execz .LBB128_71
.LBB128_103:                            ;   in Loop: Header=BB128_53 Depth=1
	v_mov_b32_e32 v4, s63
	ds_load_b32 v4, v4
	s_waitcnt lgkmcnt(0)
	v_add_nc_u32_e32 v10, v10, v4
	s_or_b32 exec_lo, exec_lo, s33
	s_and_saveexec_b32 s33, s18
	s_cbranch_execz .LBB128_72
.LBB128_104:                            ;   in Loop: Header=BB128_53 Depth=1
	v_mov_b32_e32 v4, s64
	ds_load_b32 v4, v4
	s_waitcnt lgkmcnt(0)
	v_add_nc_u32_e32 v10, v10, v4
	s_or_b32 exec_lo, exec_lo, s33
	s_and_saveexec_b32 s33, s19
	s_cbranch_execz .LBB128_73
.LBB128_105:                            ;   in Loop: Header=BB128_53 Depth=1
	v_mov_b32_e32 v4, s65
	ds_load_b32 v4, v4
	s_waitcnt lgkmcnt(0)
	v_add_nc_u32_e32 v10, v10, v4
	s_or_b32 exec_lo, exec_lo, s33
	s_and_saveexec_b32 s33, s20
	s_cbranch_execz .LBB128_74
.LBB128_106:                            ;   in Loop: Header=BB128_53 Depth=1
	v_mov_b32_e32 v4, s66
	ds_load_b32 v4, v4
	s_waitcnt lgkmcnt(0)
	v_add_nc_u32_e32 v10, v10, v4
	s_or_b32 exec_lo, exec_lo, s33
	s_and_saveexec_b32 s33, s21
	s_cbranch_execz .LBB128_75
.LBB128_107:                            ;   in Loop: Header=BB128_53 Depth=1
	v_mov_b32_e32 v4, s67
	ds_load_b32 v4, v4
	s_waitcnt lgkmcnt(0)
	v_add_nc_u32_e32 v10, v10, v4
	s_or_b32 exec_lo, exec_lo, s33
	s_and_saveexec_b32 s33, s22
	s_cbranch_execz .LBB128_76
.LBB128_108:                            ;   in Loop: Header=BB128_53 Depth=1
	v_mov_b32_e32 v4, s68
	ds_load_b32 v4, v4
	s_waitcnt lgkmcnt(0)
	v_add_nc_u32_e32 v10, v10, v4
	s_or_b32 exec_lo, exec_lo, s33
	s_and_saveexec_b32 s33, s23
	s_cbranch_execz .LBB128_77
.LBB128_109:                            ;   in Loop: Header=BB128_53 Depth=1
	v_mov_b32_e32 v4, s69
	ds_load_b32 v4, v4
	s_waitcnt lgkmcnt(0)
	v_add_nc_u32_e32 v10, v10, v4
	s_or_b32 exec_lo, exec_lo, s33
	s_and_saveexec_b32 s33, s24
	s_cbranch_execz .LBB128_78
.LBB128_110:                            ;   in Loop: Header=BB128_53 Depth=1
	v_mov_b32_e32 v4, s70
	ds_load_b32 v4, v4
	s_waitcnt lgkmcnt(0)
	v_add_nc_u32_e32 v10, v10, v4
	s_or_b32 exec_lo, exec_lo, s33
	s_and_saveexec_b32 s33, s25
	s_cbranch_execz .LBB128_79
.LBB128_111:                            ;   in Loop: Header=BB128_53 Depth=1
	v_mov_b32_e32 v4, s71
	ds_load_b32 v4, v4
	s_waitcnt lgkmcnt(0)
	v_add_nc_u32_e32 v10, v10, v4
	s_or_b32 exec_lo, exec_lo, s33
	s_and_saveexec_b32 s33, s26
	s_cbranch_execz .LBB128_80
.LBB128_112:                            ;   in Loop: Header=BB128_53 Depth=1
	v_mov_b32_e32 v4, s72
	ds_load_b32 v4, v4
	s_waitcnt lgkmcnt(0)
	v_add_nc_u32_e32 v10, v10, v4
	s_or_b32 exec_lo, exec_lo, s33
	s_and_saveexec_b32 s33, s27
	s_cbranch_execz .LBB128_81
.LBB128_113:                            ;   in Loop: Header=BB128_53 Depth=1
	v_mov_b32_e32 v4, s74
	ds_load_b32 v4, v4
	s_waitcnt lgkmcnt(0)
	v_add_nc_u32_e32 v10, v10, v4
	s_or_b32 exec_lo, exec_lo, s33
	s_and_saveexec_b32 s33, s28
	s_cbranch_execz .LBB128_82
.LBB128_114:                            ;   in Loop: Header=BB128_53 Depth=1
	v_mov_b32_e32 v4, s75
	ds_load_b32 v4, v4
	s_waitcnt lgkmcnt(0)
	v_add_nc_u32_e32 v10, v10, v4
	s_or_b32 exec_lo, exec_lo, s33
	s_and_saveexec_b32 s33, s29
	s_cbranch_execz .LBB128_83
.LBB128_115:                            ;   in Loop: Header=BB128_53 Depth=1
	v_mov_b32_e32 v4, s76
	ds_load_b32 v4, v4
	s_waitcnt lgkmcnt(0)
	v_add_nc_u32_e32 v10, v10, v4
	s_or_b32 exec_lo, exec_lo, s33
	s_and_saveexec_b32 s33, s30
	s_cbranch_execz .LBB128_84
.LBB128_116:                            ;   in Loop: Header=BB128_53 Depth=1
	v_mov_b32_e32 v4, s77
	ds_load_b32 v4, v4
	s_waitcnt lgkmcnt(0)
	v_add_nc_u32_e32 v10, v10, v4
	s_or_b32 exec_lo, exec_lo, s33
	s_delay_alu instid0(VALU_DEP_1)
	v_ashrrev_i32_e32 v11, 31, v10
	s_and_saveexec_b32 s33, s31
	s_cbranch_execz .LBB128_85
.LBB128_117:                            ;   in Loop: Header=BB128_53 Depth=1
	v_add3_u32 v4, v2, -1, v10
	s_delay_alu instid0(VALU_DEP_1) | instskip(NEXT) | instid1(VALU_DEP_1)
	v_lshl_add_u32 v4, v4, 3, 0
	v_add_nc_u32_e32 v14, 0x40000, v4
	ds_store_b64 v4, v[6:7]
	ds_store_b64 v14, v[8:9]
	s_or_b32 exec_lo, exec_lo, s33
	s_and_saveexec_b32 s31, vcc_lo
	s_cbranch_execz .LBB128_52
.LBB128_118:                            ;   in Loop: Header=BB128_53 Depth=1
	v_mov_b32_e32 v4, s73
	ds_store_b64 v4, v[10:11]
	s_branch .LBB128_52
.LBB128_119:
	s_or_b32 exec_lo, exec_lo, s36
	s_lshl_b64 s[0:1], s[52:53], 3
	v_mov_b32_e32 v1, 0
	s_add_u32 s0, s42, s0
	s_addc_u32 s1, s43, s1
	s_mov_b32 s6, exec_lo
	s_load_b128 s[0:3], s[0:1], 0x0
	s_waitcnt lgkmcnt(0)
	s_sub_u32 s4, s2, s0
	s_subb_u32 s5, s3, s1
	s_delay_alu instid0(SALU_CYCLE_1)
	v_cmpx_gt_i64_e64 s[4:5], v[0:1]
	s_cbranch_execz .LBB128_129
; %bb.120:
	s_sub_u32 s8, s0, s46
	s_subb_u32 s9, s1, 0
	s_and_b32 s6, s4, 7
	s_sub_u32 s0, s0, s2
	s_subb_u32 s1, s1, s3
	s_mov_b32 s7, 0
	v_cmp_lt_u64_e64 s12, s[0:1], -7
	s_and_b32 s2, s4, -8
	s_cmp_lg_u64 s[6:7], 0
	s_mov_b32 s3, s5
	s_cselect_b32 s13, -1, 0
	s_mov_b32 s14, s7
	s_branch .LBB128_122
.LBB128_121:                            ;   in Loop: Header=BB128_122 Depth=1
	s_waitcnt lgkmcnt(1)
	v_add_co_u32 v4, vcc_lo, v4, s46
	v_lshlrev_b64 v[6:7], 3, v[6:7]
	v_add_co_ci_u32_e32 v5, vcc_lo, 0, v5, vcc_lo
	v_add_co_u32 v0, vcc_lo, 0x400, v0
	v_add_co_ci_u32_e32 v1, vcc_lo, 0, v1, vcc_lo
	s_delay_alu instid0(VALU_DEP_4) | instskip(SKIP_1) | instid1(VALU_DEP_3)
	v_add_co_u32 v8, vcc_lo, s48, v6
	v_add_co_ci_u32_e32 v9, vcc_lo, s49, v7, vcc_lo
	v_cmp_le_i64_e32 vcc_lo, s[4:5], v[0:1]
	v_add_co_u32 v6, s0, s50, v6
	s_delay_alu instid0(VALU_DEP_1) | instskip(SKIP_4) | instid1(SALU_CYCLE_1)
	v_add_co_ci_u32_e64 v7, s0, s51, v7, s0
	global_store_b64 v[8:9], v[4:5], off
	s_waitcnt lgkmcnt(0)
	global_store_b64 v[6:7], v[2:3], off
	s_or_b32 s14, vcc_lo, s14
	s_and_not1_b32 exec_lo, exec_lo, s14
	s_cbranch_execz .LBB128_129
.LBB128_122:                            ; =>This Loop Header: Depth=1
                                        ;     Child Loop BB128_124 Depth 2
                                        ;     Child Loop BB128_128 Depth 2
	v_lshl_add_u32 v2, v0, 3, 0
	s_and_not1_b32 vcc_lo, exec_lo, s12
	s_mov_b64 s[0:1], 0
	v_dual_mov_b32 v6, s8 :: v_dual_mov_b32 v7, s9
	s_delay_alu instid0(VALU_DEP_2)
	v_add_nc_u32_e32 v3, 0x40000, v2
	ds_load_b64 v[4:5], v2
	ds_load_b64 v[2:3], v3
	s_cbranch_vccnz .LBB128_126
; %bb.123:                              ;   in Loop: Header=BB128_122 Depth=1
	v_dual_mov_b32 v6, s8 :: v_dual_mov_b32 v7, s9
	s_mov_b64 s[10:11], 0
	s_mov_b32 s1, 0
.LBB128_124:                            ;   Parent Loop BB128_122 Depth=1
                                        ; =>  This Inner Loop Header: Depth=2
	s_delay_alu instid0(SALU_CYCLE_1)
	v_mov_b32_e32 v20, s1
	s_add_u32 s10, s10, 8
	s_addc_u32 s11, s11, 0
	s_add_i32 s1, s1, 64
	s_cmp_eq_u64 s[2:3], s[10:11]
	ds_load_2addr_b64 v[8:11], v20 offset1:1
	ds_load_2addr_b64 v[12:15], v20 offset0:2 offset1:3
	ds_load_2addr_b64 v[16:19], v20 offset0:4 offset1:5
	;; [unrolled: 1-line block ×3, first 2 shown]
	s_waitcnt lgkmcnt(3)
	v_cmp_gt_i64_e32 vcc_lo, v[4:5], v[8:9]
	v_cndmask_b32_e64 v8, 0, 1, vcc_lo
	v_cmp_gt_i64_e32 vcc_lo, v[4:5], v[10:11]
	v_cndmask_b32_e64 v9, 0, 1, vcc_lo
	s_waitcnt lgkmcnt(2)
	v_cmp_gt_i64_e32 vcc_lo, v[4:5], v[12:13]
	v_cndmask_b32_e64 v10, 0, 1, vcc_lo
	v_cmp_gt_i64_e32 vcc_lo, v[4:5], v[14:15]
	v_cndmask_b32_e64 v11, 0, 1, vcc_lo
	s_waitcnt lgkmcnt(1)
	v_cmp_gt_i64_e32 vcc_lo, v[4:5], v[16:17]
	v_cndmask_b32_e64 v12, 0, 1, vcc_lo
	v_add_co_u32 v6, vcc_lo, v6, v8
	v_add_co_ci_u32_e32 v7, vcc_lo, 0, v7, vcc_lo
	v_cmp_gt_i64_e32 vcc_lo, v[4:5], v[18:19]
	s_delay_alu instid0(VALU_DEP_3) | instskip(NEXT) | instid1(VALU_DEP_1)
	v_add_co_u32 v6, s0, v6, v9
	v_add_co_ci_u32_e64 v7, s0, 0, v7, s0
	v_cndmask_b32_e64 v8, 0, 1, vcc_lo
	s_delay_alu instid0(VALU_DEP_3) | instskip(NEXT) | instid1(VALU_DEP_3)
	v_add_co_u32 v6, vcc_lo, v6, v10
	v_add_co_ci_u32_e32 v7, vcc_lo, 0, v7, vcc_lo
	s_waitcnt lgkmcnt(0)
	v_cmp_gt_i64_e32 vcc_lo, v[4:5], v[20:21]
	s_delay_alu instid0(VALU_DEP_3) | instskip(NEXT) | instid1(VALU_DEP_1)
	v_add_co_u32 v6, s0, v6, v11
	v_add_co_ci_u32_e64 v7, s0, 0, v7, s0
	v_cndmask_b32_e64 v9, 0, 1, vcc_lo
	s_delay_alu instid0(VALU_DEP_3) | instskip(NEXT) | instid1(VALU_DEP_3)
	v_add_co_u32 v6, vcc_lo, v6, v12
	v_add_co_ci_u32_e32 v7, vcc_lo, 0, v7, vcc_lo
	v_cmp_gt_i64_e32 vcc_lo, v[4:5], v[22:23]
	s_delay_alu instid0(VALU_DEP_3) | instskip(NEXT) | instid1(VALU_DEP_1)
	v_add_co_u32 v6, s0, v6, v8
	v_add_co_ci_u32_e64 v7, s0, 0, v7, s0
	v_cndmask_b32_e64 v8, 0, 1, vcc_lo
	s_delay_alu instid0(VALU_DEP_3) | instskip(NEXT) | instid1(VALU_DEP_3)
	v_add_co_u32 v6, vcc_lo, v6, v9
	v_add_co_ci_u32_e32 v7, vcc_lo, 0, v7, vcc_lo
	s_delay_alu instid0(VALU_DEP_2) | instskip(NEXT) | instid1(VALU_DEP_2)
	v_add_co_u32 v6, vcc_lo, v6, v8
	v_add_co_ci_u32_e32 v7, vcc_lo, 0, v7, vcc_lo
	s_cbranch_scc0 .LBB128_124
; %bb.125:                              ;   in Loop: Header=BB128_122 Depth=1
	s_mov_b64 s[0:1], s[2:3]
.LBB128_126:                            ;   in Loop: Header=BB128_122 Depth=1
	s_and_not1_b32 vcc_lo, exec_lo, s13
	s_cbranch_vccnz .LBB128_121
; %bb.127:                              ;   in Loop: Header=BB128_122 Depth=1
	s_lshl_b32 s0, s0, 3
	s_delay_alu instid0(SALU_CYCLE_1)
	s_add_i32 s10, s0, 0
	s_mov_b64 s[0:1], s[6:7]
.LBB128_128:                            ;   Parent Loop BB128_122 Depth=1
                                        ; =>  This Inner Loop Header: Depth=2
	v_mov_b32_e32 v8, s10
	s_add_i32 s10, s10, 8
	s_add_u32 s0, s0, -1
	s_addc_u32 s1, s1, -1
	s_delay_alu instid0(SALU_CYCLE_1) | instskip(SKIP_4) | instid1(VALU_DEP_1)
	s_cmp_lg_u64 s[0:1], 0
	ds_load_b64 v[8:9], v8
	s_waitcnt lgkmcnt(0)
	v_cmp_gt_i64_e32 vcc_lo, v[4:5], v[8:9]
	v_cndmask_b32_e64 v8, 0, 1, vcc_lo
	v_add_co_u32 v6, vcc_lo, v6, v8
	v_add_co_ci_u32_e32 v7, vcc_lo, 0, v7, vcc_lo
	s_cbranch_scc1 .LBB128_128
	s_branch .LBB128_121
.LBB128_129:
	s_nop 0
	s_sendmsg sendmsg(MSG_DEALLOC_VGPRS)
	s_endpgm
	.section	.rodata,"a",@progbits
	.p2align	6, 0x0
	.amdhsa_kernel _ZN9rocsparseL26csrgemm_fill_block_per_rowILj1024ELj64ELj32768ELj137ELj32ElldEEvT5_PKS1_S3_NS_24const_host_device_scalarIT6_EEPKT4_S3_PKS5_S9_S3_SB_S6_S9_S3_SB_S9_PS1_PS5_21rocsparse_index_base_SE_SE_SE_bbb
		.amdhsa_group_segment_fixed_size 0
		.amdhsa_private_segment_fixed_size 0
		.amdhsa_kernarg_size 156
		.amdhsa_user_sgpr_count 15
		.amdhsa_user_sgpr_dispatch_ptr 0
		.amdhsa_user_sgpr_queue_ptr 0
		.amdhsa_user_sgpr_kernarg_segment_ptr 1
		.amdhsa_user_sgpr_dispatch_id 0
		.amdhsa_user_sgpr_private_segment_size 0
		.amdhsa_wavefront_size32 1
		.amdhsa_uses_dynamic_stack 0
		.amdhsa_enable_private_segment 0
		.amdhsa_system_sgpr_workgroup_id_x 1
		.amdhsa_system_sgpr_workgroup_id_y 0
		.amdhsa_system_sgpr_workgroup_id_z 0
		.amdhsa_system_sgpr_workgroup_info 0
		.amdhsa_system_vgpr_workitem_id 0
		.amdhsa_next_free_vgpr 27
		.amdhsa_next_free_sgpr 78
		.amdhsa_reserve_vcc 1
		.amdhsa_float_round_mode_32 0
		.amdhsa_float_round_mode_16_64 0
		.amdhsa_float_denorm_mode_32 3
		.amdhsa_float_denorm_mode_16_64 3
		.amdhsa_dx10_clamp 1
		.amdhsa_ieee_mode 1
		.amdhsa_fp16_overflow 0
		.amdhsa_workgroup_processor_mode 1
		.amdhsa_memory_ordered 1
		.amdhsa_forward_progress 0
		.amdhsa_shared_vgpr_count 0
		.amdhsa_exception_fp_ieee_invalid_op 0
		.amdhsa_exception_fp_denorm_src 0
		.amdhsa_exception_fp_ieee_div_zero 0
		.amdhsa_exception_fp_ieee_overflow 0
		.amdhsa_exception_fp_ieee_underflow 0
		.amdhsa_exception_fp_ieee_inexact 0
		.amdhsa_exception_int_div_zero 0
	.end_amdhsa_kernel
	.section	.text._ZN9rocsparseL26csrgemm_fill_block_per_rowILj1024ELj64ELj32768ELj137ELj32ElldEEvT5_PKS1_S3_NS_24const_host_device_scalarIT6_EEPKT4_S3_PKS5_S9_S3_SB_S6_S9_S3_SB_S9_PS1_PS5_21rocsparse_index_base_SE_SE_SE_bbb,"axG",@progbits,_ZN9rocsparseL26csrgemm_fill_block_per_rowILj1024ELj64ELj32768ELj137ELj32ElldEEvT5_PKS1_S3_NS_24const_host_device_scalarIT6_EEPKT4_S3_PKS5_S9_S3_SB_S6_S9_S3_SB_S9_PS1_PS5_21rocsparse_index_base_SE_SE_SE_bbb,comdat
.Lfunc_end128:
	.size	_ZN9rocsparseL26csrgemm_fill_block_per_rowILj1024ELj64ELj32768ELj137ELj32ElldEEvT5_PKS1_S3_NS_24const_host_device_scalarIT6_EEPKT4_S3_PKS5_S9_S3_SB_S6_S9_S3_SB_S9_PS1_PS5_21rocsparse_index_base_SE_SE_SE_bbb, .Lfunc_end128-_ZN9rocsparseL26csrgemm_fill_block_per_rowILj1024ELj64ELj32768ELj137ELj32ElldEEvT5_PKS1_S3_NS_24const_host_device_scalarIT6_EEPKT4_S3_PKS5_S9_S3_SB_S6_S9_S3_SB_S9_PS1_PS5_21rocsparse_index_base_SE_SE_SE_bbb
                                        ; -- End function
	.section	.AMDGPU.csdata,"",@progbits
; Kernel info:
; codeLenInByte = 5088
; NumSgprs: 80
; NumVgprs: 27
; ScratchSize: 0
; MemoryBound: 0
; FloatMode: 240
; IeeeMode: 1
; LDSByteSize: 0 bytes/workgroup (compile time only)
; SGPRBlocks: 9
; VGPRBlocks: 3
; NumSGPRsForWavesPerEU: 80
; NumVGPRsForWavesPerEU: 27
; Occupancy: 16
; WaveLimiterHint : 1
; COMPUTE_PGM_RSRC2:SCRATCH_EN: 0
; COMPUTE_PGM_RSRC2:USER_SGPR: 15
; COMPUTE_PGM_RSRC2:TRAP_HANDLER: 0
; COMPUTE_PGM_RSRC2:TGID_X_EN: 1
; COMPUTE_PGM_RSRC2:TGID_Y_EN: 0
; COMPUTE_PGM_RSRC2:TGID_Z_EN: 0
; COMPUTE_PGM_RSRC2:TIDIG_COMP_CNT: 0
	.section	.text._ZN9rocsparseL26csrgemm_fill_block_per_rowILj1024ELj64ELj32768ELj137ELj64ElldEEvT5_PKS1_S3_NS_24const_host_device_scalarIT6_EEPKT4_S3_PKS5_S9_S3_SB_S6_S9_S3_SB_S9_PS1_PS5_21rocsparse_index_base_SE_SE_SE_bbb,"axG",@progbits,_ZN9rocsparseL26csrgemm_fill_block_per_rowILj1024ELj64ELj32768ELj137ELj64ElldEEvT5_PKS1_S3_NS_24const_host_device_scalarIT6_EEPKT4_S3_PKS5_S9_S3_SB_S6_S9_S3_SB_S9_PS1_PS5_21rocsparse_index_base_SE_SE_SE_bbb,comdat
	.globl	_ZN9rocsparseL26csrgemm_fill_block_per_rowILj1024ELj64ELj32768ELj137ELj64ElldEEvT5_PKS1_S3_NS_24const_host_device_scalarIT6_EEPKT4_S3_PKS5_S9_S3_SB_S6_S9_S3_SB_S9_PS1_PS5_21rocsparse_index_base_SE_SE_SE_bbb ; -- Begin function _ZN9rocsparseL26csrgemm_fill_block_per_rowILj1024ELj64ELj32768ELj137ELj64ElldEEvT5_PKS1_S3_NS_24const_host_device_scalarIT6_EEPKT4_S3_PKS5_S9_S3_SB_S6_S9_S3_SB_S9_PS1_PS5_21rocsparse_index_base_SE_SE_SE_bbb
	.p2align	8
	.type	_ZN9rocsparseL26csrgemm_fill_block_per_rowILj1024ELj64ELj32768ELj137ELj64ElldEEvT5_PKS1_S3_NS_24const_host_device_scalarIT6_EEPKT4_S3_PKS5_S9_S3_SB_S6_S9_S3_SB_S9_PS1_PS5_21rocsparse_index_base_SE_SE_SE_bbb,@function
_ZN9rocsparseL26csrgemm_fill_block_per_rowILj1024ELj64ELj32768ELj137ELj64ElldEEvT5_PKS1_S3_NS_24const_host_device_scalarIT6_EEPKT4_S3_PKS5_S9_S3_SB_S6_S9_S3_SB_S9_PS1_PS5_21rocsparse_index_base_SE_SE_SE_bbb: ; @_ZN9rocsparseL26csrgemm_fill_block_per_rowILj1024ELj64ELj32768ELj137ELj64ElldEEvT5_PKS1_S3_NS_24const_host_device_scalarIT6_EEPKT4_S3_PKS5_S9_S3_SB_S6_S9_S3_SB_S9_PS1_PS5_21rocsparse_index_base_SE_SE_SE_bbb
; %bb.0:
	s_clause 0x3
	s_load_b32 s3, s[0:1], 0x98
	s_load_b64 s[4:5], s[0:1], 0x18
	s_load_b128 s[20:23], s[0:1], 0x88
	s_load_b64 s[34:35], s[0:1], 0x50
	s_mov_b32 s2, s15
	s_waitcnt lgkmcnt(0)
	s_and_b32 s6, 1, s3
	s_bitcmp1_b32 s3, 16
	s_cselect_b32 s41, -1, 0
	s_cmp_eq_u32 s6, 1
	s_cselect_b32 s40, -1, 0
	s_delay_alu instid0(SALU_CYCLE_1)
	s_and_b32 s6, s40, exec_lo
	s_cselect_b32 s7, s5, 0
	s_cselect_b32 s6, s4, 0
	s_xor_b32 s8, s40, -1
	v_dual_mov_b32 v3, s6 :: v_dual_mov_b32 v4, s7
	s_or_b32 s8, s8, s41
	s_delay_alu instid0(SALU_CYCLE_1)
	s_and_b32 vcc_lo, exec_lo, s8
	s_cbranch_vccnz .LBB129_2
; %bb.1:
	v_dual_mov_b32 v1, s4 :: v_dual_mov_b32 v2, s5
	flat_load_b64 v[3:4], v[1:2]
.LBB129_2:
	s_clause 0x4
	s_load_b128 s[24:27], s[0:1], 0x78
	s_load_b256 s[12:19], s[0:1], 0x58
	s_load_b128 s[28:31], s[0:1], 0x40
	s_load_b128 s[36:39], s[0:1], 0x8
	s_load_b256 s[4:11], s[0:1], 0x20
	s_bitcmp1_b32 s3, 8
	s_cselect_b32 s33, -1, 0
	s_delay_alu instid0(SALU_CYCLE_1)
	s_and_b32 s3, s33, exec_lo
	s_cselect_b32 s43, s35, 0
	s_cselect_b32 s42, s34, 0
	s_xor_b32 s3, s33, -1
	v_dual_mov_b32 v1, s42 :: v_dual_mov_b32 v2, s43
	s_or_b32 s3, s3, s41
	s_delay_alu instid0(SALU_CYCLE_1)
	s_and_b32 vcc_lo, exec_lo, s3
	s_cbranch_vccnz .LBB129_4
; %bb.3:
	v_dual_mov_b32 v1, s34 :: v_dual_mov_b32 v2, s35
	flat_load_b64 v[1:2], v[1:2]
.LBB129_4:
	s_load_b64 s[34:35], s[0:1], 0x0
	v_mov_b32_e32 v5, 0
	v_lshl_add_u32 v19, v0, 3, 0
	v_or_b32_e32 v20, 0xfffffc00, v0
	s_mov_b32 s0, 0
	s_delay_alu instid0(VALU_DEP_1)
	v_dual_mov_b32 v9, v19 :: v_dual_mov_b32 v10, v20
	s_waitcnt lgkmcnt(0)
	v_dual_mov_b32 v7, s34 :: v_dual_mov_b32 v8, s35
	v_mov_b32_e32 v6, v5
.LBB129_5:                              ; =>This Inner Loop Header: Depth=1
	s_delay_alu instid0(VALU_DEP_3)
	v_add_nc_u32_e32 v10, 0x400, v10
	v_add_nc_u32_e32 v11, 0x40000, v9
	ds_store_b64 v9, v[7:8]
	v_add_nc_u32_e32 v9, 0x2000, v9
	v_cmp_lt_u32_e32 vcc_lo, 0x7bff, v10
	ds_store_b64 v11, v[5:6]
	s_or_b32 s0, vcc_lo, s0
	s_delay_alu instid0(SALU_CYCLE_1)
	s_and_not1_b32 exec_lo, exec_lo, s0
	s_cbranch_execnz .LBB129_5
; %bb.6:
	s_or_b32 exec_lo, exec_lo, s0
	s_waitcnt vmcnt(0) lgkmcnt(0)
	s_barrier
	buffer_gl0_inv
	s_load_b64 s[0:1], s[36:37], 0x0
	s_mov_b32 s3, 0
	v_lshrrev_b32_e32 v21, 6, v0
	s_waitcnt lgkmcnt(0)
	s_lshl_b64 s[0:1], s[0:1], 3
	s_delay_alu instid0(SALU_CYCLE_1) | instskip(SKIP_2) | instid1(SALU_CYCLE_1)
	s_add_u32 s36, s38, s0
	s_addc_u32 s37, s39, s1
	s_lshl_b64 s[0:1], s[2:3], 3
	s_add_u32 s0, s36, s0
	s_addc_u32 s1, s37, s1
	s_and_b32 vcc_lo, exec_lo, s40
	s_load_b64 s[36:37], s[0:1], 0x0
	s_cbranch_vccz .LBB129_30
; %bb.7:
	s_waitcnt lgkmcnt(0)
	s_lshl_b64 s[0:1], s[36:37], 3
	s_delay_alu instid0(SALU_CYCLE_1)
	s_add_u32 s0, s4, s0
	s_addc_u32 s1, s5, s1
	v_sub_co_u32 v5, s4, v21, s20
	s_load_b128 s[0:3], s[0:1], 0x0
	v_sub_co_ci_u32_e64 v6, null, 0, 0, s4
	s_waitcnt lgkmcnt(0)
	s_delay_alu instid0(VALU_DEP_2) | instskip(NEXT) | instid1(VALU_DEP_2)
	v_add_co_u32 v5, vcc_lo, s0, v5
	v_add_co_ci_u32_e32 v6, vcc_lo, s1, v6, vcc_lo
	s_sub_u32 s0, s2, s20
	s_subb_u32 s1, s3, 0
	s_mov_b32 s2, exec_lo
	s_delay_alu instid0(VALU_DEP_1)
	v_cmpx_gt_i64_e64 s[0:1], v[5:6]
	s_cbranch_execz .LBB129_29
; %bb.8:
	v_and_b32_e32 v7, 63, v0
	s_mov_b32 s4, s21
	s_delay_alu instid0(VALU_DEP_1) | instskip(NEXT) | instid1(VALU_DEP_1)
	v_sub_co_u32 v22, s3, v7, s21
	v_sub_co_ci_u32_e64 v23, null, 0, 0, s3
	s_mov_b32 s3, 0
	s_branch .LBB129_10
.LBB129_9:                              ;   in Loop: Header=BB129_10 Depth=1
	s_or_b32 exec_lo, exec_lo, s5
	v_add_co_u32 v5, vcc_lo, v5, 16
	v_add_co_ci_u32_e32 v6, vcc_lo, 0, v6, vcc_lo
	s_delay_alu instid0(VALU_DEP_1) | instskip(SKIP_1) | instid1(SALU_CYCLE_1)
	v_cmp_le_i64_e32 vcc_lo, s[0:1], v[5:6]
	s_or_b32 s3, vcc_lo, s3
	s_and_not1_b32 exec_lo, exec_lo, s3
	s_cbranch_execz .LBB129_29
.LBB129_10:                             ; =>This Loop Header: Depth=1
                                        ;     Child Loop BB129_13 Depth 2
                                        ;       Child Loop BB129_15 Depth 3
                                        ;         Child Loop BB129_21 Depth 4
                                        ;         Child Loop BB129_27 Depth 4
	v_lshlrev_b64 v[11:12], 3, v[5:6]
	s_mov_b32 s5, exec_lo
	s_delay_alu instid0(VALU_DEP_1) | instskip(NEXT) | instid1(VALU_DEP_2)
	v_add_co_u32 v7, vcc_lo, s6, v11
	v_add_co_ci_u32_e32 v8, vcc_lo, s7, v12, vcc_lo
	global_load_b64 v[7:8], v[7:8], off
	s_waitcnt vmcnt(0)
	v_sub_co_u32 v7, vcc_lo, v7, s20
	v_subrev_co_ci_u32_e32 v8, vcc_lo, 0, v8, vcc_lo
	s_delay_alu instid0(VALU_DEP_1) | instskip(NEXT) | instid1(VALU_DEP_1)
	v_lshlrev_b64 v[7:8], 3, v[7:8]
	v_add_co_u32 v7, vcc_lo, s10, v7
	s_delay_alu instid0(VALU_DEP_2)
	v_add_co_ci_u32_e32 v8, vcc_lo, s11, v8, vcc_lo
	global_load_b128 v[13:16], v[7:8], off
	s_waitcnt vmcnt(0)
	v_sub_co_u32 v7, vcc_lo, v15, s4
	v_subrev_co_ci_u32_e32 v8, vcc_lo, 0, v16, vcc_lo
	v_add_co_u32 v9, vcc_lo, v13, v22
	v_add_co_ci_u32_e32 v10, vcc_lo, v14, v23, vcc_lo
	s_delay_alu instid0(VALU_DEP_1)
	v_cmpx_lt_i64_e64 v[9:10], v[7:8]
	s_cbranch_execz .LBB129_9
; %bb.11:                               ;   in Loop: Header=BB129_10 Depth=1
	v_add_co_u32 v11, vcc_lo, s8, v11
	v_add_co_ci_u32_e32 v12, vcc_lo, s9, v12, vcc_lo
	s_mov_b32 s21, 0
	global_load_b64 v[11:12], v[11:12], off
	s_waitcnt vmcnt(0)
	v_mul_f64 v[11:12], v[3:4], v[11:12]
	s_branch .LBB129_13
.LBB129_12:                             ;   in Loop: Header=BB129_13 Depth=2
	s_or_b32 exec_lo, exec_lo, s38
	v_add_co_u32 v9, vcc_lo, v9, 64
	v_add_co_ci_u32_e32 v10, vcc_lo, 0, v10, vcc_lo
	s_delay_alu instid0(VALU_DEP_1) | instskip(SKIP_1) | instid1(SALU_CYCLE_1)
	v_cmp_ge_i64_e32 vcc_lo, v[9:10], v[7:8]
	s_or_b32 s21, vcc_lo, s21
	s_and_not1_b32 exec_lo, exec_lo, s21
	s_cbranch_execz .LBB129_9
.LBB129_13:                             ;   Parent Loop BB129_10 Depth=1
                                        ; =>  This Loop Header: Depth=2
                                        ;       Child Loop BB129_15 Depth 3
                                        ;         Child Loop BB129_21 Depth 4
                                        ;         Child Loop BB129_27 Depth 4
	v_lshlrev_b64 v[13:14], 3, v[9:10]
	s_mov_b32 s38, 0
	s_delay_alu instid0(VALU_DEP_1) | instskip(NEXT) | instid1(VALU_DEP_2)
	v_add_co_u32 v15, vcc_lo, s30, v13
	v_add_co_ci_u32_e32 v16, vcc_lo, s31, v14, vcc_lo
	v_add_co_u32 v13, vcc_lo, s28, v13
	v_add_co_ci_u32_e32 v14, vcc_lo, s29, v14, vcc_lo
	global_load_b64 v[15:16], v[15:16], off
	global_load_b64 v[17:18], v[13:14], off
	s_waitcnt vmcnt(1)
	v_mul_f64 v[13:14], v[11:12], v[15:16]
	s_waitcnt vmcnt(0)
	v_sub_co_u32 v15, vcc_lo, v17, s4
	v_subrev_co_ci_u32_e32 v16, vcc_lo, 0, v18, vcc_lo
	s_delay_alu instid0(VALU_DEP_2) | instskip(NEXT) | instid1(VALU_DEP_1)
	v_mul_lo_u32 v17, 0x89, v15
	v_and_b32_e32 v24, 0x7fff, v17
	s_branch .LBB129_15
.LBB129_14:                             ;   in Loop: Header=BB129_15 Depth=3
	s_or_b32 exec_lo, exec_lo, s39
	s_xor_b32 s39, s40, -1
	s_delay_alu instid0(SALU_CYCLE_1) | instskip(NEXT) | instid1(SALU_CYCLE_1)
	s_and_b32 s39, exec_lo, s39
	s_or_b32 s38, s39, s38
	s_delay_alu instid0(SALU_CYCLE_1)
	s_and_not1_b32 exec_lo, exec_lo, s38
	s_cbranch_execz .LBB129_12
.LBB129_15:                             ;   Parent Loop BB129_10 Depth=1
                                        ;     Parent Loop BB129_13 Depth=2
                                        ; =>    This Loop Header: Depth=3
                                        ;         Child Loop BB129_21 Depth 4
                                        ;         Child Loop BB129_27 Depth 4
	s_delay_alu instid0(VALU_DEP_1)
	v_lshl_add_u32 v25, v24, 3, 0
	s_mov_b32 s39, exec_lo
                                        ; implicit-def: $sgpr40
	ds_load_b64 v[17:18], v25
	s_waitcnt lgkmcnt(0)
	v_cmpx_ne_u64_e64 v[17:18], v[15:16]
	s_xor_b32 s39, exec_lo, s39
	s_cbranch_execz .LBB129_25
; %bb.16:                               ;   in Loop: Header=BB129_15 Depth=3
	s_mov_b32 s41, exec_lo
                                        ; implicit-def: $sgpr40
	v_cmpx_ne_u64_e64 s[34:35], v[17:18]
	s_xor_b32 s41, exec_lo, s41
; %bb.17:                               ;   in Loop: Header=BB129_15 Depth=3
	v_add_nc_u32_e32 v17, 1, v24
	s_mov_b32 s40, -1
                                        ; implicit-def: $vgpr25
	s_delay_alu instid0(VALU_DEP_1)
	v_and_b32_e32 v24, 0x7fff, v17
; %bb.18:                               ;   in Loop: Header=BB129_15 Depth=3
	s_and_not1_saveexec_b32 s41, s41
	s_cbranch_execz .LBB129_24
; %bb.19:                               ;   in Loop: Header=BB129_15 Depth=3
	v_dual_mov_b32 v17, s34 :: v_dual_mov_b32 v18, s35
	s_mov_b32 s43, -1
	s_mov_b32 s42, exec_lo
	ds_cmpstore_rtn_b64 v[17:18], v25, v[15:16], v[17:18]
	s_waitcnt lgkmcnt(0)
	v_cmpx_eq_u64_e64 s[34:35], v[17:18]
	s_cbranch_execz .LBB129_23
; %bb.20:                               ;   in Loop: Header=BB129_15 Depth=3
	v_lshlrev_b32_e32 v17, 3, v24
	s_mov_b32 s43, 0
	s_delay_alu instid0(VALU_DEP_1)
	v_add3_u32 v25, 0, v17, 0x40000
	ds_load_b64 v[17:18], v25
.LBB129_21:                             ;   Parent Loop BB129_10 Depth=1
                                        ;     Parent Loop BB129_13 Depth=2
                                        ;       Parent Loop BB129_15 Depth=3
                                        ; =>      This Inner Loop Header: Depth=4
	s_waitcnt lgkmcnt(0)
	v_add_f64 v[26:27], v[17:18], v[13:14]
	ds_cmpstore_rtn_b64 v[26:27], v25, v[26:27], v[17:18]
	s_waitcnt lgkmcnt(0)
	v_cmp_eq_u64_e32 vcc_lo, v[26:27], v[17:18]
	v_dual_mov_b32 v17, v26 :: v_dual_mov_b32 v18, v27
	s_or_b32 s43, vcc_lo, s43
	s_delay_alu instid0(SALU_CYCLE_1)
	s_and_not1_b32 exec_lo, exec_lo, s43
	s_cbranch_execnz .LBB129_21
; %bb.22:                               ;   in Loop: Header=BB129_15 Depth=3
	s_or_b32 exec_lo, exec_lo, s43
	s_delay_alu instid0(SALU_CYCLE_1)
	s_xor_b32 s43, exec_lo, -1
.LBB129_23:                             ;   in Loop: Header=BB129_15 Depth=3
	s_or_b32 exec_lo, exec_lo, s42
	s_delay_alu instid0(SALU_CYCLE_1) | instskip(SKIP_1) | instid1(SALU_CYCLE_1)
	s_and_not1_b32 s40, s40, exec_lo
	s_and_b32 s42, s43, exec_lo
	s_or_b32 s40, s40, s42
.LBB129_24:                             ;   in Loop: Header=BB129_15 Depth=3
	s_or_b32 exec_lo, exec_lo, s41
	s_delay_alu instid0(SALU_CYCLE_1)
	s_and_b32 s40, s40, exec_lo
.LBB129_25:                             ;   in Loop: Header=BB129_15 Depth=3
	s_and_not1_saveexec_b32 s39, s39
	s_cbranch_execz .LBB129_14
; %bb.26:                               ;   in Loop: Header=BB129_15 Depth=3
	v_lshlrev_b32_e32 v17, 3, v24
	s_mov_b32 s41, 0
	s_delay_alu instid0(VALU_DEP_1)
	v_add3_u32 v25, 0, v17, 0x40000
	ds_load_b64 v[17:18], v25
.LBB129_27:                             ;   Parent Loop BB129_10 Depth=1
                                        ;     Parent Loop BB129_13 Depth=2
                                        ;       Parent Loop BB129_15 Depth=3
                                        ; =>      This Inner Loop Header: Depth=4
	s_waitcnt lgkmcnt(0)
	v_add_f64 v[26:27], v[17:18], v[13:14]
	ds_cmpstore_rtn_b64 v[26:27], v25, v[26:27], v[17:18]
	s_waitcnt lgkmcnt(0)
	v_cmp_eq_u64_e32 vcc_lo, v[26:27], v[17:18]
	v_dual_mov_b32 v17, v26 :: v_dual_mov_b32 v18, v27
	s_or_b32 s41, vcc_lo, s41
	s_delay_alu instid0(SALU_CYCLE_1)
	s_and_not1_b32 exec_lo, exec_lo, s41
	s_cbranch_execnz .LBB129_27
; %bb.28:                               ;   in Loop: Header=BB129_15 Depth=3
	s_or_b32 exec_lo, exec_lo, s41
	s_delay_alu instid0(SALU_CYCLE_1)
	s_and_not1_b32 s40, s40, exec_lo
	s_branch .LBB129_14
.LBB129_29:
	s_or_b32 exec_lo, exec_lo, s2
.LBB129_30:
	s_delay_alu instid0(SALU_CYCLE_1)
	s_and_not1_b32 vcc_lo, exec_lo, s33
	s_cbranch_vccnz .LBB129_51
; %bb.31:
	s_waitcnt lgkmcnt(0)
	s_lshl_b64 s[0:1], s[36:37], 3
	v_sub_co_u32 v3, s4, v0, s23
	s_add_u32 s0, s12, s0
	s_addc_u32 s1, s13, s1
	v_sub_co_ci_u32_e64 v4, null, 0, 0, s4
	s_load_b128 s[0:3], s[0:1], 0x0
	s_waitcnt lgkmcnt(0)
	v_add_co_u32 v3, vcc_lo, s0, v3
	s_delay_alu instid0(VALU_DEP_2)
	v_add_co_ci_u32_e32 v4, vcc_lo, s1, v4, vcc_lo
	s_sub_u32 s0, s2, s23
	s_subb_u32 s1, s3, 0
	s_mov_b32 s2, 0
	s_mov_b32 s3, exec_lo
	v_cmpx_gt_i64_e64 s[0:1], v[3:4]
	s_cbranch_execz .LBB129_50
; %bb.32:
	s_mov_b32 s4, s23
	s_branch .LBB129_34
.LBB129_33:                             ;   in Loop: Header=BB129_34 Depth=1
	s_or_b32 exec_lo, exec_lo, s5
	v_add_co_u32 v3, vcc_lo, 0x400, v3
	v_add_co_ci_u32_e32 v4, vcc_lo, 0, v4, vcc_lo
	s_delay_alu instid0(VALU_DEP_1) | instskip(SKIP_1) | instid1(SALU_CYCLE_1)
	v_cmp_le_i64_e32 vcc_lo, s[0:1], v[3:4]
	s_or_b32 s2, vcc_lo, s2
	s_and_not1_b32 exec_lo, exec_lo, s2
	s_cbranch_execz .LBB129_50
.LBB129_34:                             ; =>This Loop Header: Depth=1
                                        ;     Child Loop BB129_36 Depth 2
                                        ;       Child Loop BB129_42 Depth 3
                                        ;       Child Loop BB129_48 Depth 3
	v_lshlrev_b64 v[5:6], 3, v[3:4]
	s_mov_b32 s5, 0
	s_delay_alu instid0(VALU_DEP_1) | instskip(NEXT) | instid1(VALU_DEP_2)
	v_add_co_u32 v7, vcc_lo, s16, v5
	v_add_co_ci_u32_e32 v8, vcc_lo, s17, v6, vcc_lo
	v_add_co_u32 v5, vcc_lo, s14, v5
	v_add_co_ci_u32_e32 v6, vcc_lo, s15, v6, vcc_lo
	global_load_b64 v[7:8], v[7:8], off
	global_load_b64 v[9:10], v[5:6], off
	s_waitcnt vmcnt(1)
	v_mul_f64 v[5:6], v[1:2], v[7:8]
	s_waitcnt vmcnt(0)
	v_sub_co_u32 v7, vcc_lo, v9, s4
	v_subrev_co_ci_u32_e32 v8, vcc_lo, 0, v10, vcc_lo
	s_delay_alu instid0(VALU_DEP_2) | instskip(NEXT) | instid1(VALU_DEP_1)
	v_mul_lo_u32 v9, 0x89, v7
	v_and_b32_e32 v11, 0x7fff, v9
	s_branch .LBB129_36
.LBB129_35:                             ;   in Loop: Header=BB129_36 Depth=2
	s_or_b32 exec_lo, exec_lo, s6
	s_xor_b32 s6, s7, -1
	s_delay_alu instid0(SALU_CYCLE_1) | instskip(NEXT) | instid1(SALU_CYCLE_1)
	s_and_b32 s6, exec_lo, s6
	s_or_b32 s5, s6, s5
	s_delay_alu instid0(SALU_CYCLE_1)
	s_and_not1_b32 exec_lo, exec_lo, s5
	s_cbranch_execz .LBB129_33
.LBB129_36:                             ;   Parent Loop BB129_34 Depth=1
                                        ; =>  This Loop Header: Depth=2
                                        ;       Child Loop BB129_42 Depth 3
                                        ;       Child Loop BB129_48 Depth 3
	s_delay_alu instid0(VALU_DEP_1)
	v_lshl_add_u32 v12, v11, 3, 0
	s_mov_b32 s6, exec_lo
                                        ; implicit-def: $sgpr7
	ds_load_b64 v[9:10], v12
	s_waitcnt lgkmcnt(0)
	v_cmpx_ne_u64_e64 v[9:10], v[7:8]
	s_xor_b32 s6, exec_lo, s6
	s_cbranch_execz .LBB129_46
; %bb.37:                               ;   in Loop: Header=BB129_36 Depth=2
	s_mov_b32 s8, exec_lo
                                        ; implicit-def: $sgpr7
	v_cmpx_ne_u64_e64 s[34:35], v[9:10]
	s_xor_b32 s8, exec_lo, s8
; %bb.38:                               ;   in Loop: Header=BB129_36 Depth=2
	v_add_nc_u32_e32 v9, 1, v11
	s_mov_b32 s7, -1
                                        ; implicit-def: $vgpr12
	s_delay_alu instid0(VALU_DEP_1)
	v_and_b32_e32 v11, 0x7fff, v9
; %bb.39:                               ;   in Loop: Header=BB129_36 Depth=2
	s_and_not1_saveexec_b32 s8, s8
	s_cbranch_execz .LBB129_45
; %bb.40:                               ;   in Loop: Header=BB129_36 Depth=2
	v_dual_mov_b32 v9, s34 :: v_dual_mov_b32 v10, s35
	s_mov_b32 s10, -1
	s_mov_b32 s9, exec_lo
	ds_cmpstore_rtn_b64 v[9:10], v12, v[7:8], v[9:10]
	s_waitcnt lgkmcnt(0)
	v_cmpx_eq_u64_e64 s[34:35], v[9:10]
	s_cbranch_execz .LBB129_44
; %bb.41:                               ;   in Loop: Header=BB129_36 Depth=2
	v_lshlrev_b32_e32 v9, 3, v11
	s_mov_b32 s10, 0
	s_delay_alu instid0(VALU_DEP_1)
	v_add3_u32 v12, 0, v9, 0x40000
	ds_load_b64 v[9:10], v12
.LBB129_42:                             ;   Parent Loop BB129_34 Depth=1
                                        ;     Parent Loop BB129_36 Depth=2
                                        ; =>    This Inner Loop Header: Depth=3
	s_waitcnt lgkmcnt(0)
	v_add_f64 v[13:14], v[9:10], v[5:6]
	ds_cmpstore_rtn_b64 v[13:14], v12, v[13:14], v[9:10]
	s_waitcnt lgkmcnt(0)
	v_cmp_eq_u64_e32 vcc_lo, v[13:14], v[9:10]
	v_dual_mov_b32 v9, v13 :: v_dual_mov_b32 v10, v14
	s_or_b32 s10, vcc_lo, s10
	s_delay_alu instid0(SALU_CYCLE_1)
	s_and_not1_b32 exec_lo, exec_lo, s10
	s_cbranch_execnz .LBB129_42
; %bb.43:                               ;   in Loop: Header=BB129_36 Depth=2
	s_or_b32 exec_lo, exec_lo, s10
	s_delay_alu instid0(SALU_CYCLE_1)
	s_xor_b32 s10, exec_lo, -1
.LBB129_44:                             ;   in Loop: Header=BB129_36 Depth=2
	s_or_b32 exec_lo, exec_lo, s9
	s_delay_alu instid0(SALU_CYCLE_1) | instskip(SKIP_1) | instid1(SALU_CYCLE_1)
	s_and_not1_b32 s7, s7, exec_lo
	s_and_b32 s9, s10, exec_lo
	s_or_b32 s7, s7, s9
.LBB129_45:                             ;   in Loop: Header=BB129_36 Depth=2
	s_or_b32 exec_lo, exec_lo, s8
	s_delay_alu instid0(SALU_CYCLE_1)
	s_and_b32 s7, s7, exec_lo
.LBB129_46:                             ;   in Loop: Header=BB129_36 Depth=2
	s_and_not1_saveexec_b32 s6, s6
	s_cbranch_execz .LBB129_35
; %bb.47:                               ;   in Loop: Header=BB129_36 Depth=2
	v_lshlrev_b32_e32 v9, 3, v11
	s_mov_b32 s8, 0
	s_delay_alu instid0(VALU_DEP_1)
	v_add3_u32 v12, 0, v9, 0x40000
	ds_load_b64 v[9:10], v12
.LBB129_48:                             ;   Parent Loop BB129_34 Depth=1
                                        ;     Parent Loop BB129_36 Depth=2
                                        ; =>    This Inner Loop Header: Depth=3
	s_waitcnt lgkmcnt(0)
	v_add_f64 v[13:14], v[9:10], v[5:6]
	ds_cmpstore_rtn_b64 v[13:14], v12, v[13:14], v[9:10]
	s_waitcnt lgkmcnt(0)
	v_cmp_eq_u64_e32 vcc_lo, v[13:14], v[9:10]
	v_dual_mov_b32 v9, v13 :: v_dual_mov_b32 v10, v14
	s_or_b32 s8, vcc_lo, s8
	s_delay_alu instid0(SALU_CYCLE_1)
	s_and_not1_b32 exec_lo, exec_lo, s8
	s_cbranch_execnz .LBB129_48
; %bb.49:                               ;   in Loop: Header=BB129_36 Depth=2
	s_or_b32 exec_lo, exec_lo, s8
	s_delay_alu instid0(SALU_CYCLE_1)
	s_and_not1_b32 s7, s7, exec_lo
	s_branch .LBB129_35
.LBB129_50:
	s_or_b32 exec_lo, exec_lo, s3
.LBB129_51:
	v_mbcnt_lo_u32_b32 v1, -1, 0
	v_dual_mov_b32 v5, 0 :: v_dual_lshlrev_b32 v2, 3, v21
	s_add_i32 s41, 0, 0x80078
	v_cmp_eq_u32_e32 vcc_lo, 0x3ff, v0
	s_delay_alu instid0(VALU_DEP_3) | instskip(NEXT) | instid1(VALU_DEP_3)
	v_xor_b32_e32 v1, 63, v1
	v_add3_u32 v12, 0, 0x80000, v2
	v_cmp_lt_u32_e64 s0, 63, v0
	v_cmp_lt_u32_e64 s1, 0x7f, v0
	;; [unrolled: 1-line block ×3, first 2 shown]
	v_lshrrev_b64 v[1:2], v1, -1
	v_dual_mov_b32 v2, 0 :: v_dual_mov_b32 v13, s41
	v_cmp_lt_u32_e64 s3, 0xff, v0
	v_cmp_lt_u32_e64 s4, 0x13f, v0
	;; [unrolled: 1-line block ×12, first 2 shown]
	v_mov_b32_e32 v3, 0
	s_mov_b32 s17, 0
	s_add_i32 s20, 0, 0x80000
	s_add_i32 s21, 0, 0x80008
	;; [unrolled: 1-line block ×15, first 2 shown]
	s_waitcnt lgkmcnt(0)
	s_barrier
	buffer_gl0_inv
	s_branch .LBB129_53
.LBB129_52:                             ;   in Loop: Header=BB129_53 Depth=1
	s_or_b32 exec_lo, exec_lo, s15
	s_waitcnt lgkmcnt(0)
	s_barrier
	buffer_gl0_inv
	ds_load_b64 v[6:7], v13
	v_add_nc_u32_e32 v20, 0x400, v20
	v_add_nc_u32_e32 v19, 0x2000, v19
	s_delay_alu instid0(VALU_DEP_2) | instskip(NEXT) | instid1(VALU_DEP_1)
	v_cmp_lt_u32_e64 s15, 0x7bff, v20
	s_or_b32 s17, s15, s17
	s_waitcnt lgkmcnt(0)
	v_add_co_u32 v2, s16, v6, v2
	s_delay_alu instid0(VALU_DEP_1)
	v_add_co_ci_u32_e64 v3, s16, v7, v3, s16
	s_and_not1_b32 exec_lo, exec_lo, s17
	s_cbranch_execz .LBB129_87
.LBB129_53:                             ; =>This Inner Loop Header: Depth=1
	ds_load_b64 v[6:7], v19
	v_add_nc_u32_e32 v4, 0x40000, v19
	ds_load_b64 v[8:9], v4
	s_waitcnt lgkmcnt(0)
	s_barrier
	buffer_gl0_inv
	v_cmp_gt_i64_e64 s15, s[34:35], v[6:7]
	s_delay_alu instid0(VALU_DEP_1) | instskip(SKIP_1) | instid1(SALU_CYCLE_1)
	v_and_b32_e32 v10, s15, v1
	s_bcnt1_i32_b32 s16, s15
	v_mov_b32_e32 v4, s16
	s_delay_alu instid0(VALU_DEP_2)
	v_bcnt_u32_b32 v10, v10, 0
	ds_store_b64 v12, v[4:5]
	s_waitcnt lgkmcnt(0)
	s_barrier
	buffer_gl0_inv
	s_and_saveexec_b32 s16, s0
	s_cbranch_execnz .LBB129_70
; %bb.54:                               ;   in Loop: Header=BB129_53 Depth=1
	s_or_b32 exec_lo, exec_lo, s16
	s_and_saveexec_b32 s16, s1
	s_cbranch_execnz .LBB129_71
.LBB129_55:                             ;   in Loop: Header=BB129_53 Depth=1
	s_or_b32 exec_lo, exec_lo, s16
	s_and_saveexec_b32 s16, s2
	s_cbranch_execnz .LBB129_72
.LBB129_56:                             ;   in Loop: Header=BB129_53 Depth=1
	s_or_b32 exec_lo, exec_lo, s16
	s_and_saveexec_b32 s16, s3
	s_cbranch_execnz .LBB129_73
.LBB129_57:                             ;   in Loop: Header=BB129_53 Depth=1
	s_or_b32 exec_lo, exec_lo, s16
	s_and_saveexec_b32 s16, s4
	s_cbranch_execnz .LBB129_74
.LBB129_58:                             ;   in Loop: Header=BB129_53 Depth=1
	s_or_b32 exec_lo, exec_lo, s16
	s_and_saveexec_b32 s16, s5
	s_cbranch_execnz .LBB129_75
.LBB129_59:                             ;   in Loop: Header=BB129_53 Depth=1
	s_or_b32 exec_lo, exec_lo, s16
	s_and_saveexec_b32 s16, s6
	s_cbranch_execnz .LBB129_76
.LBB129_60:                             ;   in Loop: Header=BB129_53 Depth=1
	s_or_b32 exec_lo, exec_lo, s16
	s_and_saveexec_b32 s16, s7
	s_cbranch_execnz .LBB129_77
.LBB129_61:                             ;   in Loop: Header=BB129_53 Depth=1
	s_or_b32 exec_lo, exec_lo, s16
	s_and_saveexec_b32 s16, s8
	s_cbranch_execnz .LBB129_78
.LBB129_62:                             ;   in Loop: Header=BB129_53 Depth=1
	s_or_b32 exec_lo, exec_lo, s16
	s_and_saveexec_b32 s16, s9
	s_cbranch_execnz .LBB129_79
.LBB129_63:                             ;   in Loop: Header=BB129_53 Depth=1
	s_or_b32 exec_lo, exec_lo, s16
	s_and_saveexec_b32 s16, s10
	s_cbranch_execnz .LBB129_80
.LBB129_64:                             ;   in Loop: Header=BB129_53 Depth=1
	s_or_b32 exec_lo, exec_lo, s16
	s_and_saveexec_b32 s16, s11
	s_cbranch_execnz .LBB129_81
.LBB129_65:                             ;   in Loop: Header=BB129_53 Depth=1
	s_or_b32 exec_lo, exec_lo, s16
	s_and_saveexec_b32 s16, s12
	s_cbranch_execnz .LBB129_82
.LBB129_66:                             ;   in Loop: Header=BB129_53 Depth=1
	s_or_b32 exec_lo, exec_lo, s16
	s_and_saveexec_b32 s16, s13
	s_cbranch_execnz .LBB129_83
.LBB129_67:                             ;   in Loop: Header=BB129_53 Depth=1
	s_or_b32 exec_lo, exec_lo, s16
	s_and_saveexec_b32 s16, s14
	s_cbranch_execnz .LBB129_84
.LBB129_68:                             ;   in Loop: Header=BB129_53 Depth=1
	s_or_b32 exec_lo, exec_lo, s16
	v_ashrrev_i32_e32 v11, 31, v10
	s_and_saveexec_b32 s16, s15
	s_cbranch_execnz .LBB129_85
.LBB129_69:                             ;   in Loop: Header=BB129_53 Depth=1
	s_or_b32 exec_lo, exec_lo, s16
	s_and_saveexec_b32 s15, vcc_lo
	s_cbranch_execz .LBB129_52
	s_branch .LBB129_86
.LBB129_70:                             ;   in Loop: Header=BB129_53 Depth=1
	v_mov_b32_e32 v4, s20
	ds_load_b32 v4, v4
	s_waitcnt lgkmcnt(0)
	v_add_nc_u32_e32 v10, v4, v10
	s_or_b32 exec_lo, exec_lo, s16
	s_and_saveexec_b32 s16, s1
	s_cbranch_execz .LBB129_55
.LBB129_71:                             ;   in Loop: Header=BB129_53 Depth=1
	v_mov_b32_e32 v4, s21
	ds_load_b32 v4, v4
	s_waitcnt lgkmcnt(0)
	v_add_nc_u32_e32 v10, v10, v4
	s_or_b32 exec_lo, exec_lo, s16
	s_and_saveexec_b32 s16, s2
	s_cbranch_execz .LBB129_56
.LBB129_72:                             ;   in Loop: Header=BB129_53 Depth=1
	v_mov_b32_e32 v4, s23
	ds_load_b32 v4, v4
	s_waitcnt lgkmcnt(0)
	v_add_nc_u32_e32 v10, v10, v4
	s_or_b32 exec_lo, exec_lo, s16
	s_and_saveexec_b32 s16, s3
	s_cbranch_execz .LBB129_57
.LBB129_73:                             ;   in Loop: Header=BB129_53 Depth=1
	v_mov_b32_e32 v4, s28
	ds_load_b32 v4, v4
	s_waitcnt lgkmcnt(0)
	v_add_nc_u32_e32 v10, v10, v4
	s_or_b32 exec_lo, exec_lo, s16
	s_and_saveexec_b32 s16, s4
	s_cbranch_execz .LBB129_58
.LBB129_74:                             ;   in Loop: Header=BB129_53 Depth=1
	v_mov_b32_e32 v4, s29
	ds_load_b32 v4, v4
	s_waitcnt lgkmcnt(0)
	v_add_nc_u32_e32 v10, v10, v4
	s_or_b32 exec_lo, exec_lo, s16
	s_and_saveexec_b32 s16, s5
	s_cbranch_execz .LBB129_59
.LBB129_75:                             ;   in Loop: Header=BB129_53 Depth=1
	v_mov_b32_e32 v4, s30
	ds_load_b32 v4, v4
	s_waitcnt lgkmcnt(0)
	v_add_nc_u32_e32 v10, v10, v4
	s_or_b32 exec_lo, exec_lo, s16
	s_and_saveexec_b32 s16, s6
	s_cbranch_execz .LBB129_60
.LBB129_76:                             ;   in Loop: Header=BB129_53 Depth=1
	v_mov_b32_e32 v4, s31
	ds_load_b32 v4, v4
	s_waitcnt lgkmcnt(0)
	v_add_nc_u32_e32 v10, v10, v4
	s_or_b32 exec_lo, exec_lo, s16
	s_and_saveexec_b32 s16, s7
	s_cbranch_execz .LBB129_61
.LBB129_77:                             ;   in Loop: Header=BB129_53 Depth=1
	v_mov_b32_e32 v4, s33
	ds_load_b32 v4, v4
	s_waitcnt lgkmcnt(0)
	v_add_nc_u32_e32 v10, v10, v4
	s_or_b32 exec_lo, exec_lo, s16
	s_and_saveexec_b32 s16, s8
	s_cbranch_execz .LBB129_62
.LBB129_78:                             ;   in Loop: Header=BB129_53 Depth=1
	v_mov_b32_e32 v4, s38
	ds_load_b32 v4, v4
	s_waitcnt lgkmcnt(0)
	v_add_nc_u32_e32 v10, v10, v4
	s_or_b32 exec_lo, exec_lo, s16
	s_and_saveexec_b32 s16, s9
	s_cbranch_execz .LBB129_63
.LBB129_79:                             ;   in Loop: Header=BB129_53 Depth=1
	v_mov_b32_e32 v4, s39
	ds_load_b32 v4, v4
	s_waitcnt lgkmcnt(0)
	v_add_nc_u32_e32 v10, v10, v4
	s_or_b32 exec_lo, exec_lo, s16
	s_and_saveexec_b32 s16, s10
	s_cbranch_execz .LBB129_64
.LBB129_80:                             ;   in Loop: Header=BB129_53 Depth=1
	v_mov_b32_e32 v4, s40
	ds_load_b32 v4, v4
	s_waitcnt lgkmcnt(0)
	v_add_nc_u32_e32 v10, v10, v4
	s_or_b32 exec_lo, exec_lo, s16
	s_and_saveexec_b32 s16, s11
	s_cbranch_execz .LBB129_65
.LBB129_81:                             ;   in Loop: Header=BB129_53 Depth=1
	v_mov_b32_e32 v4, s42
	ds_load_b32 v4, v4
	s_waitcnt lgkmcnt(0)
	v_add_nc_u32_e32 v10, v10, v4
	s_or_b32 exec_lo, exec_lo, s16
	s_and_saveexec_b32 s16, s12
	s_cbranch_execz .LBB129_66
.LBB129_82:                             ;   in Loop: Header=BB129_53 Depth=1
	v_mov_b32_e32 v4, s43
	ds_load_b32 v4, v4
	s_waitcnt lgkmcnt(0)
	v_add_nc_u32_e32 v10, v10, v4
	s_or_b32 exec_lo, exec_lo, s16
	s_and_saveexec_b32 s16, s13
	s_cbranch_execz .LBB129_67
.LBB129_83:                             ;   in Loop: Header=BB129_53 Depth=1
	v_mov_b32_e32 v4, s44
	ds_load_b32 v4, v4
	s_waitcnt lgkmcnt(0)
	v_add_nc_u32_e32 v10, v10, v4
	s_or_b32 exec_lo, exec_lo, s16
	s_and_saveexec_b32 s16, s14
	s_cbranch_execz .LBB129_68
.LBB129_84:                             ;   in Loop: Header=BB129_53 Depth=1
	v_mov_b32_e32 v4, s45
	ds_load_b32 v4, v4
	s_waitcnt lgkmcnt(0)
	v_add_nc_u32_e32 v10, v10, v4
	s_or_b32 exec_lo, exec_lo, s16
	s_delay_alu instid0(VALU_DEP_1)
	v_ashrrev_i32_e32 v11, 31, v10
	s_and_saveexec_b32 s16, s15
	s_cbranch_execz .LBB129_69
.LBB129_85:                             ;   in Loop: Header=BB129_53 Depth=1
	v_add3_u32 v4, v2, -1, v10
	s_delay_alu instid0(VALU_DEP_1) | instskip(NEXT) | instid1(VALU_DEP_1)
	v_lshl_add_u32 v4, v4, 3, 0
	v_add_nc_u32_e32 v14, 0x40000, v4
	ds_store_b64 v4, v[6:7]
	ds_store_b64 v14, v[8:9]
	s_or_b32 exec_lo, exec_lo, s16
	s_and_saveexec_b32 s15, vcc_lo
	s_cbranch_execz .LBB129_52
.LBB129_86:                             ;   in Loop: Header=BB129_53 Depth=1
	v_mov_b32_e32 v4, s41
	ds_store_b64 v4, v[10:11]
	s_branch .LBB129_52
.LBB129_87:
	s_or_b32 exec_lo, exec_lo, s17
	s_lshl_b64 s[0:1], s[36:37], 3
	v_mov_b32_e32 v1, 0
	s_add_u32 s0, s18, s0
	s_addc_u32 s1, s19, s1
	s_mov_b32 s6, exec_lo
	s_load_b128 s[0:3], s[0:1], 0x0
	s_waitcnt lgkmcnt(0)
	s_sub_u32 s4, s2, s0
	s_subb_u32 s5, s3, s1
	s_delay_alu instid0(SALU_CYCLE_1)
	v_cmpx_gt_i64_e64 s[4:5], v[0:1]
	s_cbranch_execz .LBB129_97
; %bb.88:
	s_sub_u32 s8, s0, s22
	s_subb_u32 s9, s1, 0
	s_and_b32 s6, s4, 7
	s_sub_u32 s0, s0, s2
	s_subb_u32 s1, s1, s3
	s_mov_b32 s7, 0
	v_cmp_lt_u64_e64 s12, s[0:1], -7
	s_and_b32 s2, s4, -8
	s_cmp_lg_u64 s[6:7], 0
	s_mov_b32 s3, s5
	s_cselect_b32 s13, -1, 0
	s_mov_b32 s14, s7
	s_branch .LBB129_90
.LBB129_89:                             ;   in Loop: Header=BB129_90 Depth=1
	s_waitcnt lgkmcnt(1)
	v_add_co_u32 v4, vcc_lo, v4, s22
	v_lshlrev_b64 v[6:7], 3, v[6:7]
	v_add_co_ci_u32_e32 v5, vcc_lo, 0, v5, vcc_lo
	v_add_co_u32 v0, vcc_lo, 0x400, v0
	v_add_co_ci_u32_e32 v1, vcc_lo, 0, v1, vcc_lo
	s_delay_alu instid0(VALU_DEP_4) | instskip(SKIP_1) | instid1(VALU_DEP_3)
	v_add_co_u32 v8, vcc_lo, s24, v6
	v_add_co_ci_u32_e32 v9, vcc_lo, s25, v7, vcc_lo
	v_cmp_le_i64_e32 vcc_lo, s[4:5], v[0:1]
	v_add_co_u32 v6, s0, s26, v6
	s_delay_alu instid0(VALU_DEP_1) | instskip(SKIP_4) | instid1(SALU_CYCLE_1)
	v_add_co_ci_u32_e64 v7, s0, s27, v7, s0
	global_store_b64 v[8:9], v[4:5], off
	s_waitcnt lgkmcnt(0)
	global_store_b64 v[6:7], v[2:3], off
	s_or_b32 s14, vcc_lo, s14
	s_and_not1_b32 exec_lo, exec_lo, s14
	s_cbranch_execz .LBB129_97
.LBB129_90:                             ; =>This Loop Header: Depth=1
                                        ;     Child Loop BB129_92 Depth 2
                                        ;     Child Loop BB129_96 Depth 2
	v_lshl_add_u32 v2, v0, 3, 0
	s_and_not1_b32 vcc_lo, exec_lo, s12
	s_mov_b64 s[0:1], 0
	v_dual_mov_b32 v6, s8 :: v_dual_mov_b32 v7, s9
	s_delay_alu instid0(VALU_DEP_2)
	v_add_nc_u32_e32 v3, 0x40000, v2
	ds_load_b64 v[4:5], v2
	ds_load_b64 v[2:3], v3
	s_cbranch_vccnz .LBB129_94
; %bb.91:                               ;   in Loop: Header=BB129_90 Depth=1
	v_dual_mov_b32 v6, s8 :: v_dual_mov_b32 v7, s9
	s_mov_b64 s[10:11], 0
	s_mov_b32 s1, 0
.LBB129_92:                             ;   Parent Loop BB129_90 Depth=1
                                        ; =>  This Inner Loop Header: Depth=2
	s_delay_alu instid0(SALU_CYCLE_1)
	v_mov_b32_e32 v20, s1
	s_add_u32 s10, s10, 8
	s_addc_u32 s11, s11, 0
	s_add_i32 s1, s1, 64
	s_cmp_eq_u64 s[2:3], s[10:11]
	ds_load_2addr_b64 v[8:11], v20 offset1:1
	ds_load_2addr_b64 v[12:15], v20 offset0:2 offset1:3
	ds_load_2addr_b64 v[16:19], v20 offset0:4 offset1:5
	;; [unrolled: 1-line block ×3, first 2 shown]
	s_waitcnt lgkmcnt(3)
	v_cmp_gt_i64_e32 vcc_lo, v[4:5], v[8:9]
	v_cndmask_b32_e64 v8, 0, 1, vcc_lo
	v_cmp_gt_i64_e32 vcc_lo, v[4:5], v[10:11]
	v_cndmask_b32_e64 v9, 0, 1, vcc_lo
	s_waitcnt lgkmcnt(2)
	v_cmp_gt_i64_e32 vcc_lo, v[4:5], v[12:13]
	v_cndmask_b32_e64 v10, 0, 1, vcc_lo
	v_cmp_gt_i64_e32 vcc_lo, v[4:5], v[14:15]
	v_cndmask_b32_e64 v11, 0, 1, vcc_lo
	s_waitcnt lgkmcnt(1)
	v_cmp_gt_i64_e32 vcc_lo, v[4:5], v[16:17]
	v_cndmask_b32_e64 v12, 0, 1, vcc_lo
	v_add_co_u32 v6, vcc_lo, v6, v8
	v_add_co_ci_u32_e32 v7, vcc_lo, 0, v7, vcc_lo
	v_cmp_gt_i64_e32 vcc_lo, v[4:5], v[18:19]
	s_delay_alu instid0(VALU_DEP_3) | instskip(NEXT) | instid1(VALU_DEP_1)
	v_add_co_u32 v6, s0, v6, v9
	v_add_co_ci_u32_e64 v7, s0, 0, v7, s0
	v_cndmask_b32_e64 v8, 0, 1, vcc_lo
	s_delay_alu instid0(VALU_DEP_3) | instskip(NEXT) | instid1(VALU_DEP_3)
	v_add_co_u32 v6, vcc_lo, v6, v10
	v_add_co_ci_u32_e32 v7, vcc_lo, 0, v7, vcc_lo
	s_waitcnt lgkmcnt(0)
	v_cmp_gt_i64_e32 vcc_lo, v[4:5], v[20:21]
	s_delay_alu instid0(VALU_DEP_3) | instskip(NEXT) | instid1(VALU_DEP_1)
	v_add_co_u32 v6, s0, v6, v11
	v_add_co_ci_u32_e64 v7, s0, 0, v7, s0
	v_cndmask_b32_e64 v9, 0, 1, vcc_lo
	s_delay_alu instid0(VALU_DEP_3) | instskip(NEXT) | instid1(VALU_DEP_3)
	v_add_co_u32 v6, vcc_lo, v6, v12
	v_add_co_ci_u32_e32 v7, vcc_lo, 0, v7, vcc_lo
	v_cmp_gt_i64_e32 vcc_lo, v[4:5], v[22:23]
	s_delay_alu instid0(VALU_DEP_3) | instskip(NEXT) | instid1(VALU_DEP_1)
	v_add_co_u32 v6, s0, v6, v8
	v_add_co_ci_u32_e64 v7, s0, 0, v7, s0
	v_cndmask_b32_e64 v8, 0, 1, vcc_lo
	s_delay_alu instid0(VALU_DEP_3) | instskip(NEXT) | instid1(VALU_DEP_3)
	v_add_co_u32 v6, vcc_lo, v6, v9
	v_add_co_ci_u32_e32 v7, vcc_lo, 0, v7, vcc_lo
	s_delay_alu instid0(VALU_DEP_2) | instskip(NEXT) | instid1(VALU_DEP_2)
	v_add_co_u32 v6, vcc_lo, v6, v8
	v_add_co_ci_u32_e32 v7, vcc_lo, 0, v7, vcc_lo
	s_cbranch_scc0 .LBB129_92
; %bb.93:                               ;   in Loop: Header=BB129_90 Depth=1
	s_mov_b64 s[0:1], s[2:3]
.LBB129_94:                             ;   in Loop: Header=BB129_90 Depth=1
	s_and_not1_b32 vcc_lo, exec_lo, s13
	s_cbranch_vccnz .LBB129_89
; %bb.95:                               ;   in Loop: Header=BB129_90 Depth=1
	s_lshl_b32 s0, s0, 3
	s_delay_alu instid0(SALU_CYCLE_1)
	s_add_i32 s10, s0, 0
	s_mov_b64 s[0:1], s[6:7]
.LBB129_96:                             ;   Parent Loop BB129_90 Depth=1
                                        ; =>  This Inner Loop Header: Depth=2
	v_mov_b32_e32 v8, s10
	s_add_i32 s10, s10, 8
	s_add_u32 s0, s0, -1
	s_addc_u32 s1, s1, -1
	s_delay_alu instid0(SALU_CYCLE_1) | instskip(SKIP_4) | instid1(VALU_DEP_1)
	s_cmp_lg_u64 s[0:1], 0
	ds_load_b64 v[8:9], v8
	s_waitcnt lgkmcnt(0)
	v_cmp_gt_i64_e32 vcc_lo, v[4:5], v[8:9]
	v_cndmask_b32_e64 v8, 0, 1, vcc_lo
	v_add_co_u32 v6, vcc_lo, v6, v8
	v_add_co_ci_u32_e32 v7, vcc_lo, 0, v7, vcc_lo
	s_cbranch_scc1 .LBB129_96
	s_branch .LBB129_89
.LBB129_97:
	s_nop 0
	s_sendmsg sendmsg(MSG_DEALLOC_VGPRS)
	s_endpgm
	.section	.rodata,"a",@progbits
	.p2align	6, 0x0
	.amdhsa_kernel _ZN9rocsparseL26csrgemm_fill_block_per_rowILj1024ELj64ELj32768ELj137ELj64ElldEEvT5_PKS1_S3_NS_24const_host_device_scalarIT6_EEPKT4_S3_PKS5_S9_S3_SB_S6_S9_S3_SB_S9_PS1_PS5_21rocsparse_index_base_SE_SE_SE_bbb
		.amdhsa_group_segment_fixed_size 0
		.amdhsa_private_segment_fixed_size 0
		.amdhsa_kernarg_size 156
		.amdhsa_user_sgpr_count 15
		.amdhsa_user_sgpr_dispatch_ptr 0
		.amdhsa_user_sgpr_queue_ptr 0
		.amdhsa_user_sgpr_kernarg_segment_ptr 1
		.amdhsa_user_sgpr_dispatch_id 0
		.amdhsa_user_sgpr_private_segment_size 0
		.amdhsa_wavefront_size32 1
		.amdhsa_uses_dynamic_stack 0
		.amdhsa_enable_private_segment 0
		.amdhsa_system_sgpr_workgroup_id_x 1
		.amdhsa_system_sgpr_workgroup_id_y 0
		.amdhsa_system_sgpr_workgroup_id_z 0
		.amdhsa_system_sgpr_workgroup_info 0
		.amdhsa_system_vgpr_workitem_id 0
		.amdhsa_next_free_vgpr 28
		.amdhsa_next_free_sgpr 46
		.amdhsa_reserve_vcc 1
		.amdhsa_float_round_mode_32 0
		.amdhsa_float_round_mode_16_64 0
		.amdhsa_float_denorm_mode_32 3
		.amdhsa_float_denorm_mode_16_64 3
		.amdhsa_dx10_clamp 1
		.amdhsa_ieee_mode 1
		.amdhsa_fp16_overflow 0
		.amdhsa_workgroup_processor_mode 1
		.amdhsa_memory_ordered 1
		.amdhsa_forward_progress 0
		.amdhsa_shared_vgpr_count 0
		.amdhsa_exception_fp_ieee_invalid_op 0
		.amdhsa_exception_fp_denorm_src 0
		.amdhsa_exception_fp_ieee_div_zero 0
		.amdhsa_exception_fp_ieee_overflow 0
		.amdhsa_exception_fp_ieee_underflow 0
		.amdhsa_exception_fp_ieee_inexact 0
		.amdhsa_exception_int_div_zero 0
	.end_amdhsa_kernel
	.section	.text._ZN9rocsparseL26csrgemm_fill_block_per_rowILj1024ELj64ELj32768ELj137ELj64ElldEEvT5_PKS1_S3_NS_24const_host_device_scalarIT6_EEPKT4_S3_PKS5_S9_S3_SB_S6_S9_S3_SB_S9_PS1_PS5_21rocsparse_index_base_SE_SE_SE_bbb,"axG",@progbits,_ZN9rocsparseL26csrgemm_fill_block_per_rowILj1024ELj64ELj32768ELj137ELj64ElldEEvT5_PKS1_S3_NS_24const_host_device_scalarIT6_EEPKT4_S3_PKS5_S9_S3_SB_S6_S9_S3_SB_S9_PS1_PS5_21rocsparse_index_base_SE_SE_SE_bbb,comdat
.Lfunc_end129:
	.size	_ZN9rocsparseL26csrgemm_fill_block_per_rowILj1024ELj64ELj32768ELj137ELj64ElldEEvT5_PKS1_S3_NS_24const_host_device_scalarIT6_EEPKT4_S3_PKS5_S9_S3_SB_S6_S9_S3_SB_S9_PS1_PS5_21rocsparse_index_base_SE_SE_SE_bbb, .Lfunc_end129-_ZN9rocsparseL26csrgemm_fill_block_per_rowILj1024ELj64ELj32768ELj137ELj64ElldEEvT5_PKS1_S3_NS_24const_host_device_scalarIT6_EEPKT4_S3_PKS5_S9_S3_SB_S6_S9_S3_SB_S9_PS1_PS5_21rocsparse_index_base_SE_SE_SE_bbb
                                        ; -- End function
	.section	.AMDGPU.csdata,"",@progbits
; Kernel info:
; codeLenInByte = 4064
; NumSgprs: 48
; NumVgprs: 28
; ScratchSize: 0
; MemoryBound: 0
; FloatMode: 240
; IeeeMode: 1
; LDSByteSize: 0 bytes/workgroup (compile time only)
; SGPRBlocks: 5
; VGPRBlocks: 3
; NumSGPRsForWavesPerEU: 48
; NumVGPRsForWavesPerEU: 28
; Occupancy: 16
; WaveLimiterHint : 1
; COMPUTE_PGM_RSRC2:SCRATCH_EN: 0
; COMPUTE_PGM_RSRC2:USER_SGPR: 15
; COMPUTE_PGM_RSRC2:TRAP_HANDLER: 0
; COMPUTE_PGM_RSRC2:TGID_X_EN: 1
; COMPUTE_PGM_RSRC2:TGID_Y_EN: 0
; COMPUTE_PGM_RSRC2:TGID_Z_EN: 0
; COMPUTE_PGM_RSRC2:TIDIG_COMP_CNT: 0
	.section	.text._ZN9rocsparseL36csrgemm_fill_block_per_row_multipassILj512ELj16ELj2048ELj32ElldEEvT4_PKS1_S3_NS_24const_host_device_scalarIT5_EEPKT3_S3_PKS5_S9_S3_SB_S6_S9_S3_SB_S9_PS1_PS5_PS7_21rocsparse_index_base_SF_SF_SF_bbb,"axG",@progbits,_ZN9rocsparseL36csrgemm_fill_block_per_row_multipassILj512ELj16ELj2048ELj32ElldEEvT4_PKS1_S3_NS_24const_host_device_scalarIT5_EEPKT3_S3_PKS5_S9_S3_SB_S6_S9_S3_SB_S9_PS1_PS5_PS7_21rocsparse_index_base_SF_SF_SF_bbb,comdat
	.globl	_ZN9rocsparseL36csrgemm_fill_block_per_row_multipassILj512ELj16ELj2048ELj32ElldEEvT4_PKS1_S3_NS_24const_host_device_scalarIT5_EEPKT3_S3_PKS5_S9_S3_SB_S6_S9_S3_SB_S9_PS1_PS5_PS7_21rocsparse_index_base_SF_SF_SF_bbb ; -- Begin function _ZN9rocsparseL36csrgemm_fill_block_per_row_multipassILj512ELj16ELj2048ELj32ElldEEvT4_PKS1_S3_NS_24const_host_device_scalarIT5_EEPKT3_S3_PKS5_S9_S3_SB_S6_S9_S3_SB_S9_PS1_PS5_PS7_21rocsparse_index_base_SF_SF_SF_bbb
	.p2align	8
	.type	_ZN9rocsparseL36csrgemm_fill_block_per_row_multipassILj512ELj16ELj2048ELj32ElldEEvT4_PKS1_S3_NS_24const_host_device_scalarIT5_EEPKT3_S3_PKS5_S9_S3_SB_S6_S9_S3_SB_S9_PS1_PS5_PS7_21rocsparse_index_base_SF_SF_SF_bbb,@function
_ZN9rocsparseL36csrgemm_fill_block_per_row_multipassILj512ELj16ELj2048ELj32ElldEEvT4_PKS1_S3_NS_24const_host_device_scalarIT5_EEPKT3_S3_PKS5_S9_S3_SB_S6_S9_S3_SB_S9_PS1_PS5_PS7_21rocsparse_index_base_SF_SF_SF_bbb: ; @_ZN9rocsparseL36csrgemm_fill_block_per_row_multipassILj512ELj16ELj2048ELj32ElldEEvT4_PKS1_S3_NS_24const_host_device_scalarIT5_EEPKT3_S3_PKS5_S9_S3_SB_S6_S9_S3_SB_S9_PS1_PS5_PS7_21rocsparse_index_base_SF_SF_SF_bbb
; %bb.0:
	s_clause 0x4
	s_load_b32 s3, s[0:1], 0xa0
	s_load_b64 s[8:9], s[0:1], 0x18
	s_load_b128 s[4:7], s[0:1], 0x8
	s_load_b128 s[28:31], s[0:1], 0x90
	s_load_b64 s[10:11], s[0:1], 0x50
	s_mov_b32 s2, s15
	s_waitcnt lgkmcnt(0)
	s_and_b32 s12, 1, s3
	s_bitcmp1_b32 s3, 16
	s_cselect_b32 s13, -1, 0
	s_cmp_eq_u32 s12, 1
	s_cselect_b32 s12, -1, 0
	s_delay_alu instid0(SALU_CYCLE_1)
	s_and_b32 s14, s12, exec_lo
	s_cselect_b32 s15, s9, 0
	s_cselect_b32 s14, s8, 0
	s_xor_b32 s16, s12, -1
	v_dual_mov_b32 v1, s14 :: v_dual_mov_b32 v2, s15
	s_or_b32 s16, s16, s13
	s_delay_alu instid0(SALU_CYCLE_1)
	s_and_b32 vcc_lo, exec_lo, s16
	s_cbranch_vccnz .LBB130_2
; %bb.1:
	v_dual_mov_b32 v1, s8 :: v_dual_mov_b32 v2, s9
	flat_load_b64 v[1:2], v[1:2]
.LBB130_2:
	s_load_b64 s[8:9], s[0:1], 0x20
	s_bitcmp1_b32 s3, 8
	s_cselect_b32 s33, -1, 0
	s_delay_alu instid0(SALU_CYCLE_1)
	s_and_b32 s3, s33, exec_lo
	s_cselect_b32 s15, s11, 0
	s_cselect_b32 s14, s10, 0
	s_xor_b32 s3, s33, -1
	v_dual_mov_b32 v3, s14 :: v_dual_mov_b32 v4, s15
	s_or_b32 s3, s3, s13
	s_delay_alu instid0(SALU_CYCLE_1)
	s_and_b32 vcc_lo, exec_lo, s3
	s_cbranch_vccnz .LBB130_4
; %bb.3:
	v_dual_mov_b32 v3, s10 :: v_dual_mov_b32 v4, s11
	flat_load_b64 v[3:4], v[3:4]
.LBB130_4:
	s_load_b64 s[4:5], s[4:5], 0x0
	s_mov_b32 s3, 0
	s_mov_b64 s[34:35], 0
	s_waitcnt lgkmcnt(0)
	s_lshl_b64 s[4:5], s[4:5], 3
	s_delay_alu instid0(SALU_CYCLE_1) | instskip(SKIP_2) | instid1(SALU_CYCLE_1)
	s_add_u32 s4, s6, s4
	s_addc_u32 s5, s7, s5
	s_lshl_b64 s[2:3], s[2:3], 3
	s_add_u32 s2, s4, s2
	s_addc_u32 s3, s5, s3
	s_and_not1_b32 vcc_lo, exec_lo, s12
	s_load_b64 s[4:5], s[2:3], 0x0
	s_mov_b64 s[2:3], 0
	s_cbranch_vccz .LBB130_7
; %bb.5:
	s_and_not1_b32 vcc_lo, exec_lo, s12
	s_cbranch_vccz .LBB130_8
.LBB130_6:
	s_load_b64 s[48:49], s[0:1], 0x0
	s_waitcnt lgkmcnt(0)
	v_cmp_lt_i64_e64 s6, s[48:49], 1
	s_delay_alu instid0(VALU_DEP_1)
	s_and_b32 vcc_lo, exec_lo, s6
	s_cbranch_vccz .LBB130_9
	s_branch .LBB130_67
.LBB130_7:
	s_waitcnt lgkmcnt(0)
	s_lshl_b64 s[2:3], s[4:5], 3
	s_delay_alu instid0(SALU_CYCLE_1)
	s_add_u32 s2, s8, s2
	s_addc_u32 s3, s9, s3
	s_load_b64 s[2:3], s[2:3], 0x0
	s_waitcnt lgkmcnt(0)
	s_sub_u32 s2, s2, s28
	s_subb_u32 s3, s3, 0
	s_and_not1_b32 vcc_lo, exec_lo, s12
	s_cbranch_vccnz .LBB130_6
.LBB130_8:
	s_waitcnt lgkmcnt(0)
	s_lshl_b64 s[6:7], s[4:5], 3
	s_delay_alu instid0(SALU_CYCLE_1)
	s_add_u32 s6, s8, s6
	s_addc_u32 s7, s9, s7
	s_load_b64 s[6:7], s[6:7], 0x8
	s_waitcnt lgkmcnt(0)
	s_sub_u32 s34, s6, s28
	s_subb_u32 s35, s7, 0
	s_load_b64 s[48:49], s[0:1], 0x0
	s_waitcnt lgkmcnt(0)
	v_cmp_lt_i64_e64 s6, s[48:49], 1
	s_delay_alu instid0(VALU_DEP_1)
	s_and_b32 vcc_lo, exec_lo, s6
	s_cbranch_vccnz .LBB130_67
.LBB130_9:
	s_clause 0x4
	s_load_b256 s[20:27], s[0:1], 0x58
	s_load_b64 s[50:51], s[0:1], 0x88
	s_load_b128 s[44:47], s[0:1], 0x78
	s_load_b64 s[52:53], s[0:1], 0x48
	s_load_b256 s[36:43], s[0:1], 0x28
	v_lshrrev_b32_e32 v6, 4, v0
	v_mbcnt_lo_u32_b32 v9, -1, 0
	v_sub_co_u32 v37, s1, v0, s31
	s_delay_alu instid0(VALU_DEP_1) | instskip(NEXT) | instid1(VALU_DEP_4)
	v_sub_co_ci_u32_e64 v38, null, 0, 0, s1
	v_add_co_u32 v7, s1, s2, v6
	s_delay_alu instid0(VALU_DEP_4)
	v_xor_b32_e32 v6, 8, v9
	s_lshl_b64 s[4:5], s[4:5], 3
	v_xor_b32_e32 v10, 4, v9
	v_xor_b32_e32 v12, 2, v9
	v_xor_b32_e32 v13, 1, v9
	v_cmp_gt_i32_e64 s2, 32, v6
	v_add_co_ci_u32_e64 v8, null, s3, 0, s1
	s_waitcnt lgkmcnt(0)
	s_add_u32 s6, s26, s4
	s_addc_u32 s7, s27, s5
	v_cndmask_b32_e64 v6, v9, v6, s2
	s_load_b64 s[6:7], s[6:7], 0x0
	v_cmp_gt_i32_e64 s2, 32, v10
	v_cmp_gt_i64_e32 vcc_lo, s[34:35], v[7:8]
	v_xor_b32_e32 v14, 63, v9
	v_lshrrev_b32_e32 v11, 3, v0
	v_dual_mov_b32 v5, 0 :: v_dual_and_b32 v36, 15, v0
	v_cndmask_b32_e64 v10, v9, v10, s2
	v_cmp_gt_i32_e64 s2, 32, v12
	s_mov_b32 s54, s31
	v_cmp_eq_u32_e64 s0, 0, v0
	v_cmp_gt_u32_e64 s3, 32, v0
	v_lshlrev_b32_e32 v40, 2, v10
	v_cndmask_b32_e64 v12, v9, v12, s2
	v_cmp_gt_i32_e64 s2, 32, v13
	v_cmp_gt_u32_e64 s8, 0xc0, v0
	v_cmp_gt_u32_e64 s9, 0xe0, v0
	v_cmp_gt_u32_e64 s10, 0x100, v0
	v_cmp_gt_u32_e64 s11, 0x120, v0
	v_cndmask_b32_e64 v9, v9, v13, s2
	s_waitcnt lgkmcnt(0)
	s_sub_u32 s18, s6, s30
	s_subb_u32 s19, s7, 0
	s_add_u32 s20, s20, s4
	s_addc_u32 s21, s21, s5
	s_and_b32 s31, s12, vcc_lo
	v_lshlrev_b32_e32 v42, 2, v9
	v_lshrrev_b64 v[9:10], v14, -1
	v_cmp_eq_u32_e64 s2, 0x1ff, v0
	v_cmp_gt_u32_e64 s4, 64, v0
	v_cmp_gt_u32_e64 s5, 0x60, v0
	;; [unrolled: 1-line block ×10, first 2 shown]
	s_add_u32 s55, s40, 8
	v_or_b32_e32 v44, 0xfffffe00, v0
	v_lshlrev_b32_e32 v45, 3, v0
	v_add_co_u32 v0, s26, v0, s30
	v_lshlrev_b32_e32 v39, 2, v6
	v_dual_mov_b32 v14, 0x800 :: v_dual_lshlrev_b32 v41, 2, v12
	v_dual_mov_b32 v10, s18 :: v_dual_and_b32 v43, 60, v11
	s_addc_u32 s56, s41, 0
	v_mov_b32_e32 v12, 0
	v_cmp_eq_u32_e64 s1, 15, v36
	s_add_u32 s44, s44, -8
	v_add_co_ci_u32_e64 v46, null, 0, 0, s26
	v_mov_b32_e32 v13, 0
	v_mov_b32_e32 v15, 0
	v_dual_mov_b32 v11, s19 :: v_dual_mov_b32 v6, v5
	v_mov_b32_e32 v47, 1
	s_addc_u32 s30, s45, -1
	s_add_u32 s45, s46, -8
	s_addc_u32 s46, s47, -1
	s_branch .LBB130_11
.LBB130_10:                             ;   in Loop: Header=BB130_11 Depth=1
	s_or_b32 exec_lo, exec_lo, s19
	ds_load_b64 v[12:13], v5 offset:18432
	s_waitcnt lgkmcnt(0)
	s_barrier
	buffer_gl0_inv
	v_cmp_le_i64_e32 vcc_lo, s[48:49], v[12:13]
	v_add_co_u32 v14, s18, 0x800, v12
	s_delay_alu instid0(VALU_DEP_1)
	v_add_co_ci_u32_e64 v15, s18, 0, v13, s18
	s_cbranch_vccnz .LBB130_67
.LBB130_11:                             ; =>This Loop Header: Depth=1
                                        ;     Child Loop BB130_12 Depth 2
                                        ;     Child Loop BB130_18 Depth 2
                                        ;       Child Loop BB130_26 Depth 3
                                        ;         Child Loop BB130_30 Depth 4
                                        ;     Child Loop BB130_44 Depth 2
                                        ;       Child Loop BB130_48 Depth 3
                                        ;     Child Loop BB130_58 Depth 2
                                        ;     Child Loop BB130_63 Depth 2
	v_dual_mov_b32 v16, v45 :: v_dual_mov_b32 v17, v44
	s_mov_b32 s18, 0
.LBB130_12:                             ;   Parent Loop BB130_11 Depth=1
                                        ; =>  This Inner Loop Header: Depth=2
	ds_store_b8 v17, v5 offset:16896
	v_add_nc_u32_e32 v17, 0x200, v17
	ds_store_b64 v16, v[5:6]
	v_add_nc_u32_e32 v16, 0x1000, v16
	v_cmp_lt_u32_e32 vcc_lo, 0x5ff, v17
	s_or_b32 s18, vcc_lo, s18
	s_delay_alu instid0(SALU_CYCLE_1)
	s_and_not1_b32 exec_lo, exec_lo, s18
	s_cbranch_execnz .LBB130_12
; %bb.13:                               ;   in Loop: Header=BB130_11 Depth=1
	s_or_b32 exec_lo, exec_lo, s18
	s_and_saveexec_b32 s18, s0
	s_cbranch_execz .LBB130_15
; %bb.14:                               ;   in Loop: Header=BB130_11 Depth=1
	v_dual_mov_b32 v16, s48 :: v_dual_mov_b32 v17, s49
	ds_store_b64 v5, v[16:17] offset:18432
.LBB130_15:                             ;   in Loop: Header=BB130_11 Depth=1
	s_or_b32 exec_lo, exec_lo, s18
	v_dual_mov_b32 v16, s48 :: v_dual_mov_b32 v17, s49
	s_waitcnt vmcnt(0) lgkmcnt(0)
	s_barrier
	buffer_gl0_inv
	s_and_saveexec_b32 s26, s31
	s_cbranch_execz .LBB130_40
; %bb.16:                               ;   in Loop: Header=BB130_11 Depth=1
	v_cmp_ne_u64_e64 s18, 0, v[12:13]
	v_dual_mov_b32 v16, s48 :: v_dual_mov_b32 v17, s49
	v_dual_mov_b32 v19, v8 :: v_dual_mov_b32 v18, v7
	s_mov_b32 s27, 0
	s_branch .LBB130_18
.LBB130_17:                             ;   in Loop: Header=BB130_18 Depth=2
	s_or_b32 exec_lo, exec_lo, s47
	v_add_co_u32 v18, vcc_lo, v18, 32
	v_add_co_ci_u32_e32 v19, vcc_lo, 0, v19, vcc_lo
	s_delay_alu instid0(VALU_DEP_1) | instskip(SKIP_1) | instid1(SALU_CYCLE_1)
	v_cmp_le_i64_e32 vcc_lo, s[34:35], v[18:19]
	s_or_b32 s27, vcc_lo, s27
	s_and_not1_b32 exec_lo, exec_lo, s27
	s_cbranch_execz .LBB130_39
.LBB130_18:                             ;   Parent Loop BB130_11 Depth=1
                                        ; =>  This Loop Header: Depth=2
                                        ;       Child Loop BB130_26 Depth 3
                                        ;         Child Loop BB130_30 Depth 4
	s_delay_alu instid0(VALU_DEP_1) | instskip(NEXT) | instid1(VALU_DEP_1)
	v_lshlrev_b64 v[20:21], 3, v[18:19]
	v_add_co_u32 v22, vcc_lo, s36, v20
	s_delay_alu instid0(VALU_DEP_2)
	v_add_co_ci_u32_e32 v23, vcc_lo, s37, v21, vcc_lo
	v_add_co_u32 v26, vcc_lo, s38, v20
	v_add_co_ci_u32_e32 v27, vcc_lo, s39, v21, vcc_lo
	s_and_b32 vcc_lo, exec_lo, s18
	s_waitcnt lgkmcnt(0)
	global_load_b64 v[24:25], v[22:23], off
	global_load_b64 v[26:27], v[26:27], off
	s_cbranch_vccz .LBB130_20
; %bb.19:                               ;   in Loop: Header=BB130_18 Depth=2
	v_add_co_u32 v22, vcc_lo, s50, v20
	v_add_co_ci_u32_e32 v23, vcc_lo, s51, v21, vcc_lo
	s_mov_b32 s19, 0
	global_load_b64 v[22:23], v[22:23], off
	s_branch .LBB130_21
.LBB130_20:                             ;   in Loop: Header=BB130_18 Depth=2
	s_mov_b32 s19, -1
                                        ; implicit-def: $vgpr22_vgpr23
.LBB130_21:                             ;   in Loop: Header=BB130_18 Depth=2
	s_waitcnt vmcnt(1)
	v_sub_co_u32 v24, vcc_lo, v24, s28
	v_subrev_co_ci_u32_e32 v25, vcc_lo, 0, v25, vcc_lo
	s_and_not1_b32 vcc_lo, exec_lo, s19
	s_delay_alu instid0(VALU_DEP_1)
	v_lshlrev_b64 v[24:25], 3, v[24:25]
	s_cbranch_vccnz .LBB130_23
; %bb.22:                               ;   in Loop: Header=BB130_18 Depth=2
	s_waitcnt vmcnt(0)
	s_delay_alu instid0(VALU_DEP_1) | instskip(NEXT) | instid1(VALU_DEP_2)
	v_add_co_u32 v22, vcc_lo, s40, v24
	v_add_co_ci_u32_e32 v23, vcc_lo, s41, v25, vcc_lo
	global_load_b64 v[22:23], v[22:23], off
	s_waitcnt vmcnt(0)
	v_sub_co_u32 v22, vcc_lo, v22, s29
	v_subrev_co_ci_u32_e32 v23, vcc_lo, 0, v23, vcc_lo
.LBB130_23:                             ;   in Loop: Header=BB130_18 Depth=2
	s_delay_alu instid0(VALU_DEP_1) | instskip(NEXT) | instid1(VALU_DEP_2)
	v_add_co_u32 v24, vcc_lo, s55, v24
	v_add_co_ci_u32_e32 v25, vcc_lo, s56, v25, vcc_lo
	s_mov_b32 s47, exec_lo
	global_load_b64 v[24:25], v[24:25], off
	s_waitcnt vmcnt(0)
	v_sub_co_u32 v24, vcc_lo, v24, s29
	v_subrev_co_ci_u32_e32 v25, vcc_lo, 0, v25, vcc_lo
	v_add_co_u32 v22, vcc_lo, v22, v36
	v_add_co_ci_u32_e32 v23, vcc_lo, 0, v23, vcc_lo
	s_delay_alu instid0(VALU_DEP_1)
	v_cmpx_lt_i64_e64 v[22:23], v[24:25]
	s_cbranch_execz .LBB130_37
; %bb.24:                               ;   in Loop: Header=BB130_18 Depth=2
	v_mul_f64 v[26:27], v[1:2], v[26:27]
	v_dual_mov_b32 v31, v23 :: v_dual_mov_b32 v30, v22
	s_mov_b32 s58, 0
                                        ; implicit-def: $sgpr57
                                        ; implicit-def: $sgpr59
	s_branch .LBB130_26
.LBB130_25:                             ;   in Loop: Header=BB130_26 Depth=3
	s_or_b32 exec_lo, exec_lo, s60
	s_delay_alu instid0(SALU_CYCLE_1) | instskip(SKIP_4) | instid1(SALU_CYCLE_1)
	s_and_b32 s19, exec_lo, s61
	v_dual_mov_b32 v30, v34 :: v_dual_mov_b32 v31, v35
	s_or_b32 s58, s19, s58
	s_and_not1_b32 s19, s57, exec_lo
	s_and_b32 s57, s59, exec_lo
	s_or_b32 s57, s19, s57
	s_and_not1_b32 exec_lo, exec_lo, s58
	s_cbranch_execz .LBB130_34
.LBB130_26:                             ;   Parent Loop BB130_11 Depth=1
                                        ;     Parent Loop BB130_18 Depth=2
                                        ; =>    This Loop Header: Depth=3
                                        ;         Child Loop BB130_30 Depth 4
	s_delay_alu instid0(VALU_DEP_1) | instskip(NEXT) | instid1(VALU_DEP_1)
	v_lshlrev_b64 v[32:33], 3, v[30:31]
	v_add_co_u32 v28, vcc_lo, s42, v32
	s_delay_alu instid0(VALU_DEP_2) | instskip(SKIP_4) | instid1(VALU_DEP_1)
	v_add_co_ci_u32_e32 v29, vcc_lo, s43, v33, vcc_lo
	global_load_b64 v[28:29], v[28:29], off
	s_waitcnt vmcnt(0)
	v_sub_co_u32 v28, vcc_lo, v28, s29
	v_subrev_co_ci_u32_e32 v29, vcc_lo, 0, v29, vcc_lo
	v_cmp_lt_i64_e32 vcc_lo, v[28:29], v[14:15]
	v_cmp_lt_i64_e64 s19, v[28:29], v[12:13]
	s_xor_b32 s60, vcc_lo, -1
	s_delay_alu instid0(VALU_DEP_1) | instid1(SALU_CYCLE_1)
	s_or_b32 s61, s19, s60
	s_mov_b32 s19, 0
                                        ; implicit-def: $sgpr60
	s_and_saveexec_b32 s62, s61
	s_delay_alu instid0(SALU_CYCLE_1)
	s_xor_b32 s61, exec_lo, s62
; %bb.27:                               ;   in Loop: Header=BB130_26 Depth=3
	s_mov_b32 s60, -1
	s_and_b32 s19, vcc_lo, exec_lo
                                        ; implicit-def: $vgpr32_vgpr33
; %bb.28:                               ;   in Loop: Header=BB130_26 Depth=3
	s_and_not1_saveexec_b32 s61, s61
	s_cbranch_execz .LBB130_32
; %bb.29:                               ;   in Loop: Header=BB130_26 Depth=3
	v_add_co_u32 v32, vcc_lo, s52, v32
	v_add_co_ci_u32_e32 v33, vcc_lo, s53, v33, vcc_lo
	v_sub_nc_u32_e32 v34, v28, v12
	s_mov_b32 s62, 0
	global_load_b64 v[32:33], v[32:33], off
	v_lshlrev_b32_e32 v48, 3, v34
	ds_store_b8 v34, v47 offset:16384
	ds_load_b64 v[34:35], v48
	s_waitcnt vmcnt(0)
	v_mul_f64 v[32:33], v[26:27], v[32:33]
.LBB130_30:                             ;   Parent Loop BB130_11 Depth=1
                                        ;     Parent Loop BB130_18 Depth=2
                                        ;       Parent Loop BB130_26 Depth=3
                                        ; =>      This Inner Loop Header: Depth=4
	s_waitcnt lgkmcnt(0)
	s_delay_alu instid0(VALU_DEP_1)
	v_add_f64 v[49:50], v[34:35], v[32:33]
	ds_cmpstore_rtn_b64 v[49:50], v48, v[49:50], v[34:35]
	s_waitcnt lgkmcnt(0)
	v_cmp_eq_u64_e32 vcc_lo, v[49:50], v[34:35]
	v_dual_mov_b32 v34, v49 :: v_dual_mov_b32 v35, v50
	s_or_b32 s62, vcc_lo, s62
	s_delay_alu instid0(SALU_CYCLE_1)
	s_and_not1_b32 exec_lo, exec_lo, s62
	s_cbranch_execnz .LBB130_30
; %bb.31:                               ;   in Loop: Header=BB130_26 Depth=3
	s_or_b32 exec_lo, exec_lo, s62
	s_delay_alu instid0(SALU_CYCLE_1)
	s_or_b32 s19, s19, exec_lo
.LBB130_32:                             ;   in Loop: Header=BB130_26 Depth=3
	s_or_b32 exec_lo, exec_lo, s61
	v_dual_mov_b32 v33, v31 :: v_dual_mov_b32 v32, v30
	s_and_not1_b32 s59, s59, exec_lo
	s_and_b32 s60, s60, exec_lo
	s_mov_b32 s61, -1
	s_or_b32 s59, s59, s60
                                        ; implicit-def: $vgpr34_vgpr35
	s_and_saveexec_b32 s60, s19
	s_cbranch_execz .LBB130_25
; %bb.33:                               ;   in Loop: Header=BB130_26 Depth=3
	v_add_co_u32 v34, vcc_lo, v30, 16
	v_add_co_ci_u32_e32 v35, vcc_lo, 0, v31, vcc_lo
	v_dual_mov_b32 v33, v31 :: v_dual_mov_b32 v32, v30
	s_and_not1_b32 s59, s59, exec_lo
	s_delay_alu instid0(VALU_DEP_2)
	v_cmp_ge_i64_e32 vcc_lo, v[34:35], v[24:25]
	s_or_not1_b32 s61, vcc_lo, exec_lo
	s_branch .LBB130_25
.LBB130_34:                             ;   in Loop: Header=BB130_18 Depth=2
	s_or_b32 exec_lo, exec_lo, s58
	s_and_saveexec_b32 s19, s57
	s_delay_alu instid0(SALU_CYCLE_1)
	s_xor_b32 s19, exec_lo, s19
; %bb.35:                               ;   in Loop: Header=BB130_18 Depth=2
	v_cmp_lt_i64_e32 vcc_lo, v[28:29], v[16:17]
	v_dual_mov_b32 v22, v32 :: v_dual_mov_b32 v23, v33
	v_dual_cndmask_b32 v17, v17, v29 :: v_dual_cndmask_b32 v16, v16, v28
; %bb.36:                               ;   in Loop: Header=BB130_18 Depth=2
	s_or_b32 exec_lo, exec_lo, s19
.LBB130_37:                             ;   in Loop: Header=BB130_18 Depth=2
	s_delay_alu instid0(SALU_CYCLE_1)
	s_or_b32 exec_lo, exec_lo, s47
	ds_bpermute_b32 v24, v39, v22
	ds_bpermute_b32 v25, v39, v23
	s_waitcnt lgkmcnt(0)
	v_cmp_lt_i64_e32 vcc_lo, v[24:25], v[22:23]
	v_dual_cndmask_b32 v23, v23, v25 :: v_dual_cndmask_b32 v22, v22, v24
	ds_bpermute_b32 v25, v40, v23
	ds_bpermute_b32 v24, v40, v22
	s_waitcnt lgkmcnt(0)
	v_cmp_lt_i64_e32 vcc_lo, v[24:25], v[22:23]
	v_dual_cndmask_b32 v23, v23, v25 :: v_dual_cndmask_b32 v22, v22, v24
	;; [unrolled: 5-line block ×3, first 2 shown]
	ds_bpermute_b32 v25, v42, v23
	ds_bpermute_b32 v24, v42, v22
	s_and_saveexec_b32 s47, s1
	s_cbranch_execz .LBB130_17
; %bb.38:                               ;   in Loop: Header=BB130_18 Depth=2
	s_waitcnt lgkmcnt(0)
	v_cmp_lt_i64_e32 vcc_lo, v[24:25], v[22:23]
	v_add_co_u32 v20, s19, s50, v20
	s_delay_alu instid0(VALU_DEP_1)
	v_add_co_ci_u32_e64 v21, s19, s51, v21, s19
	v_dual_cndmask_b32 v23, v23, v25 :: v_dual_cndmask_b32 v22, v22, v24
	global_store_b64 v[20:21], v[22:23], off
	s_branch .LBB130_17
.LBB130_39:                             ;   in Loop: Header=BB130_11 Depth=1
	s_or_b32 exec_lo, exec_lo, s27
.LBB130_40:                             ;   in Loop: Header=BB130_11 Depth=1
	s_delay_alu instid0(SALU_CYCLE_1) | instskip(NEXT) | instid1(SALU_CYCLE_1)
	s_or_b32 exec_lo, exec_lo, s26
	s_and_not1_b32 vcc_lo, exec_lo, s33
	s_cbranch_vccnz .LBB130_56
; %bb.41:                               ;   in Loop: Header=BB130_11 Depth=1
	s_load_b128 s[60:63], s[20:21], 0x0
	s_mov_b32 s19, exec_lo
	s_waitcnt lgkmcnt(0)
	v_add_co_u32 v18, vcc_lo, s60, v37
	v_add_co_ci_u32_e32 v19, vcc_lo, s61, v38, vcc_lo
	s_sub_u32 s26, s62, s54
	s_subb_u32 s27, s63, 0
	s_delay_alu instid0(VALU_DEP_1) | instid1(SALU_CYCLE_1)
	v_cmpx_gt_i64_e64 s[26:27], v[18:19]
	s_cbranch_execz .LBB130_55
; %bb.42:                               ;   in Loop: Header=BB130_11 Depth=1
	s_mov_b32 s47, 0
                                        ; implicit-def: $sgpr57
                                        ; implicit-def: $sgpr58
	s_branch .LBB130_44
.LBB130_43:                             ;   in Loop: Header=BB130_44 Depth=2
	s_or_b32 exec_lo, exec_lo, s60
	s_delay_alu instid0(SALU_CYCLE_1) | instskip(NEXT) | instid1(SALU_CYCLE_1)
	s_and_b32 s18, exec_lo, s59
	s_or_b32 s47, s18, s47
	s_and_not1_b32 s18, s57, exec_lo
	s_and_b32 s57, s58, exec_lo
	s_delay_alu instid0(SALU_CYCLE_1)
	s_or_b32 s57, s18, s57
	s_and_not1_b32 exec_lo, exec_lo, s47
	s_cbranch_execz .LBB130_52
.LBB130_44:                             ;   Parent Loop BB130_11 Depth=1
                                        ; =>  This Loop Header: Depth=2
                                        ;       Child Loop BB130_48 Depth 3
	v_lshlrev_b64 v[22:23], 3, v[18:19]
	s_delay_alu instid0(VALU_DEP_1) | instskip(NEXT) | instid1(VALU_DEP_2)
	v_add_co_u32 v20, vcc_lo, s22, v22
	v_add_co_ci_u32_e32 v21, vcc_lo, s23, v23, vcc_lo
	global_load_b64 v[20:21], v[20:21], off
	s_waitcnt vmcnt(0)
	v_sub_co_u32 v20, vcc_lo, v20, s54
	v_subrev_co_ci_u32_e32 v21, vcc_lo, 0, v21, vcc_lo
	s_delay_alu instid0(VALU_DEP_1)
	v_cmp_lt_i64_e32 vcc_lo, v[20:21], v[14:15]
	v_cmp_lt_i64_e64 s18, v[20:21], v[12:13]
	s_xor_b32 s59, vcc_lo, -1
	s_delay_alu instid0(VALU_DEP_1) | instid1(SALU_CYCLE_1)
	s_or_b32 s60, s18, s59
	s_mov_b32 s18, 0
                                        ; implicit-def: $sgpr59
	s_and_saveexec_b32 s61, s60
	s_delay_alu instid0(SALU_CYCLE_1)
	s_xor_b32 s60, exec_lo, s61
; %bb.45:                               ;   in Loop: Header=BB130_44 Depth=2
	s_mov_b32 s59, -1
	s_and_b32 s18, vcc_lo, exec_lo
                                        ; implicit-def: $vgpr22_vgpr23
; %bb.46:                               ;   in Loop: Header=BB130_44 Depth=2
	s_and_not1_saveexec_b32 s60, s60
	s_cbranch_execz .LBB130_50
; %bb.47:                               ;   in Loop: Header=BB130_44 Depth=2
	v_add_co_u32 v22, vcc_lo, s24, v22
	v_add_co_ci_u32_e32 v23, vcc_lo, s25, v23, vcc_lo
	v_sub_nc_u32_e32 v24, v20, v12
	s_mov_b32 s61, 0
	global_load_b64 v[22:23], v[22:23], off
	v_lshlrev_b32_e32 v26, 3, v24
	ds_store_b8 v24, v47 offset:16384
	ds_load_b64 v[24:25], v26
	s_waitcnt vmcnt(0)
	v_mul_f64 v[22:23], v[3:4], v[22:23]
.LBB130_48:                             ;   Parent Loop BB130_11 Depth=1
                                        ;     Parent Loop BB130_44 Depth=2
                                        ; =>    This Inner Loop Header: Depth=3
	s_waitcnt lgkmcnt(0)
	s_delay_alu instid0(VALU_DEP_1)
	v_add_f64 v[27:28], v[24:25], v[22:23]
	ds_cmpstore_rtn_b64 v[27:28], v26, v[27:28], v[24:25]
	s_waitcnt lgkmcnt(0)
	v_cmp_eq_u64_e32 vcc_lo, v[27:28], v[24:25]
	v_dual_mov_b32 v24, v27 :: v_dual_mov_b32 v25, v28
	s_or_b32 s61, vcc_lo, s61
	s_delay_alu instid0(SALU_CYCLE_1)
	s_and_not1_b32 exec_lo, exec_lo, s61
	s_cbranch_execnz .LBB130_48
; %bb.49:                               ;   in Loop: Header=BB130_44 Depth=2
	s_or_b32 exec_lo, exec_lo, s61
	s_delay_alu instid0(SALU_CYCLE_1)
	s_or_b32 s18, s18, exec_lo
.LBB130_50:                             ;   in Loop: Header=BB130_44 Depth=2
	s_or_b32 exec_lo, exec_lo, s60
	s_delay_alu instid0(SALU_CYCLE_1)
	s_and_not1_b32 s58, s58, exec_lo
	s_and_b32 s60, s59, exec_lo
	s_mov_b32 s59, -1
	s_or_b32 s58, s58, s60
	s_and_saveexec_b32 s60, s18
	s_cbranch_execz .LBB130_43
; %bb.51:                               ;   in Loop: Header=BB130_44 Depth=2
	v_add_co_u32 v18, vcc_lo, 0x200, v18
	v_add_co_ci_u32_e32 v19, vcc_lo, 0, v19, vcc_lo
	s_and_not1_b32 s58, s58, exec_lo
	s_delay_alu instid0(VALU_DEP_1)
	v_cmp_le_i64_e32 vcc_lo, s[26:27], v[18:19]
	s_or_not1_b32 s59, vcc_lo, exec_lo
	s_branch .LBB130_43
.LBB130_52:                             ;   in Loop: Header=BB130_11 Depth=1
	s_or_b32 exec_lo, exec_lo, s47
	s_and_saveexec_b32 s18, s57
	s_delay_alu instid0(SALU_CYCLE_1)
	s_xor_b32 s18, exec_lo, s18
; %bb.53:                               ;   in Loop: Header=BB130_11 Depth=1
	v_cmp_lt_i64_e32 vcc_lo, v[20:21], v[16:17]
	v_dual_cndmask_b32 v17, v17, v21 :: v_dual_cndmask_b32 v16, v16, v20
; %bb.54:                               ;   in Loop: Header=BB130_11 Depth=1
	s_or_b32 exec_lo, exec_lo, s18
.LBB130_55:                             ;   in Loop: Header=BB130_11 Depth=1
	s_delay_alu instid0(SALU_CYCLE_1)
	s_or_b32 exec_lo, exec_lo, s19
.LBB130_56:                             ;   in Loop: Header=BB130_11 Depth=1
	ds_bpermute_b32 v14, v39, v16
	ds_bpermute_b32 v15, v39, v17
	s_waitcnt lgkmcnt(0)
	v_cmp_lt_i64_e32 vcc_lo, v[14:15], v[16:17]
	v_dual_cndmask_b32 v15, v17, v15 :: v_dual_cndmask_b32 v14, v16, v14
	ds_bpermute_b32 v17, v40, v15
	ds_bpermute_b32 v16, v40, v14
	s_waitcnt lgkmcnt(0)
	v_cmp_lt_i64_e32 vcc_lo, v[16:17], v[14:15]
	v_dual_cndmask_b32 v15, v15, v17 :: v_dual_cndmask_b32 v14, v14, v16
	;; [unrolled: 5-line block ×3, first 2 shown]
	ds_bpermute_b32 v17, v42, v15
	ds_bpermute_b32 v16, v42, v14
	s_and_saveexec_b32 s26, s1
	s_cbranch_execz .LBB130_61
; %bb.57:                               ;   in Loop: Header=BB130_11 Depth=1
	s_waitcnt lgkmcnt(0)
	v_cmp_lt_i64_e32 vcc_lo, v[16:17], v[14:15]
	s_mov_b32 s27, exec_lo
	s_mov_b64 s[18:19], -1
	v_dual_cndmask_b32 v15, v15, v17 :: v_dual_cndmask_b32 v14, v14, v16
.LBB130_58:                             ;   Parent Loop BB130_11 Depth=1
                                        ; =>  This Inner Loop Header: Depth=2
	s_ctz_i32_b32 s47, s27
	s_delay_alu instid0(VALU_DEP_1) | instid1(SALU_CYCLE_1)
	v_readlane_b32 s59, v15, s47
	s_delay_alu instid0(VALU_DEP_2) | instskip(NEXT) | instid1(VALU_DEP_1)
	v_readlane_b32 s58, v14, s47
	v_cmp_lt_u64_e64 s57, s[18:19], s[58:59]
	s_delay_alu instid0(VALU_DEP_1) | instskip(SKIP_3) | instid1(SALU_CYCLE_1)
	s_and_b32 s57, s57, exec_lo
	s_cselect_b32 s19, s19, s59
	s_cselect_b32 s18, s18, s58
	s_lshl_b32 s47, 1, s47
	s_and_not1_b32 s27, s27, s47
	s_delay_alu instid0(SALU_CYCLE_1)
	s_cmp_lg_u32 s27, 0
	s_cbranch_scc1 .LBB130_58
; %bb.59:                               ;   in Loop: Header=BB130_11 Depth=1
	v_mbcnt_lo_u32_b32 v14, exec_lo, 0
	s_mov_b32 s27, exec_lo
	s_delay_alu instid0(VALU_DEP_1)
	v_cmpx_eq_u32_e32 0, v14
	s_xor_b32 s27, exec_lo, s27
	s_cbranch_execz .LBB130_61
; %bb.60:                               ;   in Loop: Header=BB130_11 Depth=1
	v_dual_mov_b32 v14, s18 :: v_dual_mov_b32 v15, s19
	ds_min_u64 v5, v[14:15] offset:18432
.LBB130_61:                             ;   in Loop: Header=BB130_11 Depth=1
	s_or_b32 exec_lo, exec_lo, s26
	v_add_co_u32 v12, vcc_lo, v0, v12
	v_add_co_ci_u32_e32 v13, vcc_lo, v46, v13, vcc_lo
	s_waitcnt lgkmcnt(0)
	v_dual_mov_b32 v16, v45 :: v_dual_mov_b32 v17, v44
	s_mov_b32 s19, 0
	s_waitcnt_vscnt null, 0x0
	s_barrier
	buffer_gl0_inv
	s_branch .LBB130_63
.LBB130_62:                             ;   in Loop: Header=BB130_63 Depth=2
	s_or_b32 exec_lo, exec_lo, s18
	s_waitcnt lgkmcnt(0)
	s_waitcnt_vscnt null, 0x0
	s_barrier
	buffer_gl0_inv
	ds_load_b32 v14, v5 offset:60
	v_add_nc_u32_e32 v17, 0x200, v17
	v_add_co_u32 v12, vcc_lo, 0x200, v12
	v_add_co_ci_u32_e32 v13, vcc_lo, 0, v13, vcc_lo
	s_delay_alu instid0(VALU_DEP_3)
	v_cmp_lt_u32_e32 vcc_lo, 0x5ff, v17
	v_add_nc_u32_e32 v16, 0x1000, v16
	s_or_b32 s19, vcc_lo, s19
	s_waitcnt lgkmcnt(0)
	v_ashrrev_i32_e32 v15, 31, v14
	v_add_co_u32 v10, s18, v10, v14
	s_delay_alu instid0(VALU_DEP_1)
	v_add_co_ci_u32_e64 v11, s18, v11, v15, s18
	s_and_not1_b32 exec_lo, exec_lo, s19
	s_cbranch_execz .LBB130_10
.LBB130_63:                             ;   Parent Loop BB130_11 Depth=1
                                        ; =>  This Inner Loop Header: Depth=2
	ds_load_u8 v30, v17 offset:16896
	ds_load_b64 v[14:15], v16
	s_waitcnt lgkmcnt(0)
	s_barrier
	buffer_gl0_inv
	v_cmp_ne_u16_e32 vcc_lo, 0, v30
	s_bcnt1_i32_b32 s18, vcc_lo
	s_delay_alu instid0(SALU_CYCLE_1)
	v_dual_mov_b32 v18, s18 :: v_dual_and_b32 v31, vcc_lo, v9
	s_mov_b32 s18, exec_lo
	ds_store_b32 v43, v18
	s_waitcnt lgkmcnt(0)
	s_barrier
	buffer_gl0_inv
	ds_load_b128 v[18:21], v5
	ds_load_b128 v[22:25], v5 offset:16
	ds_load_b128 v[26:29], v5 offset:32
	s_waitcnt lgkmcnt(2)
	v_cndmask_b32_e64 v18, v18, 0, s3
	v_cndmask_b32_e64 v32, v19, 0, s4
	;; [unrolled: 1-line block ×4, first 2 shown]
	s_waitcnt lgkmcnt(1)
	v_cndmask_b32_e64 v22, v22, 0, s7
	v_bcnt_u32_b32 v31, v31, v18
	ds_load_b96 v[18:20], v5 offset:48
	v_cndmask_b32_e64 v23, v23, 0, s8
	v_cndmask_b32_e64 v24, v24, 0, s9
	v_add3_u32 v31, v31, v32, v33
	s_delay_alu instid0(VALU_DEP_1) | instskip(SKIP_3) | instid1(VALU_DEP_3)
	v_add3_u32 v21, v31, v21, v22
	v_cndmask_b32_e64 v22, v25, 0, s10
	s_waitcnt lgkmcnt(1)
	v_cndmask_b32_e64 v25, v26, 0, s11
	v_add3_u32 v21, v21, v23, v24
	v_cndmask_b32_e64 v23, v27, 0, s12
	v_cndmask_b32_e64 v24, v28, 0, s13
	s_delay_alu instid0(VALU_DEP_3)
	v_add3_u32 v21, v21, v22, v25
	v_cndmask_b32_e64 v22, v29, 0, s14
	s_waitcnt lgkmcnt(0)
	v_cndmask_b32_e64 v18, v18, 0, s15
	v_cndmask_b32_e64 v19, v19, 0, s16
	;; [unrolled: 1-line block ×3, first 2 shown]
	v_add3_u32 v21, v21, v23, v24
	s_delay_alu instid0(VALU_DEP_1) | instskip(SKIP_1) | instid1(VALU_DEP_2)
	v_add3_u32 v18, v21, v22, v18
	v_and_b32_e32 v21, 1, v30
	v_add3_u32 v18, v18, v19, v20
	s_delay_alu instid0(VALU_DEP_2)
	v_cmpx_eq_u32_e32 1, v21
	s_cbranch_execz .LBB130_65
; %bb.64:                               ;   in Loop: Header=BB130_63 Depth=2
	s_delay_alu instid0(VALU_DEP_2) | instskip(SKIP_1) | instid1(VALU_DEP_2)
	v_ashrrev_i32_e32 v20, 31, v18
	v_add_co_u32 v19, vcc_lo, v10, v18
	v_add_co_ci_u32_e32 v20, vcc_lo, v11, v20, vcc_lo
	s_delay_alu instid0(VALU_DEP_1) | instskip(NEXT) | instid1(VALU_DEP_1)
	v_lshlrev_b64 v[19:20], 3, v[19:20]
	v_add_co_u32 v21, vcc_lo, s44, v19
	s_delay_alu instid0(VALU_DEP_2)
	v_add_co_ci_u32_e32 v22, vcc_lo, s30, v20, vcc_lo
	v_add_co_u32 v19, vcc_lo, s45, v19
	v_add_co_ci_u32_e32 v20, vcc_lo, s46, v20, vcc_lo
	global_store_b64 v[21:22], v[12:13], off
	global_store_b64 v[19:20], v[14:15], off
.LBB130_65:                             ;   in Loop: Header=BB130_63 Depth=2
	s_or_b32 exec_lo, exec_lo, s18
	s_and_saveexec_b32 s18, s2
	s_cbranch_execz .LBB130_62
; %bb.66:                               ;   in Loop: Header=BB130_63 Depth=2
	ds_store_b32 v5, v18 offset:60
	s_branch .LBB130_62
.LBB130_67:
	s_endpgm
	.section	.rodata,"a",@progbits
	.p2align	6, 0x0
	.amdhsa_kernel _ZN9rocsparseL36csrgemm_fill_block_per_row_multipassILj512ELj16ELj2048ELj32ElldEEvT4_PKS1_S3_NS_24const_host_device_scalarIT5_EEPKT3_S3_PKS5_S9_S3_SB_S6_S9_S3_SB_S9_PS1_PS5_PS7_21rocsparse_index_base_SF_SF_SF_bbb
		.amdhsa_group_segment_fixed_size 18440
		.amdhsa_private_segment_fixed_size 0
		.amdhsa_kernarg_size 164
		.amdhsa_user_sgpr_count 15
		.amdhsa_user_sgpr_dispatch_ptr 0
		.amdhsa_user_sgpr_queue_ptr 0
		.amdhsa_user_sgpr_kernarg_segment_ptr 1
		.amdhsa_user_sgpr_dispatch_id 0
		.amdhsa_user_sgpr_private_segment_size 0
		.amdhsa_wavefront_size32 1
		.amdhsa_uses_dynamic_stack 0
		.amdhsa_enable_private_segment 0
		.amdhsa_system_sgpr_workgroup_id_x 1
		.amdhsa_system_sgpr_workgroup_id_y 0
		.amdhsa_system_sgpr_workgroup_id_z 0
		.amdhsa_system_sgpr_workgroup_info 0
		.amdhsa_system_vgpr_workitem_id 0
		.amdhsa_next_free_vgpr 51
		.amdhsa_next_free_sgpr 64
		.amdhsa_reserve_vcc 1
		.amdhsa_float_round_mode_32 0
		.amdhsa_float_round_mode_16_64 0
		.amdhsa_float_denorm_mode_32 3
		.amdhsa_float_denorm_mode_16_64 3
		.amdhsa_dx10_clamp 1
		.amdhsa_ieee_mode 1
		.amdhsa_fp16_overflow 0
		.amdhsa_workgroup_processor_mode 1
		.amdhsa_memory_ordered 1
		.amdhsa_forward_progress 0
		.amdhsa_shared_vgpr_count 0
		.amdhsa_exception_fp_ieee_invalid_op 0
		.amdhsa_exception_fp_denorm_src 0
		.amdhsa_exception_fp_ieee_div_zero 0
		.amdhsa_exception_fp_ieee_overflow 0
		.amdhsa_exception_fp_ieee_underflow 0
		.amdhsa_exception_fp_ieee_inexact 0
		.amdhsa_exception_int_div_zero 0
	.end_amdhsa_kernel
	.section	.text._ZN9rocsparseL36csrgemm_fill_block_per_row_multipassILj512ELj16ELj2048ELj32ElldEEvT4_PKS1_S3_NS_24const_host_device_scalarIT5_EEPKT3_S3_PKS5_S9_S3_SB_S6_S9_S3_SB_S9_PS1_PS5_PS7_21rocsparse_index_base_SF_SF_SF_bbb,"axG",@progbits,_ZN9rocsparseL36csrgemm_fill_block_per_row_multipassILj512ELj16ELj2048ELj32ElldEEvT4_PKS1_S3_NS_24const_host_device_scalarIT5_EEPKT3_S3_PKS5_S9_S3_SB_S6_S9_S3_SB_S9_PS1_PS5_PS7_21rocsparse_index_base_SF_SF_SF_bbb,comdat
.Lfunc_end130:
	.size	_ZN9rocsparseL36csrgemm_fill_block_per_row_multipassILj512ELj16ELj2048ELj32ElldEEvT4_PKS1_S3_NS_24const_host_device_scalarIT5_EEPKT3_S3_PKS5_S9_S3_SB_S6_S9_S3_SB_S9_PS1_PS5_PS7_21rocsparse_index_base_SF_SF_SF_bbb, .Lfunc_end130-_ZN9rocsparseL36csrgemm_fill_block_per_row_multipassILj512ELj16ELj2048ELj32ElldEEvT4_PKS1_S3_NS_24const_host_device_scalarIT5_EEPKT3_S3_PKS5_S9_S3_SB_S6_S9_S3_SB_S9_PS1_PS5_PS7_21rocsparse_index_base_SF_SF_SF_bbb
                                        ; -- End function
	.section	.AMDGPU.csdata,"",@progbits
; Kernel info:
; codeLenInByte = 3452
; NumSgprs: 66
; NumVgprs: 51
; ScratchSize: 0
; MemoryBound: 0
; FloatMode: 240
; IeeeMode: 1
; LDSByteSize: 18440 bytes/workgroup (compile time only)
; SGPRBlocks: 8
; VGPRBlocks: 6
; NumSGPRsForWavesPerEU: 66
; NumVGPRsForWavesPerEU: 51
; Occupancy: 16
; WaveLimiterHint : 1
; COMPUTE_PGM_RSRC2:SCRATCH_EN: 0
; COMPUTE_PGM_RSRC2:USER_SGPR: 15
; COMPUTE_PGM_RSRC2:TRAP_HANDLER: 0
; COMPUTE_PGM_RSRC2:TGID_X_EN: 1
; COMPUTE_PGM_RSRC2:TGID_Y_EN: 0
; COMPUTE_PGM_RSRC2:TGID_Z_EN: 0
; COMPUTE_PGM_RSRC2:TIDIG_COMP_CNT: 0
	.section	.text._ZN9rocsparseL36csrgemm_fill_block_per_row_multipassILj512ELj16ELj2048ELj64ElldEEvT4_PKS1_S3_NS_24const_host_device_scalarIT5_EEPKT3_S3_PKS5_S9_S3_SB_S6_S9_S3_SB_S9_PS1_PS5_PS7_21rocsparse_index_base_SF_SF_SF_bbb,"axG",@progbits,_ZN9rocsparseL36csrgemm_fill_block_per_row_multipassILj512ELj16ELj2048ELj64ElldEEvT4_PKS1_S3_NS_24const_host_device_scalarIT5_EEPKT3_S3_PKS5_S9_S3_SB_S6_S9_S3_SB_S9_PS1_PS5_PS7_21rocsparse_index_base_SF_SF_SF_bbb,comdat
	.globl	_ZN9rocsparseL36csrgemm_fill_block_per_row_multipassILj512ELj16ELj2048ELj64ElldEEvT4_PKS1_S3_NS_24const_host_device_scalarIT5_EEPKT3_S3_PKS5_S9_S3_SB_S6_S9_S3_SB_S9_PS1_PS5_PS7_21rocsparse_index_base_SF_SF_SF_bbb ; -- Begin function _ZN9rocsparseL36csrgemm_fill_block_per_row_multipassILj512ELj16ELj2048ELj64ElldEEvT4_PKS1_S3_NS_24const_host_device_scalarIT5_EEPKT3_S3_PKS5_S9_S3_SB_S6_S9_S3_SB_S9_PS1_PS5_PS7_21rocsparse_index_base_SF_SF_SF_bbb
	.p2align	8
	.type	_ZN9rocsparseL36csrgemm_fill_block_per_row_multipassILj512ELj16ELj2048ELj64ElldEEvT4_PKS1_S3_NS_24const_host_device_scalarIT5_EEPKT3_S3_PKS5_S9_S3_SB_S6_S9_S3_SB_S9_PS1_PS5_PS7_21rocsparse_index_base_SF_SF_SF_bbb,@function
_ZN9rocsparseL36csrgemm_fill_block_per_row_multipassILj512ELj16ELj2048ELj64ElldEEvT4_PKS1_S3_NS_24const_host_device_scalarIT5_EEPKT3_S3_PKS5_S9_S3_SB_S6_S9_S3_SB_S9_PS1_PS5_PS7_21rocsparse_index_base_SF_SF_SF_bbb: ; @_ZN9rocsparseL36csrgemm_fill_block_per_row_multipassILj512ELj16ELj2048ELj64ElldEEvT4_PKS1_S3_NS_24const_host_device_scalarIT5_EEPKT3_S3_PKS5_S9_S3_SB_S6_S9_S3_SB_S9_PS1_PS5_PS7_21rocsparse_index_base_SF_SF_SF_bbb
; %bb.0:
	s_clause 0x4
	s_load_b32 s3, s[0:1], 0xa0
	s_load_b64 s[8:9], s[0:1], 0x18
	s_load_b128 s[4:7], s[0:1], 0x8
	s_load_b128 s[28:31], s[0:1], 0x90
	s_load_b64 s[10:11], s[0:1], 0x50
	s_mov_b32 s2, s15
	s_waitcnt lgkmcnt(0)
	s_and_b32 s13, 1, s3
	s_bitcmp1_b32 s3, 16
	s_cselect_b32 s12, -1, 0
	s_cmp_eq_u32 s13, 1
	s_cselect_b32 s47, -1, 0
	s_delay_alu instid0(SALU_CYCLE_1)
	s_and_b32 s13, s47, exec_lo
	s_cselect_b32 s15, s9, 0
	s_cselect_b32 s14, s8, 0
	s_xor_b32 s13, s47, -1
	v_dual_mov_b32 v1, s14 :: v_dual_mov_b32 v2, s15
	s_or_b32 s13, s13, s12
	s_delay_alu instid0(SALU_CYCLE_1)
	s_and_b32 vcc_lo, exec_lo, s13
	s_cbranch_vccnz .LBB131_2
; %bb.1:
	v_dual_mov_b32 v1, s8 :: v_dual_mov_b32 v2, s9
	flat_load_b64 v[1:2], v[1:2]
.LBB131_2:
	s_load_b64 s[8:9], s[0:1], 0x20
	s_bitcmp1_b32 s3, 8
	s_cselect_b32 s33, -1, 0
	s_delay_alu instid0(SALU_CYCLE_1)
	s_and_b32 s3, s33, exec_lo
	s_cselect_b32 s15, s11, 0
	s_cselect_b32 s14, s10, 0
	s_xor_b32 s3, s33, -1
	v_dual_mov_b32 v3, s14 :: v_dual_mov_b32 v4, s15
	s_or_b32 s3, s3, s12
	s_delay_alu instid0(SALU_CYCLE_1)
	s_and_b32 vcc_lo, exec_lo, s3
	s_cbranch_vccnz .LBB131_4
; %bb.3:
	v_dual_mov_b32 v3, s10 :: v_dual_mov_b32 v4, s11
	flat_load_b64 v[3:4], v[3:4]
.LBB131_4:
	s_load_b64 s[4:5], s[4:5], 0x0
	s_mov_b32 s3, 0
	s_mov_b64 s[34:35], 0
	s_waitcnt lgkmcnt(0)
	s_lshl_b64 s[4:5], s[4:5], 3
	s_delay_alu instid0(SALU_CYCLE_1) | instskip(SKIP_2) | instid1(SALU_CYCLE_1)
	s_add_u32 s4, s6, s4
	s_addc_u32 s5, s7, s5
	s_lshl_b64 s[2:3], s[2:3], 3
	s_add_u32 s2, s4, s2
	s_addc_u32 s3, s5, s3
	s_and_not1_b32 vcc_lo, exec_lo, s47
	s_load_b64 s[4:5], s[2:3], 0x0
	s_mov_b64 s[2:3], 0
	s_cbranch_vccz .LBB131_7
; %bb.5:
	s_and_not1_b32 vcc_lo, exec_lo, s47
	s_cbranch_vccz .LBB131_8
.LBB131_6:
	s_load_b64 s[40:41], s[0:1], 0x0
	s_waitcnt lgkmcnt(0)
	v_cmp_lt_i64_e64 s6, s[40:41], 1
	s_delay_alu instid0(VALU_DEP_1)
	s_and_b32 vcc_lo, exec_lo, s6
	s_cbranch_vccz .LBB131_9
	s_branch .LBB131_67
.LBB131_7:
	s_waitcnt lgkmcnt(0)
	s_lshl_b64 s[2:3], s[4:5], 3
	s_delay_alu instid0(SALU_CYCLE_1)
	s_add_u32 s2, s8, s2
	s_addc_u32 s3, s9, s3
	s_load_b64 s[2:3], s[2:3], 0x0
	s_waitcnt lgkmcnt(0)
	s_sub_u32 s2, s2, s28
	s_subb_u32 s3, s3, 0
	s_and_not1_b32 vcc_lo, exec_lo, s47
	s_cbranch_vccnz .LBB131_6
.LBB131_8:
	s_waitcnt lgkmcnt(0)
	s_lshl_b64 s[6:7], s[4:5], 3
	s_delay_alu instid0(SALU_CYCLE_1)
	s_add_u32 s6, s8, s6
	s_addc_u32 s7, s9, s7
	s_load_b64 s[6:7], s[6:7], 0x8
	s_waitcnt lgkmcnt(0)
	s_sub_u32 s34, s6, s28
	s_subb_u32 s35, s7, 0
	s_load_b64 s[40:41], s[0:1], 0x0
	s_waitcnt lgkmcnt(0)
	v_cmp_lt_i64_e64 s6, s[40:41], 1
	s_delay_alu instid0(VALU_DEP_1)
	s_and_b32 vcc_lo, exec_lo, s6
	s_cbranch_vccnz .LBB131_67
.LBB131_9:
	s_clause 0x4
	s_load_b256 s[12:19], s[0:1], 0x58
	s_load_b64 s[42:43], s[0:1], 0x88
	s_load_b128 s[36:39], s[0:1], 0x78
	s_load_b64 s[44:45], s[0:1], 0x48
	s_load_b256 s[20:27], s[0:1], 0x28
	v_mbcnt_lo_u32_b32 v9, -1, 0
	v_lshrrev_b32_e32 v6, 4, v0
	s_lshl_b64 s[4:5], s[4:5], 3
	v_sub_co_u32 v37, s1, v0, s31
	s_delay_alu instid0(VALU_DEP_3) | instskip(SKIP_3) | instid1(VALU_DEP_4)
	v_xor_b32_e32 v10, 8, v9
	v_xor_b32_e32 v11, 4, v9
	v_sub_co_ci_u32_e64 v38, null, 0, 0, s1
	v_add_co_u32 v7, s1, s2, v6
	v_cmp_gt_i32_e32 vcc_lo, 32, v10
	v_add_co_ci_u32_e64 v8, null, s3, 0, s1
	v_xor_b32_e32 v12, 2, v9
	s_waitcnt lgkmcnt(0)
	s_add_u32 s6, s18, s4
	s_addc_u32 s7, s19, s5
	v_cndmask_b32_e32 v10, v9, v10, vcc_lo
	s_load_b64 s[2:3], s[6:7], 0x0
	v_cmp_gt_i32_e32 vcc_lo, 32, v11
	v_xor_b32_e32 v13, 1, v9
	v_xor_b32_e32 v14, 63, v9
	v_dual_mov_b32 v5, 0 :: v_dual_and_b32 v36, 15, v0
	v_cndmask_b32_e32 v11, v9, v11, vcc_lo
	v_cmp_gt_i32_e32 vcc_lo, 32, v12
	s_mov_b32 s46, s31
	v_cmp_eq_u32_e64 s0, 0, v0
	v_and_b32_e32 v43, 28, v6
	v_cmp_gt_u32_e64 s6, 0x100, v0
	v_cndmask_b32_e32 v12, v9, v12, vcc_lo
	v_cmp_gt_i32_e32 vcc_lo, 32, v13
	v_cmp_gt_u32_e64 s7, 0x140, v0
	v_cmp_gt_u32_e64 s8, 0x180, v0
	;; [unrolled: 1-line block ×3, first 2 shown]
	v_lshlrev_b32_e32 v41, 2, v12
	v_lshlrev_b32_e32 v39, 2, v10
	v_cndmask_b32_e32 v9, v9, v13, vcc_lo
	v_cmp_gt_i64_e32 vcc_lo, s[34:35], v[7:8]
	s_waitcnt lgkmcnt(0)
	s_sub_u32 s10, s2, s30
	s_subb_u32 s11, s3, 0
	s_add_u32 s12, s12, s4
	s_addc_u32 s13, s13, s5
	v_lshlrev_b32_e32 v42, 2, v9
	v_lshlrev_b32_e32 v40, 2, v11
	s_and_b32 s31, s47, vcc_lo
	v_lshrrev_b64 v[9:10], v14, -1
	v_cmp_eq_u32_e64 s2, 0x1ff, v0
	v_cmp_gt_u32_e64 s3, 64, v0
	v_cmp_gt_u32_e64 s4, 0x80, v0
	;; [unrolled: 1-line block ×3, first 2 shown]
	s_add_u32 s47, s24, 8
	v_or_b32_e32 v44, 0xfffffe00, v0
	v_dual_mov_b32 v14, 0x800 :: v_dual_lshlrev_b32 v45, 3, v0
	v_add_co_u32 v0, s18, v0, s30
	v_mov_b32_e32 v12, 0
	s_addc_u32 s48, s25, 0
	v_dual_mov_b32 v13, 0 :: v_dual_mov_b32 v10, s10
	v_cmp_eq_u32_e64 s1, 15, v36
	s_add_u32 s36, s36, -8
	v_add_co_ci_u32_e64 v46, null, 0, 0, s18
	v_dual_mov_b32 v15, 0 :: v_dual_mov_b32 v6, v5
	v_mov_b32_e32 v11, s11
	v_mov_b32_e32 v47, 1
	s_addc_u32 s30, s37, -1
	s_add_u32 s37, s38, -8
	s_addc_u32 s38, s39, -1
	s_branch .LBB131_11
.LBB131_10:                             ;   in Loop: Header=BB131_11 Depth=1
	s_or_b32 exec_lo, exec_lo, s11
	ds_load_b64 v[12:13], v5 offset:18432
	s_waitcnt lgkmcnt(0)
	s_barrier
	buffer_gl0_inv
	v_cmp_le_i64_e32 vcc_lo, s[40:41], v[12:13]
	v_add_co_u32 v14, s10, 0x800, v12
	s_delay_alu instid0(VALU_DEP_1)
	v_add_co_ci_u32_e64 v15, s10, 0, v13, s10
	s_cbranch_vccnz .LBB131_67
.LBB131_11:                             ; =>This Loop Header: Depth=1
                                        ;     Child Loop BB131_12 Depth 2
                                        ;     Child Loop BB131_18 Depth 2
                                        ;       Child Loop BB131_26 Depth 3
                                        ;         Child Loop BB131_30 Depth 4
                                        ;     Child Loop BB131_44 Depth 2
                                        ;       Child Loop BB131_48 Depth 3
                                        ;     Child Loop BB131_58 Depth 2
                                        ;     Child Loop BB131_63 Depth 2
	v_dual_mov_b32 v16, v45 :: v_dual_mov_b32 v17, v44
	s_mov_b32 s10, 0
.LBB131_12:                             ;   Parent Loop BB131_11 Depth=1
                                        ; =>  This Inner Loop Header: Depth=2
	ds_store_b8 v17, v5 offset:16896
	v_add_nc_u32_e32 v17, 0x200, v17
	ds_store_b64 v16, v[5:6]
	v_add_nc_u32_e32 v16, 0x1000, v16
	v_cmp_lt_u32_e32 vcc_lo, 0x5ff, v17
	s_or_b32 s10, vcc_lo, s10
	s_delay_alu instid0(SALU_CYCLE_1)
	s_and_not1_b32 exec_lo, exec_lo, s10
	s_cbranch_execnz .LBB131_12
; %bb.13:                               ;   in Loop: Header=BB131_11 Depth=1
	s_or_b32 exec_lo, exec_lo, s10
	s_and_saveexec_b32 s10, s0
	s_cbranch_execz .LBB131_15
; %bb.14:                               ;   in Loop: Header=BB131_11 Depth=1
	v_dual_mov_b32 v16, s40 :: v_dual_mov_b32 v17, s41
	ds_store_b64 v5, v[16:17] offset:18432
.LBB131_15:                             ;   in Loop: Header=BB131_11 Depth=1
	s_or_b32 exec_lo, exec_lo, s10
	v_dual_mov_b32 v16, s40 :: v_dual_mov_b32 v17, s41
	s_waitcnt vmcnt(0) lgkmcnt(0)
	s_barrier
	buffer_gl0_inv
	s_and_saveexec_b32 s18, s31
	s_cbranch_execz .LBB131_40
; %bb.16:                               ;   in Loop: Header=BB131_11 Depth=1
	v_cmp_ne_u64_e64 s10, 0, v[12:13]
	v_dual_mov_b32 v16, s40 :: v_dual_mov_b32 v17, s41
	v_dual_mov_b32 v19, v8 :: v_dual_mov_b32 v18, v7
	s_mov_b32 s19, 0
	s_branch .LBB131_18
.LBB131_17:                             ;   in Loop: Header=BB131_18 Depth=2
	s_or_b32 exec_lo, exec_lo, s39
	v_add_co_u32 v18, vcc_lo, v18, 32
	v_add_co_ci_u32_e32 v19, vcc_lo, 0, v19, vcc_lo
	s_delay_alu instid0(VALU_DEP_1) | instskip(SKIP_1) | instid1(SALU_CYCLE_1)
	v_cmp_le_i64_e32 vcc_lo, s[34:35], v[18:19]
	s_or_b32 s19, vcc_lo, s19
	s_and_not1_b32 exec_lo, exec_lo, s19
	s_cbranch_execz .LBB131_39
.LBB131_18:                             ;   Parent Loop BB131_11 Depth=1
                                        ; =>  This Loop Header: Depth=2
                                        ;       Child Loop BB131_26 Depth 3
                                        ;         Child Loop BB131_30 Depth 4
	s_delay_alu instid0(VALU_DEP_1) | instskip(NEXT) | instid1(VALU_DEP_1)
	v_lshlrev_b64 v[20:21], 3, v[18:19]
	v_add_co_u32 v22, vcc_lo, s20, v20
	s_delay_alu instid0(VALU_DEP_2)
	v_add_co_ci_u32_e32 v23, vcc_lo, s21, v21, vcc_lo
	v_add_co_u32 v26, vcc_lo, s22, v20
	v_add_co_ci_u32_e32 v27, vcc_lo, s23, v21, vcc_lo
	s_and_b32 vcc_lo, exec_lo, s10
	s_waitcnt lgkmcnt(0)
	global_load_b64 v[24:25], v[22:23], off
	global_load_b64 v[26:27], v[26:27], off
	s_cbranch_vccz .LBB131_20
; %bb.19:                               ;   in Loop: Header=BB131_18 Depth=2
	v_add_co_u32 v22, vcc_lo, s42, v20
	v_add_co_ci_u32_e32 v23, vcc_lo, s43, v21, vcc_lo
	s_mov_b32 s11, 0
	global_load_b64 v[22:23], v[22:23], off
	s_branch .LBB131_21
.LBB131_20:                             ;   in Loop: Header=BB131_18 Depth=2
	s_mov_b32 s11, -1
                                        ; implicit-def: $vgpr22_vgpr23
.LBB131_21:                             ;   in Loop: Header=BB131_18 Depth=2
	s_waitcnt vmcnt(1)
	v_sub_co_u32 v24, vcc_lo, v24, s28
	v_subrev_co_ci_u32_e32 v25, vcc_lo, 0, v25, vcc_lo
	s_and_not1_b32 vcc_lo, exec_lo, s11
	s_delay_alu instid0(VALU_DEP_1)
	v_lshlrev_b64 v[24:25], 3, v[24:25]
	s_cbranch_vccnz .LBB131_23
; %bb.22:                               ;   in Loop: Header=BB131_18 Depth=2
	s_waitcnt vmcnt(0)
	s_delay_alu instid0(VALU_DEP_1) | instskip(NEXT) | instid1(VALU_DEP_2)
	v_add_co_u32 v22, vcc_lo, s24, v24
	v_add_co_ci_u32_e32 v23, vcc_lo, s25, v25, vcc_lo
	global_load_b64 v[22:23], v[22:23], off
	s_waitcnt vmcnt(0)
	v_sub_co_u32 v22, vcc_lo, v22, s29
	v_subrev_co_ci_u32_e32 v23, vcc_lo, 0, v23, vcc_lo
.LBB131_23:                             ;   in Loop: Header=BB131_18 Depth=2
	s_delay_alu instid0(VALU_DEP_1) | instskip(NEXT) | instid1(VALU_DEP_2)
	v_add_co_u32 v24, vcc_lo, s47, v24
	v_add_co_ci_u32_e32 v25, vcc_lo, s48, v25, vcc_lo
	s_mov_b32 s39, exec_lo
	global_load_b64 v[24:25], v[24:25], off
	s_waitcnt vmcnt(0)
	v_sub_co_u32 v24, vcc_lo, v24, s29
	v_subrev_co_ci_u32_e32 v25, vcc_lo, 0, v25, vcc_lo
	v_add_co_u32 v22, vcc_lo, v22, v36
	v_add_co_ci_u32_e32 v23, vcc_lo, 0, v23, vcc_lo
	s_delay_alu instid0(VALU_DEP_1)
	v_cmpx_lt_i64_e64 v[22:23], v[24:25]
	s_cbranch_execz .LBB131_37
; %bb.24:                               ;   in Loop: Header=BB131_18 Depth=2
	v_mul_f64 v[26:27], v[1:2], v[26:27]
	v_dual_mov_b32 v31, v23 :: v_dual_mov_b32 v30, v22
	s_mov_b32 s50, 0
                                        ; implicit-def: $sgpr49
                                        ; implicit-def: $sgpr51
	s_branch .LBB131_26
.LBB131_25:                             ;   in Loop: Header=BB131_26 Depth=3
	s_or_b32 exec_lo, exec_lo, s52
	s_delay_alu instid0(SALU_CYCLE_1) | instskip(SKIP_4) | instid1(SALU_CYCLE_1)
	s_and_b32 s11, exec_lo, s53
	v_dual_mov_b32 v30, v34 :: v_dual_mov_b32 v31, v35
	s_or_b32 s50, s11, s50
	s_and_not1_b32 s11, s49, exec_lo
	s_and_b32 s49, s51, exec_lo
	s_or_b32 s49, s11, s49
	s_and_not1_b32 exec_lo, exec_lo, s50
	s_cbranch_execz .LBB131_34
.LBB131_26:                             ;   Parent Loop BB131_11 Depth=1
                                        ;     Parent Loop BB131_18 Depth=2
                                        ; =>    This Loop Header: Depth=3
                                        ;         Child Loop BB131_30 Depth 4
	s_delay_alu instid0(VALU_DEP_1) | instskip(NEXT) | instid1(VALU_DEP_1)
	v_lshlrev_b64 v[32:33], 3, v[30:31]
	v_add_co_u32 v28, vcc_lo, s26, v32
	s_delay_alu instid0(VALU_DEP_2) | instskip(SKIP_4) | instid1(VALU_DEP_1)
	v_add_co_ci_u32_e32 v29, vcc_lo, s27, v33, vcc_lo
	global_load_b64 v[28:29], v[28:29], off
	s_waitcnt vmcnt(0)
	v_sub_co_u32 v28, vcc_lo, v28, s29
	v_subrev_co_ci_u32_e32 v29, vcc_lo, 0, v29, vcc_lo
	v_cmp_lt_i64_e32 vcc_lo, v[28:29], v[14:15]
	v_cmp_lt_i64_e64 s11, v[28:29], v[12:13]
	s_xor_b32 s52, vcc_lo, -1
	s_delay_alu instid0(VALU_DEP_1) | instid1(SALU_CYCLE_1)
	s_or_b32 s53, s11, s52
	s_mov_b32 s11, 0
                                        ; implicit-def: $sgpr52
	s_and_saveexec_b32 s54, s53
	s_delay_alu instid0(SALU_CYCLE_1)
	s_xor_b32 s53, exec_lo, s54
; %bb.27:                               ;   in Loop: Header=BB131_26 Depth=3
	s_mov_b32 s52, -1
	s_and_b32 s11, vcc_lo, exec_lo
                                        ; implicit-def: $vgpr32_vgpr33
; %bb.28:                               ;   in Loop: Header=BB131_26 Depth=3
	s_and_not1_saveexec_b32 s53, s53
	s_cbranch_execz .LBB131_32
; %bb.29:                               ;   in Loop: Header=BB131_26 Depth=3
	v_add_co_u32 v32, vcc_lo, s44, v32
	v_add_co_ci_u32_e32 v33, vcc_lo, s45, v33, vcc_lo
	v_sub_nc_u32_e32 v34, v28, v12
	s_mov_b32 s54, 0
	global_load_b64 v[32:33], v[32:33], off
	v_lshlrev_b32_e32 v48, 3, v34
	ds_store_b8 v34, v47 offset:16384
	ds_load_b64 v[34:35], v48
	s_waitcnt vmcnt(0)
	v_mul_f64 v[32:33], v[26:27], v[32:33]
.LBB131_30:                             ;   Parent Loop BB131_11 Depth=1
                                        ;     Parent Loop BB131_18 Depth=2
                                        ;       Parent Loop BB131_26 Depth=3
                                        ; =>      This Inner Loop Header: Depth=4
	s_waitcnt lgkmcnt(0)
	s_delay_alu instid0(VALU_DEP_1)
	v_add_f64 v[49:50], v[34:35], v[32:33]
	ds_cmpstore_rtn_b64 v[49:50], v48, v[49:50], v[34:35]
	s_waitcnt lgkmcnt(0)
	v_cmp_eq_u64_e32 vcc_lo, v[49:50], v[34:35]
	v_dual_mov_b32 v34, v49 :: v_dual_mov_b32 v35, v50
	s_or_b32 s54, vcc_lo, s54
	s_delay_alu instid0(SALU_CYCLE_1)
	s_and_not1_b32 exec_lo, exec_lo, s54
	s_cbranch_execnz .LBB131_30
; %bb.31:                               ;   in Loop: Header=BB131_26 Depth=3
	s_or_b32 exec_lo, exec_lo, s54
	s_delay_alu instid0(SALU_CYCLE_1)
	s_or_b32 s11, s11, exec_lo
.LBB131_32:                             ;   in Loop: Header=BB131_26 Depth=3
	s_or_b32 exec_lo, exec_lo, s53
	v_dual_mov_b32 v33, v31 :: v_dual_mov_b32 v32, v30
	s_and_not1_b32 s51, s51, exec_lo
	s_and_b32 s52, s52, exec_lo
	s_mov_b32 s53, -1
	s_or_b32 s51, s51, s52
                                        ; implicit-def: $vgpr34_vgpr35
	s_and_saveexec_b32 s52, s11
	s_cbranch_execz .LBB131_25
; %bb.33:                               ;   in Loop: Header=BB131_26 Depth=3
	v_add_co_u32 v34, vcc_lo, v30, 16
	v_add_co_ci_u32_e32 v35, vcc_lo, 0, v31, vcc_lo
	v_dual_mov_b32 v33, v31 :: v_dual_mov_b32 v32, v30
	s_and_not1_b32 s51, s51, exec_lo
	s_delay_alu instid0(VALU_DEP_2)
	v_cmp_ge_i64_e32 vcc_lo, v[34:35], v[24:25]
	s_or_not1_b32 s53, vcc_lo, exec_lo
	s_branch .LBB131_25
.LBB131_34:                             ;   in Loop: Header=BB131_18 Depth=2
	s_or_b32 exec_lo, exec_lo, s50
	s_and_saveexec_b32 s11, s49
	s_delay_alu instid0(SALU_CYCLE_1)
	s_xor_b32 s11, exec_lo, s11
; %bb.35:                               ;   in Loop: Header=BB131_18 Depth=2
	v_cmp_lt_i64_e32 vcc_lo, v[28:29], v[16:17]
	v_dual_mov_b32 v22, v32 :: v_dual_mov_b32 v23, v33
	v_dual_cndmask_b32 v17, v17, v29 :: v_dual_cndmask_b32 v16, v16, v28
; %bb.36:                               ;   in Loop: Header=BB131_18 Depth=2
	s_or_b32 exec_lo, exec_lo, s11
.LBB131_37:                             ;   in Loop: Header=BB131_18 Depth=2
	s_delay_alu instid0(SALU_CYCLE_1)
	s_or_b32 exec_lo, exec_lo, s39
	ds_bpermute_b32 v24, v39, v22
	ds_bpermute_b32 v25, v39, v23
	s_waitcnt lgkmcnt(0)
	v_cmp_lt_i64_e32 vcc_lo, v[24:25], v[22:23]
	v_dual_cndmask_b32 v23, v23, v25 :: v_dual_cndmask_b32 v22, v22, v24
	ds_bpermute_b32 v25, v40, v23
	ds_bpermute_b32 v24, v40, v22
	s_waitcnt lgkmcnt(0)
	v_cmp_lt_i64_e32 vcc_lo, v[24:25], v[22:23]
	v_dual_cndmask_b32 v23, v23, v25 :: v_dual_cndmask_b32 v22, v22, v24
	;; [unrolled: 5-line block ×3, first 2 shown]
	ds_bpermute_b32 v25, v42, v23
	ds_bpermute_b32 v24, v42, v22
	s_and_saveexec_b32 s39, s1
	s_cbranch_execz .LBB131_17
; %bb.38:                               ;   in Loop: Header=BB131_18 Depth=2
	s_waitcnt lgkmcnt(0)
	v_cmp_lt_i64_e32 vcc_lo, v[24:25], v[22:23]
	v_add_co_u32 v20, s11, s42, v20
	s_delay_alu instid0(VALU_DEP_1)
	v_add_co_ci_u32_e64 v21, s11, s43, v21, s11
	v_dual_cndmask_b32 v23, v23, v25 :: v_dual_cndmask_b32 v22, v22, v24
	global_store_b64 v[20:21], v[22:23], off
	s_branch .LBB131_17
.LBB131_39:                             ;   in Loop: Header=BB131_11 Depth=1
	s_or_b32 exec_lo, exec_lo, s19
.LBB131_40:                             ;   in Loop: Header=BB131_11 Depth=1
	s_delay_alu instid0(SALU_CYCLE_1) | instskip(NEXT) | instid1(SALU_CYCLE_1)
	s_or_b32 exec_lo, exec_lo, s18
	s_and_not1_b32 vcc_lo, exec_lo, s33
	s_cbranch_vccnz .LBB131_56
; %bb.41:                               ;   in Loop: Header=BB131_11 Depth=1
	s_load_b128 s[52:55], s[12:13], 0x0
	s_mov_b32 s11, exec_lo
	s_waitcnt lgkmcnt(0)
	v_add_co_u32 v18, vcc_lo, s52, v37
	v_add_co_ci_u32_e32 v19, vcc_lo, s53, v38, vcc_lo
	s_sub_u32 s18, s54, s46
	s_subb_u32 s19, s55, 0
	s_delay_alu instid0(VALU_DEP_1) | instid1(SALU_CYCLE_1)
	v_cmpx_gt_i64_e64 s[18:19], v[18:19]
	s_cbranch_execz .LBB131_55
; %bb.42:                               ;   in Loop: Header=BB131_11 Depth=1
	s_mov_b32 s39, 0
                                        ; implicit-def: $sgpr49
                                        ; implicit-def: $sgpr50
	s_branch .LBB131_44
.LBB131_43:                             ;   in Loop: Header=BB131_44 Depth=2
	s_or_b32 exec_lo, exec_lo, s52
	s_delay_alu instid0(SALU_CYCLE_1) | instskip(NEXT) | instid1(SALU_CYCLE_1)
	s_and_b32 s10, exec_lo, s51
	s_or_b32 s39, s10, s39
	s_and_not1_b32 s10, s49, exec_lo
	s_and_b32 s49, s50, exec_lo
	s_delay_alu instid0(SALU_CYCLE_1)
	s_or_b32 s49, s10, s49
	s_and_not1_b32 exec_lo, exec_lo, s39
	s_cbranch_execz .LBB131_52
.LBB131_44:                             ;   Parent Loop BB131_11 Depth=1
                                        ; =>  This Loop Header: Depth=2
                                        ;       Child Loop BB131_48 Depth 3
	v_lshlrev_b64 v[22:23], 3, v[18:19]
	s_delay_alu instid0(VALU_DEP_1) | instskip(NEXT) | instid1(VALU_DEP_2)
	v_add_co_u32 v20, vcc_lo, s14, v22
	v_add_co_ci_u32_e32 v21, vcc_lo, s15, v23, vcc_lo
	global_load_b64 v[20:21], v[20:21], off
	s_waitcnt vmcnt(0)
	v_sub_co_u32 v20, vcc_lo, v20, s46
	v_subrev_co_ci_u32_e32 v21, vcc_lo, 0, v21, vcc_lo
	s_delay_alu instid0(VALU_DEP_1)
	v_cmp_lt_i64_e32 vcc_lo, v[20:21], v[14:15]
	v_cmp_lt_i64_e64 s10, v[20:21], v[12:13]
	s_xor_b32 s51, vcc_lo, -1
	s_delay_alu instid0(VALU_DEP_1) | instid1(SALU_CYCLE_1)
	s_or_b32 s52, s10, s51
	s_mov_b32 s10, 0
                                        ; implicit-def: $sgpr51
	s_and_saveexec_b32 s53, s52
	s_delay_alu instid0(SALU_CYCLE_1)
	s_xor_b32 s52, exec_lo, s53
; %bb.45:                               ;   in Loop: Header=BB131_44 Depth=2
	s_mov_b32 s51, -1
	s_and_b32 s10, vcc_lo, exec_lo
                                        ; implicit-def: $vgpr22_vgpr23
; %bb.46:                               ;   in Loop: Header=BB131_44 Depth=2
	s_and_not1_saveexec_b32 s52, s52
	s_cbranch_execz .LBB131_50
; %bb.47:                               ;   in Loop: Header=BB131_44 Depth=2
	v_add_co_u32 v22, vcc_lo, s16, v22
	v_add_co_ci_u32_e32 v23, vcc_lo, s17, v23, vcc_lo
	v_sub_nc_u32_e32 v24, v20, v12
	s_mov_b32 s53, 0
	global_load_b64 v[22:23], v[22:23], off
	v_lshlrev_b32_e32 v26, 3, v24
	ds_store_b8 v24, v47 offset:16384
	ds_load_b64 v[24:25], v26
	s_waitcnt vmcnt(0)
	v_mul_f64 v[22:23], v[3:4], v[22:23]
.LBB131_48:                             ;   Parent Loop BB131_11 Depth=1
                                        ;     Parent Loop BB131_44 Depth=2
                                        ; =>    This Inner Loop Header: Depth=3
	s_waitcnt lgkmcnt(0)
	s_delay_alu instid0(VALU_DEP_1)
	v_add_f64 v[27:28], v[24:25], v[22:23]
	ds_cmpstore_rtn_b64 v[27:28], v26, v[27:28], v[24:25]
	s_waitcnt lgkmcnt(0)
	v_cmp_eq_u64_e32 vcc_lo, v[27:28], v[24:25]
	v_dual_mov_b32 v24, v27 :: v_dual_mov_b32 v25, v28
	s_or_b32 s53, vcc_lo, s53
	s_delay_alu instid0(SALU_CYCLE_1)
	s_and_not1_b32 exec_lo, exec_lo, s53
	s_cbranch_execnz .LBB131_48
; %bb.49:                               ;   in Loop: Header=BB131_44 Depth=2
	s_or_b32 exec_lo, exec_lo, s53
	s_delay_alu instid0(SALU_CYCLE_1)
	s_or_b32 s10, s10, exec_lo
.LBB131_50:                             ;   in Loop: Header=BB131_44 Depth=2
	s_or_b32 exec_lo, exec_lo, s52
	s_delay_alu instid0(SALU_CYCLE_1)
	s_and_not1_b32 s50, s50, exec_lo
	s_and_b32 s52, s51, exec_lo
	s_mov_b32 s51, -1
	s_or_b32 s50, s50, s52
	s_and_saveexec_b32 s52, s10
	s_cbranch_execz .LBB131_43
; %bb.51:                               ;   in Loop: Header=BB131_44 Depth=2
	v_add_co_u32 v18, vcc_lo, 0x200, v18
	v_add_co_ci_u32_e32 v19, vcc_lo, 0, v19, vcc_lo
	s_and_not1_b32 s50, s50, exec_lo
	s_delay_alu instid0(VALU_DEP_1)
	v_cmp_le_i64_e32 vcc_lo, s[18:19], v[18:19]
	s_or_not1_b32 s51, vcc_lo, exec_lo
	s_branch .LBB131_43
.LBB131_52:                             ;   in Loop: Header=BB131_11 Depth=1
	s_or_b32 exec_lo, exec_lo, s39
	s_and_saveexec_b32 s10, s49
	s_delay_alu instid0(SALU_CYCLE_1)
	s_xor_b32 s10, exec_lo, s10
; %bb.53:                               ;   in Loop: Header=BB131_11 Depth=1
	v_cmp_lt_i64_e32 vcc_lo, v[20:21], v[16:17]
	v_dual_cndmask_b32 v17, v17, v21 :: v_dual_cndmask_b32 v16, v16, v20
; %bb.54:                               ;   in Loop: Header=BB131_11 Depth=1
	s_or_b32 exec_lo, exec_lo, s10
.LBB131_55:                             ;   in Loop: Header=BB131_11 Depth=1
	s_delay_alu instid0(SALU_CYCLE_1)
	s_or_b32 exec_lo, exec_lo, s11
.LBB131_56:                             ;   in Loop: Header=BB131_11 Depth=1
	ds_bpermute_b32 v14, v39, v16
	ds_bpermute_b32 v15, v39, v17
	s_waitcnt lgkmcnt(0)
	v_cmp_lt_i64_e32 vcc_lo, v[14:15], v[16:17]
	v_dual_cndmask_b32 v15, v17, v15 :: v_dual_cndmask_b32 v14, v16, v14
	ds_bpermute_b32 v17, v40, v15
	ds_bpermute_b32 v16, v40, v14
	s_waitcnt lgkmcnt(0)
	v_cmp_lt_i64_e32 vcc_lo, v[16:17], v[14:15]
	v_dual_cndmask_b32 v15, v15, v17 :: v_dual_cndmask_b32 v14, v14, v16
	;; [unrolled: 5-line block ×3, first 2 shown]
	ds_bpermute_b32 v17, v42, v15
	ds_bpermute_b32 v16, v42, v14
	s_and_saveexec_b32 s18, s1
	s_cbranch_execz .LBB131_61
; %bb.57:                               ;   in Loop: Header=BB131_11 Depth=1
	s_waitcnt lgkmcnt(0)
	v_cmp_lt_i64_e32 vcc_lo, v[16:17], v[14:15]
	s_mov_b32 s19, exec_lo
	s_mov_b64 s[10:11], -1
	v_dual_cndmask_b32 v15, v15, v17 :: v_dual_cndmask_b32 v14, v14, v16
.LBB131_58:                             ;   Parent Loop BB131_11 Depth=1
                                        ; =>  This Inner Loop Header: Depth=2
	s_ctz_i32_b32 s39, s19
	s_delay_alu instid0(VALU_DEP_1) | instid1(SALU_CYCLE_1)
	v_readlane_b32 s51, v15, s39
	s_delay_alu instid0(VALU_DEP_2) | instskip(NEXT) | instid1(VALU_DEP_1)
	v_readlane_b32 s50, v14, s39
	v_cmp_lt_u64_e64 s49, s[10:11], s[50:51]
	s_delay_alu instid0(VALU_DEP_1) | instskip(SKIP_3) | instid1(SALU_CYCLE_1)
	s_and_b32 s49, s49, exec_lo
	s_cselect_b32 s11, s11, s51
	s_cselect_b32 s10, s10, s50
	s_lshl_b32 s39, 1, s39
	s_and_not1_b32 s19, s19, s39
	s_delay_alu instid0(SALU_CYCLE_1)
	s_cmp_lg_u32 s19, 0
	s_cbranch_scc1 .LBB131_58
; %bb.59:                               ;   in Loop: Header=BB131_11 Depth=1
	v_mbcnt_lo_u32_b32 v14, exec_lo, 0
	s_mov_b32 s19, exec_lo
	s_delay_alu instid0(VALU_DEP_1)
	v_cmpx_eq_u32_e32 0, v14
	s_xor_b32 s19, exec_lo, s19
	s_cbranch_execz .LBB131_61
; %bb.60:                               ;   in Loop: Header=BB131_11 Depth=1
	v_dual_mov_b32 v15, s11 :: v_dual_mov_b32 v14, s10
	ds_min_u64 v5, v[14:15] offset:18432
.LBB131_61:                             ;   in Loop: Header=BB131_11 Depth=1
	s_or_b32 exec_lo, exec_lo, s18
	v_add_co_u32 v12, vcc_lo, v0, v12
	v_add_co_ci_u32_e32 v13, vcc_lo, v46, v13, vcc_lo
	s_waitcnt lgkmcnt(0)
	v_dual_mov_b32 v16, v45 :: v_dual_mov_b32 v17, v44
	s_mov_b32 s11, 0
	s_waitcnt_vscnt null, 0x0
	s_barrier
	buffer_gl0_inv
	s_branch .LBB131_63
.LBB131_62:                             ;   in Loop: Header=BB131_63 Depth=2
	s_or_b32 exec_lo, exec_lo, s10
	s_waitcnt lgkmcnt(0)
	s_waitcnt_vscnt null, 0x0
	s_barrier
	buffer_gl0_inv
	ds_load_b32 v14, v5 offset:28
	v_add_nc_u32_e32 v17, 0x200, v17
	v_add_co_u32 v12, vcc_lo, 0x200, v12
	v_add_co_ci_u32_e32 v13, vcc_lo, 0, v13, vcc_lo
	s_delay_alu instid0(VALU_DEP_3)
	v_cmp_lt_u32_e32 vcc_lo, 0x5ff, v17
	v_add_nc_u32_e32 v16, 0x1000, v16
	s_or_b32 s11, vcc_lo, s11
	s_waitcnt lgkmcnt(0)
	v_ashrrev_i32_e32 v15, 31, v14
	v_add_co_u32 v10, s10, v10, v14
	s_delay_alu instid0(VALU_DEP_1)
	v_add_co_ci_u32_e64 v11, s10, v11, v15, s10
	s_and_not1_b32 exec_lo, exec_lo, s11
	s_cbranch_execz .LBB131_10
.LBB131_63:                             ;   Parent Loop BB131_11 Depth=1
                                        ; =>  This Inner Loop Header: Depth=2
	ds_load_u8 v25, v17 offset:16896
	ds_load_b64 v[14:15], v16
	s_waitcnt lgkmcnt(0)
	s_barrier
	buffer_gl0_inv
	v_cmp_ne_u16_e32 vcc_lo, 0, v25
	s_bcnt1_i32_b32 s10, vcc_lo
	v_and_b32_e32 v26, vcc_lo, v9
	v_mov_b32_e32 v18, s10
	s_mov_b32 s10, exec_lo
	ds_store_b32 v43, v18
	s_waitcnt lgkmcnt(0)
	s_barrier
	buffer_gl0_inv
	ds_load_b128 v[18:21], v5
	ds_load_b96 v[22:24], v5 offset:16
	s_waitcnt lgkmcnt(1)
	v_cndmask_b32_e64 v18, v18, 0, s3
	v_cndmask_b32_e64 v19, v19, 0, s4
	;; [unrolled: 1-line block ×4, first 2 shown]
	s_waitcnt lgkmcnt(0)
	v_cndmask_b32_e64 v22, v22, 0, s7
	v_bcnt_u32_b32 v18, v26, v18
	s_delay_alu instid0(VALU_DEP_1) | instskip(SKIP_2) | instid1(VALU_DEP_3)
	v_add3_u32 v18, v18, v19, v20
	v_cndmask_b32_e64 v19, v23, 0, s8
	v_cndmask_b32_e64 v20, v24, 0, s9
	v_add3_u32 v18, v18, v21, v22
	v_and_b32_e32 v21, 1, v25
	s_delay_alu instid0(VALU_DEP_2) | instskip(NEXT) | instid1(VALU_DEP_2)
	v_add3_u32 v18, v18, v19, v20
	v_cmpx_eq_u32_e32 1, v21
	s_cbranch_execz .LBB131_65
; %bb.64:                               ;   in Loop: Header=BB131_63 Depth=2
	s_delay_alu instid0(VALU_DEP_2) | instskip(SKIP_1) | instid1(VALU_DEP_2)
	v_ashrrev_i32_e32 v20, 31, v18
	v_add_co_u32 v19, vcc_lo, v10, v18
	v_add_co_ci_u32_e32 v20, vcc_lo, v11, v20, vcc_lo
	s_delay_alu instid0(VALU_DEP_1) | instskip(NEXT) | instid1(VALU_DEP_1)
	v_lshlrev_b64 v[19:20], 3, v[19:20]
	v_add_co_u32 v21, vcc_lo, s36, v19
	s_delay_alu instid0(VALU_DEP_2)
	v_add_co_ci_u32_e32 v22, vcc_lo, s30, v20, vcc_lo
	v_add_co_u32 v19, vcc_lo, s37, v19
	v_add_co_ci_u32_e32 v20, vcc_lo, s38, v20, vcc_lo
	global_store_b64 v[21:22], v[12:13], off
	global_store_b64 v[19:20], v[14:15], off
.LBB131_65:                             ;   in Loop: Header=BB131_63 Depth=2
	s_or_b32 exec_lo, exec_lo, s10
	s_and_saveexec_b32 s10, s2
	s_cbranch_execz .LBB131_62
; %bb.66:                               ;   in Loop: Header=BB131_63 Depth=2
	ds_store_b32 v5, v18 offset:28
	s_branch .LBB131_62
.LBB131_67:
	s_endpgm
	.section	.rodata,"a",@progbits
	.p2align	6, 0x0
	.amdhsa_kernel _ZN9rocsparseL36csrgemm_fill_block_per_row_multipassILj512ELj16ELj2048ELj64ElldEEvT4_PKS1_S3_NS_24const_host_device_scalarIT5_EEPKT3_S3_PKS5_S9_S3_SB_S6_S9_S3_SB_S9_PS1_PS5_PS7_21rocsparse_index_base_SF_SF_SF_bbb
		.amdhsa_group_segment_fixed_size 18440
		.amdhsa_private_segment_fixed_size 0
		.amdhsa_kernarg_size 164
		.amdhsa_user_sgpr_count 15
		.amdhsa_user_sgpr_dispatch_ptr 0
		.amdhsa_user_sgpr_queue_ptr 0
		.amdhsa_user_sgpr_kernarg_segment_ptr 1
		.amdhsa_user_sgpr_dispatch_id 0
		.amdhsa_user_sgpr_private_segment_size 0
		.amdhsa_wavefront_size32 1
		.amdhsa_uses_dynamic_stack 0
		.amdhsa_enable_private_segment 0
		.amdhsa_system_sgpr_workgroup_id_x 1
		.amdhsa_system_sgpr_workgroup_id_y 0
		.amdhsa_system_sgpr_workgroup_id_z 0
		.amdhsa_system_sgpr_workgroup_info 0
		.amdhsa_system_vgpr_workitem_id 0
		.amdhsa_next_free_vgpr 51
		.amdhsa_next_free_sgpr 56
		.amdhsa_reserve_vcc 1
		.amdhsa_float_round_mode_32 0
		.amdhsa_float_round_mode_16_64 0
		.amdhsa_float_denorm_mode_32 3
		.amdhsa_float_denorm_mode_16_64 3
		.amdhsa_dx10_clamp 1
		.amdhsa_ieee_mode 1
		.amdhsa_fp16_overflow 0
		.amdhsa_workgroup_processor_mode 1
		.amdhsa_memory_ordered 1
		.amdhsa_forward_progress 0
		.amdhsa_shared_vgpr_count 0
		.amdhsa_exception_fp_ieee_invalid_op 0
		.amdhsa_exception_fp_denorm_src 0
		.amdhsa_exception_fp_ieee_div_zero 0
		.amdhsa_exception_fp_ieee_overflow 0
		.amdhsa_exception_fp_ieee_underflow 0
		.amdhsa_exception_fp_ieee_inexact 0
		.amdhsa_exception_int_div_zero 0
	.end_amdhsa_kernel
	.section	.text._ZN9rocsparseL36csrgemm_fill_block_per_row_multipassILj512ELj16ELj2048ELj64ElldEEvT4_PKS1_S3_NS_24const_host_device_scalarIT5_EEPKT3_S3_PKS5_S9_S3_SB_S6_S9_S3_SB_S9_PS1_PS5_PS7_21rocsparse_index_base_SF_SF_SF_bbb,"axG",@progbits,_ZN9rocsparseL36csrgemm_fill_block_per_row_multipassILj512ELj16ELj2048ELj64ElldEEvT4_PKS1_S3_NS_24const_host_device_scalarIT5_EEPKT3_S3_PKS5_S9_S3_SB_S6_S9_S3_SB_S9_PS1_PS5_PS7_21rocsparse_index_base_SF_SF_SF_bbb,comdat
.Lfunc_end131:
	.size	_ZN9rocsparseL36csrgemm_fill_block_per_row_multipassILj512ELj16ELj2048ELj64ElldEEvT4_PKS1_S3_NS_24const_host_device_scalarIT5_EEPKT3_S3_PKS5_S9_S3_SB_S6_S9_S3_SB_S9_PS1_PS5_PS7_21rocsparse_index_base_SF_SF_SF_bbb, .Lfunc_end131-_ZN9rocsparseL36csrgemm_fill_block_per_row_multipassILj512ELj16ELj2048ELj64ElldEEvT4_PKS1_S3_NS_24const_host_device_scalarIT5_EEPKT3_S3_PKS5_S9_S3_SB_S6_S9_S3_SB_S9_PS1_PS5_PS7_21rocsparse_index_base_SF_SF_SF_bbb
                                        ; -- End function
	.section	.AMDGPU.csdata,"",@progbits
; Kernel info:
; codeLenInByte = 3188
; NumSgprs: 58
; NumVgprs: 51
; ScratchSize: 0
; MemoryBound: 0
; FloatMode: 240
; IeeeMode: 1
; LDSByteSize: 18440 bytes/workgroup (compile time only)
; SGPRBlocks: 7
; VGPRBlocks: 6
; NumSGPRsForWavesPerEU: 58
; NumVGPRsForWavesPerEU: 51
; Occupancy: 16
; WaveLimiterHint : 1
; COMPUTE_PGM_RSRC2:SCRATCH_EN: 0
; COMPUTE_PGM_RSRC2:USER_SGPR: 15
; COMPUTE_PGM_RSRC2:TRAP_HANDLER: 0
; COMPUTE_PGM_RSRC2:TGID_X_EN: 1
; COMPUTE_PGM_RSRC2:TGID_Y_EN: 0
; COMPUTE_PGM_RSRC2:TGID_Z_EN: 0
; COMPUTE_PGM_RSRC2:TIDIG_COMP_CNT: 0
	.section	.text._ZN9rocsparseL26csrgemm_group_reduce_part2ILj256ELj11E21rocsparse_complex_numIfEllEEvT3_PKT2_PS3_Pij,"axG",@progbits,_ZN9rocsparseL26csrgemm_group_reduce_part2ILj256ELj11E21rocsparse_complex_numIfEllEEvT3_PKT2_PS3_Pij,comdat
	.globl	_ZN9rocsparseL26csrgemm_group_reduce_part2ILj256ELj11E21rocsparse_complex_numIfEllEEvT3_PKT2_PS3_Pij ; -- Begin function _ZN9rocsparseL26csrgemm_group_reduce_part2ILj256ELj11E21rocsparse_complex_numIfEllEEvT3_PKT2_PS3_Pij
	.p2align	8
	.type	_ZN9rocsparseL26csrgemm_group_reduce_part2ILj256ELj11E21rocsparse_complex_numIfEllEEvT3_PKT2_PS3_Pij,@function
_ZN9rocsparseL26csrgemm_group_reduce_part2ILj256ELj11E21rocsparse_complex_numIfEllEEvT3_PKT2_PS3_Pij: ; @_ZN9rocsparseL26csrgemm_group_reduce_part2ILj256ELj11E21rocsparse_complex_numIfEllEEvT3_PKT2_PS3_Pij
; %bb.0:
	s_clause 0x1
	s_load_b64 s[4:5], s[0:1], 0x0
	s_load_b64 s[2:3], s[0:1], 0x10
	v_mul_u32_u24_e32 v1, 11, v0
	v_mov_b32_e32 v2, 0
	s_mov_b32 s7, 0
	v_lshl_or_b32 v7, s15, 8, v0
	s_mov_b32 s6, s7
	v_lshlrev_b32_e32 v11, 3, v1
	v_mov_b32_e32 v1, v2
	s_mov_b32 s8, s7
	s_mov_b32 s9, s7
	v_mov_b32_e32 v3, s6
	v_dual_mov_b32 v5, s8 :: v_dual_mov_b32 v6, s9
	v_mov_b32_e32 v4, s7
	ds_store_b64 v11, v[1:2] offset:80
	v_mov_b32_e32 v1, v7
	s_mov_b32 s12, exec_lo
	ds_store_2addr_b64 v11, v[3:4], v[5:6] offset0:8 offset1:9
	ds_store_2addr_b64 v11, v[3:4], v[5:6] offset1:1
	ds_store_2addr_b64 v11, v[3:4], v[5:6] offset0:2 offset1:3
	ds_store_2addr_b64 v11, v[3:4], v[5:6] offset0:4 offset1:5
	;; [unrolled: 1-line block ×3, first 2 shown]
	s_waitcnt lgkmcnt(0)
	buffer_gl0_inv
	v_cmpx_gt_i64_e64 s[4:5], v[1:2]
	s_cbranch_execz .LBB132_43
; %bb.1:
	s_clause 0x3
	s_load_b32 s6, s[0:1], 0x20
	s_load_b64 s[8:9], s[0:1], 0x18
	s_load_b64 s[10:11], s[0:1], 0x8
	s_load_b32 s0, s[0:1], 0x28
	v_lshlrev_b64 v[3:4], 2, v[1:2]
	v_lshlrev_b64 v[5:6], 3, v[1:2]
	v_dual_mov_b32 v12, 6 :: v_dual_mov_b32 v13, 7
	v_dual_mov_b32 v14, 8 :: v_dual_mov_b32 v15, 9
	v_dual_mov_b32 v16, 10 :: v_dual_mov_b32 v17, 5
	v_dual_mov_b32 v18, 4 :: v_dual_mov_b32 v19, 3
	v_dual_mov_b32 v20, 2 :: v_dual_mov_b32 v21, 1
	v_dual_mov_b32 v8, v2 :: v_dual_mov_b32 v7, v1
	s_waitcnt lgkmcnt(0)
	s_cmp_lt_u32 s6, 0x10108
	v_add_co_u32 v3, vcc_lo, s8, v3
	s_cselect_b32 s1, -1, 0
	s_cmp_lt_u32 s6, 0x20108
	v_add_co_ci_u32_e32 v4, vcc_lo, s9, v4, vcc_lo
	s_cselect_b32 s13, -1, 0
	s_cmp_lt_u32 s6, 0x40108
	v_add_co_u32 v5, vcc_lo, s10, v5
	s_cselect_b32 s14, -1, 0
	s_cmp_lt_u32 s6, 0x80108
	v_add_co_ci_u32_e32 v6, vcc_lo, s11, v6, vcc_lo
	s_cselect_b32 s16, -1, 0
	s_lshl_b32 s6, s0, 8
	s_xor_b32 s1, s1, -1
	s_lshl_b64 s[8:9], s[6:7], 2
	s_lshl_b64 s[10:11], s[6:7], 3
	s_xor_b32 s13, s13, -1
	s_xor_b32 s14, s14, -1
	;; [unrolled: 1-line block ×3, first 2 shown]
	s_branch .LBB132_3
.LBB132_2:                              ;   in Loop: Header=BB132_3 Depth=1
	s_or_b32 exec_lo, exec_lo, s0
	v_add_co_u32 v7, vcc_lo, v7, s6
	v_add_co_ci_u32_e32 v8, vcc_lo, 0, v8, vcc_lo
	v_add_co_u32 v3, vcc_lo, v3, s8
	v_add_co_ci_u32_e32 v4, vcc_lo, s9, v4, vcc_lo
	s_delay_alu instid0(VALU_DEP_3) | instskip(SKIP_1) | instid1(VALU_DEP_1)
	v_cmp_le_i64_e32 vcc_lo, s[4:5], v[7:8]
	v_add_co_u32 v5, s0, v5, s10
	v_add_co_ci_u32_e64 v6, s0, s11, v6, s0
	s_or_b32 s7, vcc_lo, s7
	s_delay_alu instid0(SALU_CYCLE_1)
	s_and_not1_b32 exec_lo, exec_lo, s7
	s_cbranch_execz .LBB132_43
.LBB132_3:                              ; =>This Inner Loop Header: Depth=1
	global_load_b128 v[22:25], v[5:6], off
	s_mov_b32 s0, exec_lo
	s_waitcnt vmcnt(0)
	v_sub_co_u32 v9, vcc_lo, v24, v22
	v_sub_co_ci_u32_e32 v10, vcc_lo, v25, v23, vcc_lo
	s_delay_alu instid0(VALU_DEP_1)
	v_cmpx_lt_i64_e32 16, v[9:10]
	s_xor_b32 s0, exec_lo, s0
	s_cbranch_execz .LBB132_41
; %bb.4:                                ;   in Loop: Header=BB132_3 Depth=1
	s_mov_b32 s17, exec_lo
	v_cmpx_lt_u64_e32 32, v[9:10]
	s_xor_b32 s17, exec_lo, s17
	s_cbranch_execz .LBB132_38
; %bb.5:                                ;   in Loop: Header=BB132_3 Depth=1
	s_mov_b32 s18, exec_lo
	v_cmpx_lt_u64_e32 0x100, v[9:10]
	;; [unrolled: 5-line block ×5, first 2 shown]
	s_xor_b32 s21, exec_lo, s21
	s_cbranch_execz .LBB132_26
; %bb.9:                                ;   in Loop: Header=BB132_3 Depth=1
	v_cmp_gt_u64_e32 vcc_lo, 0x1001, v[9:10]
	s_and_b32 s22, s1, vcc_lo
	s_delay_alu instid0(SALU_CYCLE_1) | instskip(NEXT) | instid1(SALU_CYCLE_1)
	s_and_saveexec_b32 s23, s22
	s_xor_b32 s22, exec_lo, s23
	s_cbranch_execz .LBB132_11
; %bb.10:                               ;   in Loop: Header=BB132_3 Depth=1
	ds_load_b64 v[9:10], v11 offset:48
	global_store_b32 v[3:4], v12, off
	s_waitcnt lgkmcnt(0)
	v_add_co_u32 v9, vcc_lo, v9, 1
	v_add_co_ci_u32_e32 v10, vcc_lo, 0, v10, vcc_lo
	ds_store_b64 v11, v[9:10] offset:48
                                        ; implicit-def: $vgpr9_vgpr10
.LBB132_11:                             ;   in Loop: Header=BB132_3 Depth=1
	s_and_not1_saveexec_b32 s22, s22
	s_cbranch_execz .LBB132_25
; %bb.12:                               ;   in Loop: Header=BB132_3 Depth=1
	v_cmp_gt_u64_e32 vcc_lo, 0x2001, v[9:10]
	s_and_b32 s23, s13, vcc_lo
	s_delay_alu instid0(SALU_CYCLE_1) | instskip(NEXT) | instid1(SALU_CYCLE_1)
	s_and_saveexec_b32 s24, s23
	s_xor_b32 s23, exec_lo, s24
	s_cbranch_execz .LBB132_14
; %bb.13:                               ;   in Loop: Header=BB132_3 Depth=1
	ds_load_b64 v[9:10], v11 offset:56
	global_store_b32 v[3:4], v13, off
	s_waitcnt lgkmcnt(0)
	v_add_co_u32 v9, vcc_lo, v9, 1
	v_add_co_ci_u32_e32 v10, vcc_lo, 0, v10, vcc_lo
	ds_store_b64 v11, v[9:10] offset:56
                                        ; implicit-def: $vgpr9_vgpr10
.LBB132_14:                             ;   in Loop: Header=BB132_3 Depth=1
	s_and_not1_saveexec_b32 s23, s23
	s_cbranch_execz .LBB132_24
; %bb.15:                               ;   in Loop: Header=BB132_3 Depth=1
	v_cmp_gt_u64_e32 vcc_lo, 0x4001, v[9:10]
	s_and_b32 s24, s14, vcc_lo
	s_delay_alu instid0(SALU_CYCLE_1) | instskip(NEXT) | instid1(SALU_CYCLE_1)
	s_and_saveexec_b32 s25, s24
	s_xor_b32 s24, exec_lo, s25
	s_cbranch_execz .LBB132_17
; %bb.16:                               ;   in Loop: Header=BB132_3 Depth=1
	ds_load_b64 v[9:10], v11 offset:64
	global_store_b32 v[3:4], v14, off
	s_waitcnt lgkmcnt(0)
	v_add_co_u32 v9, vcc_lo, v9, 1
	v_add_co_ci_u32_e32 v10, vcc_lo, 0, v10, vcc_lo
	ds_store_b64 v11, v[9:10] offset:64
                                        ; implicit-def: $vgpr9_vgpr10
.LBB132_17:                             ;   in Loop: Header=BB132_3 Depth=1
	s_and_not1_saveexec_b32 s24, s24
	s_cbranch_execz .LBB132_23
; %bb.18:                               ;   in Loop: Header=BB132_3 Depth=1
	v_cmp_gt_u64_e32 vcc_lo, 0x8001, v[9:10]
	s_and_b32 s25, s16, vcc_lo
	s_delay_alu instid0(SALU_CYCLE_1) | instskip(NEXT) | instid1(SALU_CYCLE_1)
	s_and_saveexec_b32 s26, s25
	s_xor_b32 s25, exec_lo, s26
	s_cbranch_execz .LBB132_20
; %bb.19:                               ;   in Loop: Header=BB132_3 Depth=1
	ds_load_b64 v[9:10], v11 offset:72
	global_store_b32 v[3:4], v15, off
	s_waitcnt lgkmcnt(0)
	v_add_co_u32 v9, vcc_lo, v9, 1
	v_add_co_ci_u32_e32 v10, vcc_lo, 0, v10, vcc_lo
	ds_store_b64 v11, v[9:10] offset:72
.LBB132_20:                             ;   in Loop: Header=BB132_3 Depth=1
	s_and_not1_saveexec_b32 s25, s25
	s_cbranch_execz .LBB132_22
; %bb.21:                               ;   in Loop: Header=BB132_3 Depth=1
	ds_load_b64 v[9:10], v11 offset:80
	global_store_b32 v[3:4], v16, off
	s_waitcnt lgkmcnt(0)
	v_add_co_u32 v9, vcc_lo, v9, 1
	v_add_co_ci_u32_e32 v10, vcc_lo, 0, v10, vcc_lo
	ds_store_b64 v11, v[9:10] offset:80
.LBB132_22:                             ;   in Loop: Header=BB132_3 Depth=1
	s_or_b32 exec_lo, exec_lo, s25
.LBB132_23:                             ;   in Loop: Header=BB132_3 Depth=1
	s_delay_alu instid0(SALU_CYCLE_1)
	s_or_b32 exec_lo, exec_lo, s24
.LBB132_24:                             ;   in Loop: Header=BB132_3 Depth=1
	s_delay_alu instid0(SALU_CYCLE_1)
	s_or_b32 exec_lo, exec_lo, s23
.LBB132_25:                             ;   in Loop: Header=BB132_3 Depth=1
	s_delay_alu instid0(SALU_CYCLE_1)
	s_or_b32 exec_lo, exec_lo, s22
.LBB132_26:                             ;   in Loop: Header=BB132_3 Depth=1
	s_and_not1_saveexec_b32 s21, s21
	s_cbranch_execz .LBB132_28
; %bb.27:                               ;   in Loop: Header=BB132_3 Depth=1
	ds_load_b64 v[9:10], v11 offset:40
	global_store_b32 v[3:4], v17, off
	s_waitcnt lgkmcnt(0)
	v_add_co_u32 v9, vcc_lo, v9, 1
	v_add_co_ci_u32_e32 v10, vcc_lo, 0, v10, vcc_lo
	ds_store_b64 v11, v[9:10] offset:40
.LBB132_28:                             ;   in Loop: Header=BB132_3 Depth=1
	s_or_b32 exec_lo, exec_lo, s21
.LBB132_29:                             ;   in Loop: Header=BB132_3 Depth=1
	s_and_not1_saveexec_b32 s20, s20
	s_cbranch_execz .LBB132_31
; %bb.30:                               ;   in Loop: Header=BB132_3 Depth=1
	ds_load_b64 v[9:10], v11 offset:32
	global_store_b32 v[3:4], v18, off
	s_waitcnt lgkmcnt(0)
	v_add_co_u32 v9, vcc_lo, v9, 1
	v_add_co_ci_u32_e32 v10, vcc_lo, 0, v10, vcc_lo
	ds_store_b64 v11, v[9:10] offset:32
.LBB132_31:                             ;   in Loop: Header=BB132_3 Depth=1
	s_or_b32 exec_lo, exec_lo, s20
.LBB132_32:                             ;   in Loop: Header=BB132_3 Depth=1
	s_and_not1_saveexec_b32 s19, s19
	s_cbranch_execz .LBB132_34
; %bb.33:                               ;   in Loop: Header=BB132_3 Depth=1
	ds_load_b64 v[9:10], v11 offset:24
	global_store_b32 v[3:4], v19, off
	s_waitcnt lgkmcnt(0)
	v_add_co_u32 v9, vcc_lo, v9, 1
	v_add_co_ci_u32_e32 v10, vcc_lo, 0, v10, vcc_lo
	ds_store_b64 v11, v[9:10] offset:24
.LBB132_34:                             ;   in Loop: Header=BB132_3 Depth=1
	s_or_b32 exec_lo, exec_lo, s19
.LBB132_35:                             ;   in Loop: Header=BB132_3 Depth=1
	s_and_not1_saveexec_b32 s18, s18
	s_cbranch_execz .LBB132_37
; %bb.36:                               ;   in Loop: Header=BB132_3 Depth=1
	ds_load_b64 v[9:10], v11 offset:16
	global_store_b32 v[3:4], v20, off
	s_waitcnt lgkmcnt(0)
	v_add_co_u32 v9, vcc_lo, v9, 1
	v_add_co_ci_u32_e32 v10, vcc_lo, 0, v10, vcc_lo
	ds_store_b64 v11, v[9:10] offset:16
.LBB132_37:                             ;   in Loop: Header=BB132_3 Depth=1
	s_or_b32 exec_lo, exec_lo, s18
.LBB132_38:                             ;   in Loop: Header=BB132_3 Depth=1
	s_and_not1_saveexec_b32 s17, s17
	s_cbranch_execz .LBB132_40
; %bb.39:                               ;   in Loop: Header=BB132_3 Depth=1
	ds_load_b64 v[9:10], v11 offset:8
	global_store_b32 v[3:4], v21, off
	s_waitcnt lgkmcnt(0)
	v_add_co_u32 v9, vcc_lo, v9, 1
	v_add_co_ci_u32_e32 v10, vcc_lo, 0, v10, vcc_lo
	ds_store_b64 v11, v[9:10] offset:8
.LBB132_40:                             ;   in Loop: Header=BB132_3 Depth=1
	s_or_b32 exec_lo, exec_lo, s17
.LBB132_41:                             ;   in Loop: Header=BB132_3 Depth=1
	s_and_not1_saveexec_b32 s0, s0
	s_cbranch_execz .LBB132_2
; %bb.42:                               ;   in Loop: Header=BB132_3 Depth=1
	ds_load_b64 v[9:10], v11
	global_store_b32 v[3:4], v2, off
	s_waitcnt lgkmcnt(0)
	v_add_co_u32 v9, vcc_lo, v9, 1
	v_add_co_ci_u32_e32 v10, vcc_lo, 0, v10, vcc_lo
	ds_store_b64 v11, v[9:10]
	s_branch .LBB132_2
.LBB132_43:
	s_or_b32 exec_lo, exec_lo, s12
	s_delay_alu instid0(SALU_CYCLE_1)
	s_mov_b32 s0, exec_lo
	s_waitcnt lgkmcnt(0)
	s_waitcnt_vscnt null, 0x0
	s_barrier
	buffer_gl0_inv
	s_barrier
	buffer_gl0_inv
	;; [unrolled: 2-line block ×3, first 2 shown]
	v_cmpx_gt_u32_e32 0x80, v0
	s_cbranch_execz .LBB132_45
; %bb.44:
	v_add_nc_u32_e32 v1, 0x2c00, v11
	v_add_nc_u32_e32 v9, 0x2c10, v11
	v_add_nc_u32_e32 v10, 0x2c30, v11
	v_add_nc_u32_e32 v42, 0x2c40, v11
	ds_load_2addr_b64 v[1:4], v1 offset1:1
	ds_load_2addr_b64 v[5:8], v11 offset1:1
	ds_load_2addr_b64 v[12:15], v11 offset0:2 offset1:3
	ds_load_2addr_b64 v[16:19], v9 offset1:1
	v_add_nc_u32_e32 v9, 0x2c20, v11
	ds_load_2addr_b64 v[20:23], v11 offset0:4 offset1:5
	ds_load_2addr_b64 v[24:27], v11 offset0:6 offset1:7
	ds_load_2addr_b64 v[28:31], v9 offset1:1
	ds_load_2addr_b64 v[32:35], v10 offset1:1
	ds_load_2addr_b64 v[36:39], v11 offset0:8 offset1:9
	s_waitcnt lgkmcnt(7)
	v_add_co_u32 v9, vcc_lo, v5, v1
	v_add_co_ci_u32_e32 v10, vcc_lo, v6, v2, vcc_lo
	v_add_co_u32 v40, vcc_lo, v7, v3
	v_add_co_ci_u32_e32 v41, vcc_lo, v8, v4, vcc_lo
	ds_load_2addr_b64 v[1:4], v42 offset1:1
	v_add_nc_u32_e32 v5, 0x50, v11
	s_waitcnt lgkmcnt(6)
	v_add_co_u32 v12, vcc_lo, v12, v16
	v_add_co_ci_u32_e32 v13, vcc_lo, v13, v17, vcc_lo
	v_add_co_u32 v14, vcc_lo, v14, v18
	ds_load_2addr_stride64_b64 v[5:8], v5 offset1:22
	v_add_co_ci_u32_e32 v15, vcc_lo, v15, v19, vcc_lo
	s_waitcnt lgkmcnt(4)
	v_add_co_u32 v16, vcc_lo, v20, v28
	v_add_co_ci_u32_e32 v17, vcc_lo, v21, v29, vcc_lo
	v_add_co_u32 v18, vcc_lo, v22, v30
	v_add_co_ci_u32_e32 v19, vcc_lo, v23, v31, vcc_lo
	s_waitcnt lgkmcnt(3)
	v_add_co_u32 v20, vcc_lo, v24, v32
	v_add_co_ci_u32_e32 v21, vcc_lo, v25, v33, vcc_lo
	v_add_co_u32 v22, vcc_lo, v26, v34
	;; [unrolled: 5-line block ×3, first 2 shown]
	v_add_co_ci_u32_e32 v4, vcc_lo, v39, v4, vcc_lo
	s_waitcnt lgkmcnt(0)
	v_add_co_u32 v5, vcc_lo, v5, v7
	v_add_co_ci_u32_e32 v6, vcc_lo, v6, v8, vcc_lo
	ds_store_2addr_b64 v11, v[9:10], v[40:41] offset1:1
	ds_store_2addr_b64 v11, v[12:13], v[14:15] offset0:2 offset1:3
	ds_store_2addr_b64 v11, v[16:17], v[18:19] offset0:4 offset1:5
	;; [unrolled: 1-line block ×4, first 2 shown]
	ds_store_b64 v11, v[5:6] offset:80
.LBB132_45:
	s_or_b32 exec_lo, exec_lo, s0
	s_delay_alu instid0(SALU_CYCLE_1)
	s_mov_b32 s0, exec_lo
	s_waitcnt lgkmcnt(0)
	s_barrier
	buffer_gl0_inv
	v_cmpx_gt_u32_e32 64, v0
	s_cbranch_execz .LBB132_47
; %bb.46:
	v_add_nc_u32_e32 v1, 0x1600, v11
	v_add_nc_u32_e32 v9, 0x1610, v11
	;; [unrolled: 1-line block ×4, first 2 shown]
	ds_load_2addr_b64 v[1:4], v1 offset1:1
	ds_load_2addr_b64 v[5:8], v11 offset1:1
	ds_load_2addr_b64 v[12:15], v11 offset0:2 offset1:3
	ds_load_2addr_b64 v[16:19], v9 offset1:1
	v_add_nc_u32_e32 v9, 0x1620, v11
	ds_load_2addr_b64 v[20:23], v11 offset0:4 offset1:5
	ds_load_2addr_b64 v[24:27], v11 offset0:6 offset1:7
	ds_load_2addr_b64 v[28:31], v9 offset1:1
	ds_load_2addr_b64 v[32:35], v10 offset1:1
	ds_load_2addr_b64 v[36:39], v11 offset0:8 offset1:9
	s_waitcnt lgkmcnt(7)
	v_add_co_u32 v9, vcc_lo, v5, v1
	v_add_co_ci_u32_e32 v10, vcc_lo, v6, v2, vcc_lo
	v_add_co_u32 v40, vcc_lo, v7, v3
	v_add_co_ci_u32_e32 v41, vcc_lo, v8, v4, vcc_lo
	ds_load_2addr_b64 v[1:4], v42 offset1:1
	v_add_nc_u32_e32 v5, 0x50, v11
	s_waitcnt lgkmcnt(6)
	v_add_co_u32 v12, vcc_lo, v12, v16
	v_add_co_ci_u32_e32 v13, vcc_lo, v13, v17, vcc_lo
	v_add_co_u32 v14, vcc_lo, v14, v18
	ds_load_2addr_stride64_b64 v[5:8], v5 offset1:11
	v_add_co_ci_u32_e32 v15, vcc_lo, v15, v19, vcc_lo
	s_waitcnt lgkmcnt(4)
	v_add_co_u32 v16, vcc_lo, v20, v28
	v_add_co_ci_u32_e32 v17, vcc_lo, v21, v29, vcc_lo
	v_add_co_u32 v18, vcc_lo, v22, v30
	v_add_co_ci_u32_e32 v19, vcc_lo, v23, v31, vcc_lo
	s_waitcnt lgkmcnt(3)
	v_add_co_u32 v20, vcc_lo, v24, v32
	v_add_co_ci_u32_e32 v21, vcc_lo, v25, v33, vcc_lo
	v_add_co_u32 v22, vcc_lo, v26, v34
	;; [unrolled: 5-line block ×3, first 2 shown]
	v_add_co_ci_u32_e32 v4, vcc_lo, v39, v4, vcc_lo
	s_waitcnt lgkmcnt(0)
	v_add_co_u32 v5, vcc_lo, v5, v7
	v_add_co_ci_u32_e32 v6, vcc_lo, v6, v8, vcc_lo
	ds_store_2addr_b64 v11, v[9:10], v[40:41] offset1:1
	ds_store_2addr_b64 v11, v[12:13], v[14:15] offset0:2 offset1:3
	ds_store_2addr_b64 v11, v[16:17], v[18:19] offset0:4 offset1:5
	ds_store_2addr_b64 v11, v[20:21], v[22:23] offset0:6 offset1:7
	ds_store_2addr_b64 v11, v[1:2], v[3:4] offset0:8 offset1:9
	ds_store_b64 v11, v[5:6] offset:80
.LBB132_47:
	s_or_b32 exec_lo, exec_lo, s0
	s_delay_alu instid0(SALU_CYCLE_1)
	s_mov_b32 s0, exec_lo
	s_waitcnt lgkmcnt(0)
	s_barrier
	buffer_gl0_inv
	v_cmpx_gt_u32_e32 32, v0
	s_cbranch_execz .LBB132_49
; %bb.48:
	v_add_nc_u32_e32 v1, 0xb00, v11
	v_add_nc_u32_e32 v9, 0xb10, v11
	;; [unrolled: 1-line block ×4, first 2 shown]
	ds_load_2addr_b64 v[1:4], v1 offset1:1
	ds_load_2addr_b64 v[5:8], v11 offset1:1
	ds_load_2addr_b64 v[12:15], v11 offset0:2 offset1:3
	ds_load_2addr_b64 v[16:19], v9 offset1:1
	v_add_nc_u32_e32 v9, 0xb20, v11
	ds_load_2addr_b64 v[20:23], v11 offset0:4 offset1:5
	ds_load_2addr_b64 v[24:27], v11 offset0:6 offset1:7
	ds_load_2addr_b64 v[28:31], v9 offset1:1
	ds_load_2addr_b64 v[32:35], v10 offset1:1
	ds_load_b64 v[9:10], v11 offset:2896
	s_waitcnt lgkmcnt(7)
	v_add_co_u32 v36, vcc_lo, v5, v1
	v_add_co_ci_u32_e32 v37, vcc_lo, v6, v2, vcc_lo
	v_add_co_u32 v38, vcc_lo, v7, v3
	v_add_co_ci_u32_e32 v39, vcc_lo, v8, v4, vcc_lo
	ds_load_2addr_b64 v[1:4], v40 offset1:1
	ds_load_2addr_b64 v[5:8], v11 offset0:8 offset1:9
	s_waitcnt lgkmcnt(7)
	v_add_co_u32 v12, vcc_lo, v12, v16
	v_add_co_ci_u32_e32 v13, vcc_lo, v13, v17, vcc_lo
	v_add_co_u32 v14, vcc_lo, v14, v18
	v_add_co_ci_u32_e32 v15, vcc_lo, v15, v19, vcc_lo
	ds_load_b64 v[18:19], v11 offset:80
	s_waitcnt lgkmcnt(5)
	v_add_co_u32 v16, vcc_lo, v20, v28
	v_add_co_ci_u32_e32 v17, vcc_lo, v21, v29, vcc_lo
	v_add_co_u32 v20, vcc_lo, v22, v30
	v_add_co_ci_u32_e32 v21, vcc_lo, v23, v31, vcc_lo
	s_waitcnt lgkmcnt(4)
	v_add_co_u32 v22, vcc_lo, v24, v32
	v_add_co_ci_u32_e32 v23, vcc_lo, v25, v33, vcc_lo
	v_add_co_u32 v24, vcc_lo, v26, v34
	v_add_co_ci_u32_e32 v25, vcc_lo, v27, v35, vcc_lo
	;; [unrolled: 5-line block ×3, first 2 shown]
	s_waitcnt lgkmcnt(0)
	v_add_co_u32 v5, vcc_lo, v18, v9
	v_add_co_ci_u32_e32 v6, vcc_lo, v19, v10, vcc_lo
	ds_store_2addr_b64 v11, v[36:37], v[38:39] offset1:1
	ds_store_2addr_b64 v11, v[12:13], v[14:15] offset0:2 offset1:3
	ds_store_2addr_b64 v11, v[16:17], v[20:21] offset0:4 offset1:5
	;; [unrolled: 1-line block ×4, first 2 shown]
	ds_store_b64 v11, v[5:6] offset:80
.LBB132_49:
	s_or_b32 exec_lo, exec_lo, s0
	s_delay_alu instid0(SALU_CYCLE_1)
	s_mov_b32 s0, exec_lo
	s_waitcnt lgkmcnt(0)
	s_barrier
	buffer_gl0_inv
	v_cmpx_gt_u32_e32 16, v0
	s_cbranch_execz .LBB132_51
; %bb.50:
	ds_load_2addr_b64 v[1:4], v11 offset0:176 offset1:177
	ds_load_2addr_b64 v[5:8], v11 offset1:1
	ds_load_2addr_b64 v[12:15], v11 offset0:2 offset1:3
	ds_load_2addr_b64 v[16:19], v11 offset0:178 offset1:179
	ds_load_2addr_b64 v[20:23], v11 offset0:180 offset1:181
	ds_load_2addr_b64 v[24:27], v11 offset0:182 offset1:183
	ds_load_2addr_b64 v[28:31], v11 offset0:4 offset1:5
	ds_load_2addr_b64 v[32:35], v11 offset0:6 offset1:7
	ds_load_2addr_b64 v[36:39], v11 offset0:8 offset1:9
	s_waitcnt lgkmcnt(7)
	v_add_co_u32 v9, vcc_lo, v5, v1
	v_add_co_ci_u32_e32 v10, vcc_lo, v6, v2, vcc_lo
	v_add_co_u32 v40, vcc_lo, v7, v3
	v_add_co_ci_u32_e32 v41, vcc_lo, v8, v4, vcc_lo
	ds_load_2addr_b64 v[1:4], v11 offset0:184 offset1:185
	s_waitcnt lgkmcnt(6)
	v_add_co_u32 v12, vcc_lo, v12, v16
	v_add_co_ci_u32_e32 v13, vcc_lo, v13, v17, vcc_lo
	v_add_co_u32 v14, vcc_lo, v14, v18
	ds_load_2addr_b64 v[5:8], v11 offset0:10 offset1:186
	v_add_co_ci_u32_e32 v15, vcc_lo, v15, v19, vcc_lo
	s_waitcnt lgkmcnt(4)
	v_add_co_u32 v16, vcc_lo, v28, v20
	v_add_co_ci_u32_e32 v17, vcc_lo, v29, v21, vcc_lo
	v_add_co_u32 v18, vcc_lo, v30, v22
	v_add_co_ci_u32_e32 v19, vcc_lo, v31, v23, vcc_lo
	s_waitcnt lgkmcnt(3)
	v_add_co_u32 v20, vcc_lo, v32, v24
	v_add_co_ci_u32_e32 v21, vcc_lo, v33, v25, vcc_lo
	v_add_co_u32 v22, vcc_lo, v34, v26
	v_add_co_ci_u32_e32 v23, vcc_lo, v35, v27, vcc_lo
	s_waitcnt lgkmcnt(1)
	v_add_co_u32 v1, vcc_lo, v36, v1
	v_add_co_ci_u32_e32 v2, vcc_lo, v37, v2, vcc_lo
	v_add_co_u32 v3, vcc_lo, v38, v3
	v_add_co_ci_u32_e32 v4, vcc_lo, v39, v4, vcc_lo
	s_waitcnt lgkmcnt(0)
	v_add_co_u32 v5, vcc_lo, v5, v7
	v_add_co_ci_u32_e32 v6, vcc_lo, v6, v8, vcc_lo
	ds_store_2addr_b64 v11, v[9:10], v[40:41] offset1:1
	ds_store_2addr_b64 v11, v[12:13], v[14:15] offset0:2 offset1:3
	ds_store_2addr_b64 v11, v[16:17], v[18:19] offset0:4 offset1:5
	ds_store_2addr_b64 v11, v[20:21], v[22:23] offset0:6 offset1:7
	ds_store_2addr_b64 v11, v[1:2], v[3:4] offset0:8 offset1:9
	ds_store_b64 v11, v[5:6] offset:80
.LBB132_51:
	s_or_b32 exec_lo, exec_lo, s0
	s_delay_alu instid0(SALU_CYCLE_1)
	s_mov_b32 s0, exec_lo
	s_waitcnt lgkmcnt(0)
	s_barrier
	buffer_gl0_inv
	v_cmpx_gt_u32_e32 8, v0
	s_cbranch_execz .LBB132_53
; %bb.52:
	ds_load_2addr_b64 v[1:4], v11 offset0:88 offset1:89
	ds_load_2addr_b64 v[5:8], v11 offset1:1
	ds_load_2addr_b64 v[12:15], v11 offset0:2 offset1:3
	ds_load_2addr_b64 v[16:19], v11 offset0:90 offset1:91
	ds_load_2addr_b64 v[20:23], v11 offset0:92 offset1:93
	ds_load_2addr_b64 v[24:27], v11 offset0:94 offset1:95
	ds_load_2addr_b64 v[28:31], v11 offset0:4 offset1:5
	ds_load_2addr_b64 v[32:35], v11 offset0:6 offset1:7
	ds_load_2addr_b64 v[36:39], v11 offset0:8 offset1:9
	s_waitcnt lgkmcnt(7)
	v_add_co_u32 v9, vcc_lo, v5, v1
	v_add_co_ci_u32_e32 v10, vcc_lo, v6, v2, vcc_lo
	v_add_co_u32 v40, vcc_lo, v7, v3
	v_add_co_ci_u32_e32 v41, vcc_lo, v8, v4, vcc_lo
	ds_load_2addr_b64 v[1:4], v11 offset0:96 offset1:97
	s_waitcnt lgkmcnt(6)
	v_add_co_u32 v12, vcc_lo, v12, v16
	v_add_co_ci_u32_e32 v13, vcc_lo, v13, v17, vcc_lo
	v_add_co_u32 v14, vcc_lo, v14, v18
	ds_load_2addr_b64 v[5:8], v11 offset0:10 offset1:98
	v_add_co_ci_u32_e32 v15, vcc_lo, v15, v19, vcc_lo
	s_waitcnt lgkmcnt(4)
	v_add_co_u32 v16, vcc_lo, v28, v20
	v_add_co_ci_u32_e32 v17, vcc_lo, v29, v21, vcc_lo
	v_add_co_u32 v18, vcc_lo, v30, v22
	v_add_co_ci_u32_e32 v19, vcc_lo, v31, v23, vcc_lo
	s_waitcnt lgkmcnt(3)
	v_add_co_u32 v20, vcc_lo, v32, v24
	v_add_co_ci_u32_e32 v21, vcc_lo, v33, v25, vcc_lo
	v_add_co_u32 v22, vcc_lo, v34, v26
	v_add_co_ci_u32_e32 v23, vcc_lo, v35, v27, vcc_lo
	s_waitcnt lgkmcnt(1)
	v_add_co_u32 v1, vcc_lo, v36, v1
	v_add_co_ci_u32_e32 v2, vcc_lo, v37, v2, vcc_lo
	v_add_co_u32 v3, vcc_lo, v38, v3
	v_add_co_ci_u32_e32 v4, vcc_lo, v39, v4, vcc_lo
	s_waitcnt lgkmcnt(0)
	v_add_co_u32 v5, vcc_lo, v5, v7
	v_add_co_ci_u32_e32 v6, vcc_lo, v6, v8, vcc_lo
	ds_store_2addr_b64 v11, v[9:10], v[40:41] offset1:1
	ds_store_2addr_b64 v11, v[12:13], v[14:15] offset0:2 offset1:3
	ds_store_2addr_b64 v11, v[16:17], v[18:19] offset0:4 offset1:5
	ds_store_2addr_b64 v11, v[20:21], v[22:23] offset0:6 offset1:7
	ds_store_2addr_b64 v11, v[1:2], v[3:4] offset0:8 offset1:9
	ds_store_b64 v11, v[5:6] offset:80
.LBB132_53:
	;; [unrolled: 55-line block ×4, first 2 shown]
	s_or_b32 exec_lo, exec_lo, s0
	s_delay_alu instid0(SALU_CYCLE_1)
	s_mov_b32 s0, exec_lo
	s_waitcnt lgkmcnt(0)
	s_barrier
	buffer_gl0_inv
	v_cmpx_eq_u32_e32 0, v0
	s_cbranch_execz .LBB132_59
; %bb.58:
	v_mov_b32_e32 v41, 0
	ds_load_b128 v[1:4], v41 offset:80
	ds_load_b128 v[5:8], v41
	ds_load_b128 v[9:12], v41 offset:96
	ds_load_b128 v[13:16], v41 offset:16
	ds_load_b128 v[17:20], v41 offset:112
	ds_load_b128 v[21:24], v41 offset:32
	ds_load_b128 v[25:28], v41 offset:48
	ds_load_b128 v[29:32], v41 offset:128
	ds_load_b128 v[33:36], v41 offset:144
	ds_load_b128 v[37:40], v41 offset:64
	s_waitcnt lgkmcnt(8)
	v_add_co_u32 v3, vcc_lo, v5, v3
	v_add_co_ci_u32_e32 v4, vcc_lo, v6, v4, vcc_lo
	s_waitcnt lgkmcnt(7)
	v_add_co_u32 v5, vcc_lo, v7, v9
	v_add_co_ci_u32_e32 v6, vcc_lo, v8, v10, vcc_lo
	;; [unrolled: 3-line block ×3, first 2 shown]
	ds_load_b128 v[11:14], v41 offset:160
	s_waitcnt lgkmcnt(6)
	v_add_co_u32 v9, vcc_lo, v15, v17
	v_add_co_ci_u32_e32 v10, vcc_lo, v16, v18, vcc_lo
	s_waitcnt lgkmcnt(5)
	v_add_co_u32 v15, vcc_lo, v21, v19
	v_add_co_ci_u32_e32 v16, vcc_lo, v22, v20, vcc_lo
	;; [unrolled: 3-line block ×3, first 2 shown]
	v_add_co_u32 v19, vcc_lo, v25, v31
	v_add_co_ci_u32_e32 v20, vcc_lo, v26, v32, vcc_lo
	s_waitcnt lgkmcnt(2)
	v_add_co_u32 v21, vcc_lo, v27, v33
	v_add_co_ci_u32_e32 v22, vcc_lo, v28, v34, vcc_lo
	s_waitcnt lgkmcnt(1)
	;; [unrolled: 3-line block ×3, first 2 shown]
	v_add_co_u32 v25, vcc_lo, v39, v11
	v_add_co_ci_u32_e32 v26, vcc_lo, v40, v12, vcc_lo
	v_add_co_u32 v1, vcc_lo, v1, v13
	v_add_co_ci_u32_e32 v2, vcc_lo, v2, v14, vcc_lo
	ds_store_b128 v41, v[3:6]
	ds_store_b128 v41, v[7:10] offset:16
	ds_store_b128 v41, v[15:18] offset:32
	;; [unrolled: 1-line block ×4, first 2 shown]
	ds_store_b64 v41, v[1:2] offset:80
.LBB132_59:
	s_or_b32 exec_lo, exec_lo, s0
	s_waitcnt lgkmcnt(0)
	s_barrier
	buffer_gl0_inv
	s_mov_b32 s0, exec_lo
	v_cmpx_gt_u32_e32 11, v0
	s_cbranch_execz .LBB132_61
; %bb.60:
	v_lshlrev_b32_e32 v3, 3, v0
	v_mad_u64_u32 v[1:2], null, s15, 11, v[0:1]
	v_mov_b32_e32 v2, 0
	ds_load_b64 v[3:4], v3
	v_lshlrev_b64 v[0:1], 3, v[1:2]
	s_delay_alu instid0(VALU_DEP_1) | instskip(NEXT) | instid1(VALU_DEP_2)
	v_add_co_u32 v0, vcc_lo, s2, v0
	v_add_co_ci_u32_e32 v1, vcc_lo, s3, v1, vcc_lo
	s_waitcnt lgkmcnt(0)
	global_store_b64 v[0:1], v[3:4], off
.LBB132_61:
	s_nop 0
	s_sendmsg sendmsg(MSG_DEALLOC_VGPRS)
	s_endpgm
	.section	.rodata,"a",@progbits
	.p2align	6, 0x0
	.amdhsa_kernel _ZN9rocsparseL26csrgemm_group_reduce_part2ILj256ELj11E21rocsparse_complex_numIfEllEEvT3_PKT2_PS3_Pij
		.amdhsa_group_segment_fixed_size 22528
		.amdhsa_private_segment_fixed_size 0
		.amdhsa_kernarg_size 296
		.amdhsa_user_sgpr_count 15
		.amdhsa_user_sgpr_dispatch_ptr 0
		.amdhsa_user_sgpr_queue_ptr 0
		.amdhsa_user_sgpr_kernarg_segment_ptr 1
		.amdhsa_user_sgpr_dispatch_id 0
		.amdhsa_user_sgpr_private_segment_size 0
		.amdhsa_wavefront_size32 1
		.amdhsa_uses_dynamic_stack 0
		.amdhsa_enable_private_segment 0
		.amdhsa_system_sgpr_workgroup_id_x 1
		.amdhsa_system_sgpr_workgroup_id_y 0
		.amdhsa_system_sgpr_workgroup_id_z 0
		.amdhsa_system_sgpr_workgroup_info 0
		.amdhsa_system_vgpr_workitem_id 0
		.amdhsa_next_free_vgpr 43
		.amdhsa_next_free_sgpr 27
		.amdhsa_reserve_vcc 1
		.amdhsa_float_round_mode_32 0
		.amdhsa_float_round_mode_16_64 0
		.amdhsa_float_denorm_mode_32 3
		.amdhsa_float_denorm_mode_16_64 3
		.amdhsa_dx10_clamp 1
		.amdhsa_ieee_mode 1
		.amdhsa_fp16_overflow 0
		.amdhsa_workgroup_processor_mode 1
		.amdhsa_memory_ordered 1
		.amdhsa_forward_progress 0
		.amdhsa_shared_vgpr_count 0
		.amdhsa_exception_fp_ieee_invalid_op 0
		.amdhsa_exception_fp_denorm_src 0
		.amdhsa_exception_fp_ieee_div_zero 0
		.amdhsa_exception_fp_ieee_overflow 0
		.amdhsa_exception_fp_ieee_underflow 0
		.amdhsa_exception_fp_ieee_inexact 0
		.amdhsa_exception_int_div_zero 0
	.end_amdhsa_kernel
	.section	.text._ZN9rocsparseL26csrgemm_group_reduce_part2ILj256ELj11E21rocsparse_complex_numIfEllEEvT3_PKT2_PS3_Pij,"axG",@progbits,_ZN9rocsparseL26csrgemm_group_reduce_part2ILj256ELj11E21rocsparse_complex_numIfEllEEvT3_PKT2_PS3_Pij,comdat
.Lfunc_end132:
	.size	_ZN9rocsparseL26csrgemm_group_reduce_part2ILj256ELj11E21rocsparse_complex_numIfEllEEvT3_PKT2_PS3_Pij, .Lfunc_end132-_ZN9rocsparseL26csrgemm_group_reduce_part2ILj256ELj11E21rocsparse_complex_numIfEllEEvT3_PKT2_PS3_Pij
                                        ; -- End function
	.section	.AMDGPU.csdata,"",@progbits
; Kernel info:
; codeLenInByte = 4176
; NumSgprs: 29
; NumVgprs: 43
; ScratchSize: 0
; MemoryBound: 0
; FloatMode: 240
; IeeeMode: 1
; LDSByteSize: 22528 bytes/workgroup (compile time only)
; SGPRBlocks: 3
; VGPRBlocks: 5
; NumSGPRsForWavesPerEU: 29
; NumVGPRsForWavesPerEU: 43
; Occupancy: 10
; WaveLimiterHint : 0
; COMPUTE_PGM_RSRC2:SCRATCH_EN: 0
; COMPUTE_PGM_RSRC2:USER_SGPR: 15
; COMPUTE_PGM_RSRC2:TRAP_HANDLER: 0
; COMPUTE_PGM_RSRC2:TGID_X_EN: 1
; COMPUTE_PGM_RSRC2:TGID_Y_EN: 0
; COMPUTE_PGM_RSRC2:TGID_Z_EN: 0
; COMPUTE_PGM_RSRC2:TIDIG_COMP_CNT: 0
	.section	.text._ZN9rocsparseL23csrgemm_fill_wf_per_rowILj256ELj8ELj16ELj137Ell21rocsparse_complex_numIfEEEvT4_S3_PKS3_S5_NS_24const_host_device_scalarIT5_EEPKT3_S5_PKS7_SB_S5_SD_S8_SB_S5_SD_SB_PS3_PS7_21rocsparse_index_base_SG_SG_SG_bbb,"axG",@progbits,_ZN9rocsparseL23csrgemm_fill_wf_per_rowILj256ELj8ELj16ELj137Ell21rocsparse_complex_numIfEEEvT4_S3_PKS3_S5_NS_24const_host_device_scalarIT5_EEPKT3_S5_PKS7_SB_S5_SD_S8_SB_S5_SD_SB_PS3_PS7_21rocsparse_index_base_SG_SG_SG_bbb,comdat
	.globl	_ZN9rocsparseL23csrgemm_fill_wf_per_rowILj256ELj8ELj16ELj137Ell21rocsparse_complex_numIfEEEvT4_S3_PKS3_S5_NS_24const_host_device_scalarIT5_EEPKT3_S5_PKS7_SB_S5_SD_S8_SB_S5_SD_SB_PS3_PS7_21rocsparse_index_base_SG_SG_SG_bbb ; -- Begin function _ZN9rocsparseL23csrgemm_fill_wf_per_rowILj256ELj8ELj16ELj137Ell21rocsparse_complex_numIfEEEvT4_S3_PKS3_S5_NS_24const_host_device_scalarIT5_EEPKT3_S5_PKS7_SB_S5_SD_S8_SB_S5_SD_SB_PS3_PS7_21rocsparse_index_base_SG_SG_SG_bbb
	.p2align	8
	.type	_ZN9rocsparseL23csrgemm_fill_wf_per_rowILj256ELj8ELj16ELj137Ell21rocsparse_complex_numIfEEEvT4_S3_PKS3_S5_NS_24const_host_device_scalarIT5_EEPKT3_S5_PKS7_SB_S5_SD_S8_SB_S5_SD_SB_PS3_PS7_21rocsparse_index_base_SG_SG_SG_bbb,@function
_ZN9rocsparseL23csrgemm_fill_wf_per_rowILj256ELj8ELj16ELj137Ell21rocsparse_complex_numIfEEEvT4_S3_PKS3_S5_NS_24const_host_device_scalarIT5_EEPKT3_S5_PKS7_SB_S5_SD_S8_SB_S5_SD_SB_PS3_PS7_21rocsparse_index_base_SG_SG_SG_bbb: ; @_ZN9rocsparseL23csrgemm_fill_wf_per_rowILj256ELj8ELj16ELj137Ell21rocsparse_complex_numIfEEEvT4_S3_PKS3_S5_NS_24const_host_device_scalarIT5_EEPKT3_S5_PKS7_SB_S5_SD_S8_SB_S5_SD_SB_PS3_PS7_21rocsparse_index_base_SG_SG_SG_bbb
; %bb.0:
	s_clause 0x6
	s_load_b32 s2, s[0:1], 0xa0
	s_load_b256 s[4:11], s[0:1], 0x68
	s_load_b256 s[16:23], s[0:1], 0x48
	s_load_b128 s[40:43], s[0:1], 0x10
	s_load_b256 s[24:31], s[0:1], 0x28
	s_load_b64 s[12:13], s[0:1], 0x88
	s_load_b128 s[36:39], s[0:1], 0x90
	s_mov_b32 s35, 0
	s_mov_b32 s44, 0
	s_waitcnt lgkmcnt(0)
	s_bitcmp1_b32 s2, 0
	s_cselect_b32 s45, -1, 0
	s_bitcmp1_b32 s2, 16
	s_cselect_b32 s3, -1, 0
	s_delay_alu instid0(SALU_CYCLE_1) | instskip(SKIP_2) | instid1(VALU_DEP_1)
	s_xor_b32 s3, s3, -1
	s_bitcmp0_b32 s2, 0
	v_cndmask_b32_e64 v1, 0, 1, s3
	v_cmp_ne_u32_e32 vcc_lo, 1, v1
	s_cbranch_scc1 .LBB133_5
; %bb.1:
	s_load_b64 s[34:35], s[0:1], 0x20
	s_and_b32 vcc_lo, exec_lo, vcc_lo
	s_waitcnt lgkmcnt(0)
	s_mov_b32 s44, s34
	s_cbranch_vccnz .LBB133_3
; %bb.2:
	s_load_b32 s44, s[34:35], 0x0
.LBB133_3:
	s_and_not1_b32 vcc_lo, exec_lo, s3
	s_cbranch_vccnz .LBB133_5
; %bb.4:
	s_load_b32 s35, s[34:35], 0x4
.LBB133_5:
	s_bitcmp1_b32 s2, 8
	s_mov_b32 s33, 0
	s_cselect_b32 s34, -1, 0
	s_bfe_u32 s2, s2, 0x10008
	s_mov_b32 s14, 0
	s_cmp_eq_u32 s2, 0
	s_cbranch_scc1 .LBB133_11
; %bb.6:
	v_cmp_ne_u32_e32 vcc_lo, 1, v1
	s_mov_b32 s14, s20
	s_cbranch_vccnz .LBB133_8
; %bb.7:
	s_load_b32 s14, s[20:21], 0x0
.LBB133_8:
	v_cmp_ne_u32_e32 vcc_lo, 1, v1
	s_cbranch_vccnz .LBB133_10
; %bb.9:
	s_load_b32 s21, s[20:21], 0x4
.LBB133_10:
	s_waitcnt lgkmcnt(0)
	s_mov_b32 s33, s21
.LBB133_11:
	s_load_b128 s[0:3], s[0:1], 0x0
	v_and_b32_e32 v18, 7, v0
	v_lshrrev_b32_e32 v4, 3, v0
	s_mov_b32 s20, 0
	s_delay_alu instid0(VALU_DEP_2) | instskip(NEXT) | instid1(VALU_DEP_1)
	v_dual_mov_b32 v0, 0 :: v_dual_lshlrev_b32 v1, 3, v18
	v_lshl_or_b32 v14, v4, 7, v1
	s_delay_alu instid0(VALU_DEP_2) | instskip(SKIP_1) | instid1(VALU_DEP_1)
	v_mov_b32_e32 v1, v0
	v_or_b32_e32 v15, -8, v18
	v_dual_mov_b32 v5, v14 :: v_dual_mov_b32 v6, v15
	s_waitcnt lgkmcnt(0)
	v_dual_mov_b32 v2, s2 :: v_dual_mov_b32 v3, s3
.LBB133_12:                             ; =>This Inner Loop Header: Depth=1
	s_delay_alu instid0(VALU_DEP_2) | instskip(NEXT) | instid1(VALU_DEP_1)
	v_add_co_u32 v6, s21, v6, 8
	s_xor_b32 s21, s21, -1
	ds_store_2addr_stride64_b64 v5, v[0:1], v[2:3] offset1:8
	v_add_nc_u32_e32 v5, 64, v5
	s_and_b32 s21, exec_lo, s21
	s_delay_alu instid0(SALU_CYCLE_1) | instskip(NEXT) | instid1(SALU_CYCLE_1)
	s_or_b32 s20, s21, s20
	s_and_not1_b32 exec_lo, exec_lo, s20
	s_cbranch_execnz .LBB133_12
; %bb.13:
	s_or_b32 exec_lo, exec_lo, s20
	s_lshl_b32 s15, s15, 5
	v_mov_b32_e32 v1, 0
	v_and_or_b32 v0, 0x1fffffe0, s15, v4
	s_waitcnt lgkmcnt(0)
	buffer_gl0_inv
	v_cmp_gt_i64_e32 vcc_lo, s[0:1], v[0:1]
	s_and_saveexec_b32 s0, vcc_lo
	s_cbranch_execz .LBB133_57
; %bb.14:
	s_cmp_eq_u64 s[42:43], 0
	s_cbranch_scc1 .LBB133_16
; %bb.15:
	s_load_b64 s[0:1], s[40:41], 0x0
	v_lshlrev_b32_e32 v0, 3, v0
	s_waitcnt lgkmcnt(0)
	s_lshl_b64 s[0:1], s[0:1], 3
	s_delay_alu instid0(SALU_CYCLE_1)
	s_add_u32 s0, s42, s0
	s_addc_u32 s1, s43, s1
	global_load_b64 v[0:1], v0, s[0:1]
.LBB133_16:
	v_lshlrev_b32_e32 v17, 7, v4
	s_waitcnt vmcnt(0)
	v_lshlrev_b64 v[4:5], 3, v[0:1]
	s_and_not1_b32 vcc_lo, exec_lo, s45
	s_delay_alu instid0(VALU_DEP_2)
	v_or_b32_e32 v16, 0x1000, v17
	s_cbranch_vccnz .LBB133_36
; %bb.17:
	s_delay_alu instid0(VALU_DEP_2) | instskip(NEXT) | instid1(VALU_DEP_3)
	v_add_co_u32 v0, vcc_lo, s24, v4
	v_add_co_ci_u32_e32 v1, vcc_lo, s25, v5, vcc_lo
	v_sub_co_u32 v8, s0, v18, s36
	s_delay_alu instid0(VALU_DEP_1)
	v_sub_co_ci_u32_e64 v9, null, 0, 0, s0
	global_load_b128 v[0:3], v[0:1], off
	s_mov_b32 s1, 0
	s_mov_b32 s0, exec_lo
	s_waitcnt vmcnt(0)
	v_sub_co_u32 v6, vcc_lo, v2, s36
	v_subrev_co_ci_u32_e32 v7, vcc_lo, 0, v3, vcc_lo
	v_add_co_u32 v8, vcc_lo, v0, v8
	v_add_co_ci_u32_e32 v9, vcc_lo, v1, v9, vcc_lo
	s_delay_alu instid0(VALU_DEP_1)
	v_cmpx_lt_i64_e64 v[8:9], v[6:7]
	s_cbranch_execz .LBB133_35
; %bb.18:
	s_mov_b32 s15, s37
	s_branch .LBB133_20
.LBB133_19:                             ;   in Loop: Header=BB133_20 Depth=1
	s_or_b32 exec_lo, exec_lo, s20
	v_add_co_u32 v8, vcc_lo, v8, 8
	v_add_co_ci_u32_e32 v9, vcc_lo, 0, v9, vcc_lo
	s_delay_alu instid0(VALU_DEP_1) | instskip(SKIP_1) | instid1(SALU_CYCLE_1)
	v_cmp_ge_i64_e32 vcc_lo, v[8:9], v[6:7]
	s_or_b32 s1, vcc_lo, s1
	s_and_not1_b32 exec_lo, exec_lo, s1
	s_cbranch_execz .LBB133_35
.LBB133_20:                             ; =>This Loop Header: Depth=1
                                        ;     Child Loop BB133_23 Depth 2
                                        ;       Child Loop BB133_25 Depth 3
	v_lshlrev_b64 v[10:11], 3, v[8:9]
	s_mov_b32 s20, exec_lo
	s_delay_alu instid0(VALU_DEP_1) | instskip(NEXT) | instid1(VALU_DEP_2)
	v_add_co_u32 v0, vcc_lo, s26, v10
	v_add_co_ci_u32_e32 v1, vcc_lo, s27, v11, vcc_lo
	global_load_b64 v[0:1], v[0:1], off
	s_waitcnt vmcnt(0)
	v_sub_co_u32 v0, vcc_lo, v0, s36
	v_subrev_co_ci_u32_e32 v1, vcc_lo, 0, v1, vcc_lo
	s_delay_alu instid0(VALU_DEP_1) | instskip(NEXT) | instid1(VALU_DEP_1)
	v_lshlrev_b64 v[0:1], 3, v[0:1]
	v_add_co_u32 v0, vcc_lo, s30, v0
	s_delay_alu instid0(VALU_DEP_2)
	v_add_co_ci_u32_e32 v1, vcc_lo, s31, v1, vcc_lo
	global_load_b128 v[0:3], v[0:1], off
	s_waitcnt vmcnt(0)
	v_cmpx_lt_i64_e64 v[0:1], v[2:3]
	s_cbranch_execz .LBB133_19
; %bb.21:                               ;   in Loop: Header=BB133_20 Depth=1
	v_add_co_u32 v10, vcc_lo, s28, v10
	v_add_co_ci_u32_e32 v11, vcc_lo, s29, v11, vcc_lo
	v_sub_co_u32 v2, vcc_lo, v2, s15
	v_subrev_co_ci_u32_e32 v3, vcc_lo, 0, v3, vcc_lo
	global_load_b64 v[10:11], v[10:11], off
	v_sub_co_u32 v0, vcc_lo, v0, s15
	v_subrev_co_ci_u32_e32 v1, vcc_lo, 0, v1, vcc_lo
	s_mov_b32 s21, 0
	s_waitcnt vmcnt(0)
	v_mul_f32_e64 v19, v11, -s35
	s_delay_alu instid0(VALU_DEP_1) | instskip(NEXT) | instid1(VALU_DEP_1)
	v_dual_mul_f32 v20, s44, v11 :: v_dual_fmac_f32 v19, s44, v10
	v_fmac_f32_e32 v20, s35, v10
	s_branch .LBB133_23
.LBB133_22:                             ;   in Loop: Header=BB133_23 Depth=2
	s_or_b32 exec_lo, exec_lo, s24
	v_add_co_u32 v0, vcc_lo, v0, 1
	v_add_co_ci_u32_e32 v1, vcc_lo, 0, v1, vcc_lo
	s_delay_alu instid0(VALU_DEP_1) | instskip(SKIP_1) | instid1(SALU_CYCLE_1)
	v_cmp_ge_i64_e32 vcc_lo, v[0:1], v[2:3]
	s_or_b32 s21, vcc_lo, s21
	s_and_not1_b32 exec_lo, exec_lo, s21
	s_cbranch_execz .LBB133_19
.LBB133_23:                             ;   Parent Loop BB133_20 Depth=1
                                        ; =>  This Loop Header: Depth=2
                                        ;       Child Loop BB133_25 Depth 3
	v_lshlrev_b64 v[10:11], 3, v[0:1]
	s_mov_b32 s24, 0
	s_delay_alu instid0(VALU_DEP_1) | instskip(NEXT) | instid1(VALU_DEP_2)
	v_add_co_u32 v12, vcc_lo, s16, v10
	v_add_co_ci_u32_e32 v13, vcc_lo, s17, v11, vcc_lo
	v_add_co_u32 v10, vcc_lo, s18, v10
	v_add_co_ci_u32_e32 v11, vcc_lo, s19, v11, vcc_lo
	global_load_b64 v[12:13], v[12:13], off
	global_load_b64 v[23:24], v[10:11], off
	s_waitcnt vmcnt(1)
	v_sub_co_u32 v10, vcc_lo, v12, s15
	s_waitcnt vmcnt(0)
	v_mul_f32_e64 v21, v24, -v20
	v_mul_f32_e32 v22, v19, v24
	v_subrev_co_ci_u32_e32 v11, vcc_lo, 0, v13, vcc_lo
	v_lshl_add_u32 v12, v10, 3, v10
	s_delay_alu instid0(VALU_DEP_4) | instskip(NEXT) | instid1(VALU_DEP_2)
	v_fmac_f32_e32 v21, v19, v23
	v_dual_fmac_f32 v22, v20, v23 :: v_dual_and_b32 v23, 15, v12
	s_branch .LBB133_25
.LBB133_24:                             ;   in Loop: Header=BB133_25 Depth=3
	s_or_b32 exec_lo, exec_lo, s25
	s_xor_b32 s25, s37, -1
	s_delay_alu instid0(SALU_CYCLE_1) | instskip(NEXT) | instid1(SALU_CYCLE_1)
	s_and_b32 s25, exec_lo, s25
	s_or_b32 s24, s25, s24
	s_delay_alu instid0(SALU_CYCLE_1)
	s_and_not1_b32 exec_lo, exec_lo, s24
	s_cbranch_execz .LBB133_22
.LBB133_25:                             ;   Parent Loop BB133_20 Depth=1
                                        ;     Parent Loop BB133_23 Depth=2
                                        ; =>    This Inner Loop Header: Depth=3
	s_delay_alu instid0(VALU_DEP_1)
	v_lshl_add_u32 v24, v23, 3, v16
	s_mov_b32 s25, exec_lo
                                        ; implicit-def: $sgpr37
	ds_load_b64 v[12:13], v24
	s_waitcnt lgkmcnt(0)
	v_cmpx_ne_u64_e64 v[12:13], v[10:11]
	s_xor_b32 s25, exec_lo, s25
	s_cbranch_execz .LBB133_33
; %bb.26:                               ;   in Loop: Header=BB133_25 Depth=3
	s_mov_b32 s40, exec_lo
                                        ; implicit-def: $sgpr37
	v_cmpx_ne_u64_e64 s[2:3], v[12:13]
	s_xor_b32 s40, exec_lo, s40
; %bb.27:                               ;   in Loop: Header=BB133_25 Depth=3
	v_add_nc_u32_e32 v12, 1, v23
	s_mov_b32 s37, -1
                                        ; implicit-def: $vgpr24
	s_delay_alu instid0(VALU_DEP_1)
	v_and_b32_e32 v23, 15, v12
; %bb.28:                               ;   in Loop: Header=BB133_25 Depth=3
	s_and_not1_saveexec_b32 s40, s40
	s_cbranch_execz .LBB133_32
; %bb.29:                               ;   in Loop: Header=BB133_25 Depth=3
	v_dual_mov_b32 v13, s3 :: v_dual_mov_b32 v12, s2
	s_mov_b32 s41, -1
	s_mov_b32 s42, exec_lo
	ds_cmpstore_rtn_b64 v[12:13], v24, v[10:11], v[12:13]
	s_waitcnt lgkmcnt(0)
	v_cmpx_eq_u64_e64 s[2:3], v[12:13]
	s_cbranch_execz .LBB133_31
; %bb.30:                               ;   in Loop: Header=BB133_25 Depth=3
	v_lshl_add_u32 v12, v23, 3, v17
	s_xor_b32 s41, exec_lo, -1
	ds_add_f32 v12, v21
	ds_add_f32 v12, v22 offset:4
.LBB133_31:                             ;   in Loop: Header=BB133_25 Depth=3
	s_or_b32 exec_lo, exec_lo, s42
	s_delay_alu instid0(SALU_CYCLE_1) | instskip(SKIP_1) | instid1(SALU_CYCLE_1)
	s_and_not1_b32 s37, s37, exec_lo
	s_and_b32 s41, s41, exec_lo
	s_or_b32 s37, s37, s41
.LBB133_32:                             ;   in Loop: Header=BB133_25 Depth=3
	s_or_b32 exec_lo, exec_lo, s40
	s_delay_alu instid0(SALU_CYCLE_1)
	s_and_b32 s37, s37, exec_lo
.LBB133_33:                             ;   in Loop: Header=BB133_25 Depth=3
	s_and_not1_saveexec_b32 s25, s25
	s_cbranch_execz .LBB133_24
; %bb.34:                               ;   in Loop: Header=BB133_25 Depth=3
	v_lshl_add_u32 v12, v23, 3, v17
	s_and_not1_b32 s37, s37, exec_lo
	ds_add_f32 v12, v21
	ds_add_f32 v12, v22 offset:4
	s_branch .LBB133_24
.LBB133_35:
	s_or_b32 exec_lo, exec_lo, s0
.LBB133_36:
	s_delay_alu instid0(SALU_CYCLE_1)
	s_and_not1_b32 vcc_lo, exec_lo, s34
	s_cbranch_vccnz .LBB133_53
; %bb.37:
	v_add_co_u32 v0, vcc_lo, s22, v4
	v_add_co_ci_u32_e32 v1, vcc_lo, s23, v5, vcc_lo
	v_sub_co_u32 v2, s0, v18, s39
	s_delay_alu instid0(VALU_DEP_1)
	v_sub_co_ci_u32_e64 v3, null, 0, 0, s0
	global_load_b128 v[6:9], v[0:1], off
	s_mov_b32 s0, 0
	s_mov_b32 s1, exec_lo
	s_waitcnt vmcnt(0)
	v_sub_co_u32 v0, vcc_lo, v8, s39
	v_subrev_co_ci_u32_e32 v1, vcc_lo, 0, v9, vcc_lo
	v_add_co_u32 v2, vcc_lo, v6, v2
	v_add_co_ci_u32_e32 v3, vcc_lo, v7, v3, vcc_lo
	s_delay_alu instid0(VALU_DEP_1)
	v_cmpx_lt_i64_e64 v[2:3], v[0:1]
	s_cbranch_execz .LBB133_52
; %bb.38:
	s_mov_b32 s15, s39
	s_branch .LBB133_40
.LBB133_39:                             ;   in Loop: Header=BB133_40 Depth=1
	s_or_b32 exec_lo, exec_lo, s16
	v_add_co_u32 v2, vcc_lo, v2, 8
	v_add_co_ci_u32_e32 v3, vcc_lo, 0, v3, vcc_lo
	s_delay_alu instid0(VALU_DEP_1) | instskip(SKIP_1) | instid1(SALU_CYCLE_1)
	v_cmp_ge_i64_e32 vcc_lo, v[2:3], v[0:1]
	s_or_b32 s0, vcc_lo, s0
	s_and_not1_b32 exec_lo, exec_lo, s0
	s_cbranch_execz .LBB133_52
.LBB133_40:                             ; =>This Loop Header: Depth=1
                                        ;     Child Loop BB133_42 Depth 2
	v_lshlrev_b64 v[6:7], 3, v[2:3]
	s_mov_b32 s16, 0
	s_delay_alu instid0(VALU_DEP_1) | instskip(NEXT) | instid1(VALU_DEP_2)
	v_add_co_u32 v8, vcc_lo, s4, v6
	v_add_co_ci_u32_e32 v9, vcc_lo, s5, v7, vcc_lo
	v_add_co_u32 v6, vcc_lo, s6, v6
	v_add_co_ci_u32_e32 v7, vcc_lo, s7, v7, vcc_lo
	global_load_b64 v[8:9], v[8:9], off
	global_load_b64 v[12:13], v[6:7], off
	s_waitcnt vmcnt(1)
	v_sub_co_u32 v6, vcc_lo, v8, s15
	s_waitcnt vmcnt(0)
	v_mul_f32_e64 v10, v13, -s33
	v_mul_f32_e32 v11, s14, v13
	v_subrev_co_ci_u32_e32 v7, vcc_lo, 0, v9, vcc_lo
	v_lshl_add_u32 v8, v6, 3, v6
	s_delay_alu instid0(VALU_DEP_4) | instskip(NEXT) | instid1(VALU_DEP_4)
	v_fmac_f32_e32 v10, s14, v12
	v_fmac_f32_e32 v11, s33, v12
	s_delay_alu instid0(VALU_DEP_3)
	v_and_b32_e32 v12, 15, v8
	s_branch .LBB133_42
.LBB133_41:                             ;   in Loop: Header=BB133_42 Depth=2
	s_or_b32 exec_lo, exec_lo, s17
	s_xor_b32 s17, s18, -1
	s_delay_alu instid0(SALU_CYCLE_1) | instskip(NEXT) | instid1(SALU_CYCLE_1)
	s_and_b32 s17, exec_lo, s17
	s_or_b32 s16, s17, s16
	s_delay_alu instid0(SALU_CYCLE_1)
	s_and_not1_b32 exec_lo, exec_lo, s16
	s_cbranch_execz .LBB133_39
.LBB133_42:                             ;   Parent Loop BB133_40 Depth=1
                                        ; =>  This Inner Loop Header: Depth=2
	s_delay_alu instid0(VALU_DEP_1)
	v_lshl_add_u32 v13, v12, 3, v16
	s_mov_b32 s17, exec_lo
                                        ; implicit-def: $sgpr18
	ds_load_b64 v[8:9], v13
	s_waitcnt lgkmcnt(0)
	v_cmpx_ne_u64_e64 v[8:9], v[6:7]
	s_xor_b32 s17, exec_lo, s17
	s_cbranch_execz .LBB133_50
; %bb.43:                               ;   in Loop: Header=BB133_42 Depth=2
	s_mov_b32 s19, exec_lo
                                        ; implicit-def: $sgpr18
	v_cmpx_ne_u64_e64 s[2:3], v[8:9]
	s_xor_b32 s19, exec_lo, s19
; %bb.44:                               ;   in Loop: Header=BB133_42 Depth=2
	v_add_nc_u32_e32 v8, 1, v12
	s_mov_b32 s18, -1
                                        ; implicit-def: $vgpr13
	s_delay_alu instid0(VALU_DEP_1)
	v_and_b32_e32 v12, 15, v8
; %bb.45:                               ;   in Loop: Header=BB133_42 Depth=2
	s_and_not1_saveexec_b32 s19, s19
	s_cbranch_execz .LBB133_49
; %bb.46:                               ;   in Loop: Header=BB133_42 Depth=2
	v_dual_mov_b32 v9, s3 :: v_dual_mov_b32 v8, s2
	s_mov_b32 s20, -1
	s_mov_b32 s21, exec_lo
	ds_cmpstore_rtn_b64 v[8:9], v13, v[6:7], v[8:9]
	s_waitcnt lgkmcnt(0)
	v_cmpx_eq_u64_e64 s[2:3], v[8:9]
	s_cbranch_execz .LBB133_48
; %bb.47:                               ;   in Loop: Header=BB133_42 Depth=2
	v_lshl_add_u32 v8, v12, 3, v17
	s_xor_b32 s20, exec_lo, -1
	ds_add_f32 v8, v10
	ds_add_f32 v8, v11 offset:4
.LBB133_48:                             ;   in Loop: Header=BB133_42 Depth=2
	s_or_b32 exec_lo, exec_lo, s21
	s_delay_alu instid0(SALU_CYCLE_1) | instskip(SKIP_1) | instid1(SALU_CYCLE_1)
	s_and_not1_b32 s18, s18, exec_lo
	s_and_b32 s20, s20, exec_lo
	s_or_b32 s18, s18, s20
.LBB133_49:                             ;   in Loop: Header=BB133_42 Depth=2
	s_or_b32 exec_lo, exec_lo, s19
	s_delay_alu instid0(SALU_CYCLE_1)
	s_and_b32 s18, s18, exec_lo
.LBB133_50:                             ;   in Loop: Header=BB133_42 Depth=2
	s_and_not1_saveexec_b32 s17, s17
	s_cbranch_execz .LBB133_41
; %bb.51:                               ;   in Loop: Header=BB133_42 Depth=2
	v_lshl_add_u32 v8, v12, 3, v17
	s_and_not1_b32 s18, s18, exec_lo
	ds_add_f32 v8, v10
	ds_add_f32 v8, v11 offset:4
	s_branch .LBB133_41
.LBB133_52:
	s_or_b32 exec_lo, exec_lo, s1
.LBB133_53:
	v_add_co_u32 v0, vcc_lo, s8, v4
	v_add_co_ci_u32_e32 v1, vcc_lo, s9, v5, vcc_lo
	s_waitcnt lgkmcnt(0)
	buffer_gl0_inv
	s_mov_b32 s0, 0
	global_load_b64 v[0:1], v[0:1], off
	s_waitcnt vmcnt(0)
	v_sub_co_u32 v2, vcc_lo, v0, s38
	v_subrev_co_ci_u32_e32 v3, vcc_lo, 0, v1, vcc_lo
	s_branch .LBB133_55
.LBB133_54:                             ;   in Loop: Header=BB133_55 Depth=1
	s_or_b32 exec_lo, exec_lo, s1
	v_add_co_u32 v15, s1, v15, 8
	s_delay_alu instid0(VALU_DEP_1) | instskip(SKIP_2) | instid1(SALU_CYCLE_1)
	s_xor_b32 s1, s1, -1
	v_add_nc_u32_e32 v14, 64, v14
	s_and_b32 s1, exec_lo, s1
	s_or_b32 s0, s1, s0
	s_delay_alu instid0(SALU_CYCLE_1)
	s_and_not1_b32 exec_lo, exec_lo, s0
	s_cbranch_execz .LBB133_57
.LBB133_55:                             ; =>This Inner Loop Header: Depth=1
	ds_load_b64 v[0:1], v14 offset:4096
	s_mov_b32 s1, exec_lo
	s_waitcnt lgkmcnt(0)
	v_cmpx_gt_i64_e64 s[2:3], v[0:1]
	s_cbranch_execz .LBB133_54
; %bb.56:                               ;   in Loop: Header=BB133_55 Depth=1
	ds_load_b128 v[4:7], v16
	ds_load_b128 v[8:11], v16 offset:16
	ds_load_b128 v[17:20], v16 offset:32
	;; [unrolled: 1-line block ×7, first 2 shown]
	s_waitcnt lgkmcnt(7)
	v_cmp_gt_i64_e32 vcc_lo, v[0:1], v[4:5]
	v_cndmask_b32_e64 v4, 0, 1, vcc_lo
	v_cmp_gt_i64_e32 vcc_lo, v[0:1], v[6:7]
	v_cndmask_b32_e64 v5, 0, 1, vcc_lo
	s_delay_alu instid0(VALU_DEP_3)
	v_add_co_u32 v4, vcc_lo, v2, v4
	v_add_co_ci_u32_e32 v6, vcc_lo, 0, v3, vcc_lo
	s_waitcnt lgkmcnt(6)
	v_cmp_gt_i64_e32 vcc_lo, v[0:1], v[8:9]
	v_cndmask_b32_e64 v7, 0, 1, vcc_lo
	v_add_co_u32 v4, vcc_lo, v4, v5
	v_add_co_ci_u32_e32 v5, vcc_lo, 0, v6, vcc_lo
	v_cmp_gt_i64_e32 vcc_lo, v[0:1], v[10:11]
	v_cndmask_b32_e64 v6, 0, 1, vcc_lo
	s_delay_alu instid0(VALU_DEP_4) | instskip(NEXT) | instid1(VALU_DEP_4)
	v_add_co_u32 v4, vcc_lo, v4, v7
	v_add_co_ci_u32_e32 v5, vcc_lo, 0, v5, vcc_lo
	s_waitcnt lgkmcnt(5)
	v_cmp_gt_i64_e32 vcc_lo, v[0:1], v[17:18]
	v_cndmask_b32_e64 v7, 0, 1, vcc_lo
	v_add_co_u32 v4, vcc_lo, v4, v6
	v_add_co_ci_u32_e32 v5, vcc_lo, 0, v5, vcc_lo
	v_cmp_gt_i64_e32 vcc_lo, v[0:1], v[19:20]
	v_cndmask_b32_e64 v6, 0, 1, vcc_lo
	s_delay_alu instid0(VALU_DEP_4) | instskip(NEXT) | instid1(VALU_DEP_4)
	;; [unrolled: 10-line block ×7, first 2 shown]
	v_add_co_u32 v4, vcc_lo, v4, v7
	v_add_co_ci_u32_e32 v5, vcc_lo, 0, v5, vcc_lo
	s_delay_alu instid0(VALU_DEP_2) | instskip(NEXT) | instid1(VALU_DEP_2)
	v_add_co_u32 v4, vcc_lo, v4, v6
	v_add_co_ci_u32_e32 v5, vcc_lo, 0, v5, vcc_lo
	ds_load_b64 v[6:7], v14
	v_add_co_u32 v0, vcc_lo, v0, s38
	v_lshlrev_b64 v[4:5], 3, v[4:5]
	v_add_co_ci_u32_e32 v1, vcc_lo, 0, v1, vcc_lo
	s_delay_alu instid0(VALU_DEP_2) | instskip(NEXT) | instid1(VALU_DEP_3)
	v_add_co_u32 v8, vcc_lo, s10, v4
	v_add_co_ci_u32_e32 v9, vcc_lo, s11, v5, vcc_lo
	v_add_co_u32 v4, vcc_lo, s12, v4
	v_add_co_ci_u32_e32 v5, vcc_lo, s13, v5, vcc_lo
	global_store_b64 v[8:9], v[0:1], off
	s_waitcnt lgkmcnt(0)
	global_store_b64 v[4:5], v[6:7], off
	s_branch .LBB133_54
.LBB133_57:
	s_nop 0
	s_sendmsg sendmsg(MSG_DEALLOC_VGPRS)
	s_endpgm
	.section	.rodata,"a",@progbits
	.p2align	6, 0x0
	.amdhsa_kernel _ZN9rocsparseL23csrgemm_fill_wf_per_rowILj256ELj8ELj16ELj137Ell21rocsparse_complex_numIfEEEvT4_S3_PKS3_S5_NS_24const_host_device_scalarIT5_EEPKT3_S5_PKS7_SB_S5_SD_S8_SB_S5_SD_SB_PS3_PS7_21rocsparse_index_base_SG_SG_SG_bbb
		.amdhsa_group_segment_fixed_size 8192
		.amdhsa_private_segment_fixed_size 0
		.amdhsa_kernarg_size 164
		.amdhsa_user_sgpr_count 15
		.amdhsa_user_sgpr_dispatch_ptr 0
		.amdhsa_user_sgpr_queue_ptr 0
		.amdhsa_user_sgpr_kernarg_segment_ptr 1
		.amdhsa_user_sgpr_dispatch_id 0
		.amdhsa_user_sgpr_private_segment_size 0
		.amdhsa_wavefront_size32 1
		.amdhsa_uses_dynamic_stack 0
		.amdhsa_enable_private_segment 0
		.amdhsa_system_sgpr_workgroup_id_x 1
		.amdhsa_system_sgpr_workgroup_id_y 0
		.amdhsa_system_sgpr_workgroup_id_z 0
		.amdhsa_system_sgpr_workgroup_info 0
		.amdhsa_system_vgpr_workitem_id 0
		.amdhsa_next_free_vgpr 41
		.amdhsa_next_free_sgpr 46
		.amdhsa_reserve_vcc 1
		.amdhsa_float_round_mode_32 0
		.amdhsa_float_round_mode_16_64 0
		.amdhsa_float_denorm_mode_32 3
		.amdhsa_float_denorm_mode_16_64 3
		.amdhsa_dx10_clamp 1
		.amdhsa_ieee_mode 1
		.amdhsa_fp16_overflow 0
		.amdhsa_workgroup_processor_mode 1
		.amdhsa_memory_ordered 1
		.amdhsa_forward_progress 0
		.amdhsa_shared_vgpr_count 0
		.amdhsa_exception_fp_ieee_invalid_op 0
		.amdhsa_exception_fp_denorm_src 0
		.amdhsa_exception_fp_ieee_div_zero 0
		.amdhsa_exception_fp_ieee_overflow 0
		.amdhsa_exception_fp_ieee_underflow 0
		.amdhsa_exception_fp_ieee_inexact 0
		.amdhsa_exception_int_div_zero 0
	.end_amdhsa_kernel
	.section	.text._ZN9rocsparseL23csrgemm_fill_wf_per_rowILj256ELj8ELj16ELj137Ell21rocsparse_complex_numIfEEEvT4_S3_PKS3_S5_NS_24const_host_device_scalarIT5_EEPKT3_S5_PKS7_SB_S5_SD_S8_SB_S5_SD_SB_PS3_PS7_21rocsparse_index_base_SG_SG_SG_bbb,"axG",@progbits,_ZN9rocsparseL23csrgemm_fill_wf_per_rowILj256ELj8ELj16ELj137Ell21rocsparse_complex_numIfEEEvT4_S3_PKS3_S5_NS_24const_host_device_scalarIT5_EEPKT3_S5_PKS7_SB_S5_SD_S8_SB_S5_SD_SB_PS3_PS7_21rocsparse_index_base_SG_SG_SG_bbb,comdat
.Lfunc_end133:
	.size	_ZN9rocsparseL23csrgemm_fill_wf_per_rowILj256ELj8ELj16ELj137Ell21rocsparse_complex_numIfEEEvT4_S3_PKS3_S5_NS_24const_host_device_scalarIT5_EEPKT3_S5_PKS7_SB_S5_SD_S8_SB_S5_SD_SB_PS3_PS7_21rocsparse_index_base_SG_SG_SG_bbb, .Lfunc_end133-_ZN9rocsparseL23csrgemm_fill_wf_per_rowILj256ELj8ELj16ELj137Ell21rocsparse_complex_numIfEEEvT4_S3_PKS3_S5_NS_24const_host_device_scalarIT5_EEPKT3_S5_PKS7_SB_S5_SD_S8_SB_S5_SD_SB_PS3_PS7_21rocsparse_index_base_SG_SG_SG_bbb
                                        ; -- End function
	.section	.AMDGPU.csdata,"",@progbits
; Kernel info:
; codeLenInByte = 2492
; NumSgprs: 48
; NumVgprs: 41
; ScratchSize: 0
; MemoryBound: 0
; FloatMode: 240
; IeeeMode: 1
; LDSByteSize: 8192 bytes/workgroup (compile time only)
; SGPRBlocks: 5
; VGPRBlocks: 5
; NumSGPRsForWavesPerEU: 48
; NumVGPRsForWavesPerEU: 41
; Occupancy: 16
; WaveLimiterHint : 1
; COMPUTE_PGM_RSRC2:SCRATCH_EN: 0
; COMPUTE_PGM_RSRC2:USER_SGPR: 15
; COMPUTE_PGM_RSRC2:TRAP_HANDLER: 0
; COMPUTE_PGM_RSRC2:TGID_X_EN: 1
; COMPUTE_PGM_RSRC2:TGID_Y_EN: 0
; COMPUTE_PGM_RSRC2:TGID_Z_EN: 0
; COMPUTE_PGM_RSRC2:TIDIG_COMP_CNT: 0
	.section	.text._ZN9rocsparseL23csrgemm_fill_wf_per_rowILj256ELj16ELj32ELj137Ell21rocsparse_complex_numIfEEEvT4_S3_PKS3_S5_NS_24const_host_device_scalarIT5_EEPKT3_S5_PKS7_SB_S5_SD_S8_SB_S5_SD_SB_PS3_PS7_21rocsparse_index_base_SG_SG_SG_bbb,"axG",@progbits,_ZN9rocsparseL23csrgemm_fill_wf_per_rowILj256ELj16ELj32ELj137Ell21rocsparse_complex_numIfEEEvT4_S3_PKS3_S5_NS_24const_host_device_scalarIT5_EEPKT3_S5_PKS7_SB_S5_SD_S8_SB_S5_SD_SB_PS3_PS7_21rocsparse_index_base_SG_SG_SG_bbb,comdat
	.globl	_ZN9rocsparseL23csrgemm_fill_wf_per_rowILj256ELj16ELj32ELj137Ell21rocsparse_complex_numIfEEEvT4_S3_PKS3_S5_NS_24const_host_device_scalarIT5_EEPKT3_S5_PKS7_SB_S5_SD_S8_SB_S5_SD_SB_PS3_PS7_21rocsparse_index_base_SG_SG_SG_bbb ; -- Begin function _ZN9rocsparseL23csrgemm_fill_wf_per_rowILj256ELj16ELj32ELj137Ell21rocsparse_complex_numIfEEEvT4_S3_PKS3_S5_NS_24const_host_device_scalarIT5_EEPKT3_S5_PKS7_SB_S5_SD_S8_SB_S5_SD_SB_PS3_PS7_21rocsparse_index_base_SG_SG_SG_bbb
	.p2align	8
	.type	_ZN9rocsparseL23csrgemm_fill_wf_per_rowILj256ELj16ELj32ELj137Ell21rocsparse_complex_numIfEEEvT4_S3_PKS3_S5_NS_24const_host_device_scalarIT5_EEPKT3_S5_PKS7_SB_S5_SD_S8_SB_S5_SD_SB_PS3_PS7_21rocsparse_index_base_SG_SG_SG_bbb,@function
_ZN9rocsparseL23csrgemm_fill_wf_per_rowILj256ELj16ELj32ELj137Ell21rocsparse_complex_numIfEEEvT4_S3_PKS3_S5_NS_24const_host_device_scalarIT5_EEPKT3_S5_PKS7_SB_S5_SD_S8_SB_S5_SD_SB_PS3_PS7_21rocsparse_index_base_SG_SG_SG_bbb: ; @_ZN9rocsparseL23csrgemm_fill_wf_per_rowILj256ELj16ELj32ELj137Ell21rocsparse_complex_numIfEEEvT4_S3_PKS3_S5_NS_24const_host_device_scalarIT5_EEPKT3_S5_PKS7_SB_S5_SD_S8_SB_S5_SD_SB_PS3_PS7_21rocsparse_index_base_SG_SG_SG_bbb
; %bb.0:
	s_clause 0x6
	s_load_b32 s2, s[0:1], 0xa0
	s_load_b256 s[4:11], s[0:1], 0x68
	s_load_b256 s[16:23], s[0:1], 0x48
	s_load_b128 s[40:43], s[0:1], 0x10
	s_load_b256 s[24:31], s[0:1], 0x28
	s_load_b64 s[12:13], s[0:1], 0x88
	s_load_b128 s[36:39], s[0:1], 0x90
	s_mov_b32 s35, 0
	s_mov_b32 s44, 0
	s_waitcnt lgkmcnt(0)
	s_bitcmp1_b32 s2, 0
	s_cselect_b32 s45, -1, 0
	s_bitcmp1_b32 s2, 16
	s_cselect_b32 s3, -1, 0
	s_delay_alu instid0(SALU_CYCLE_1) | instskip(SKIP_2) | instid1(VALU_DEP_1)
	s_xor_b32 s3, s3, -1
	s_bitcmp0_b32 s2, 0
	v_cndmask_b32_e64 v1, 0, 1, s3
	v_cmp_ne_u32_e32 vcc_lo, 1, v1
	s_cbranch_scc1 .LBB134_5
; %bb.1:
	s_load_b64 s[34:35], s[0:1], 0x20
	s_and_b32 vcc_lo, exec_lo, vcc_lo
	s_waitcnt lgkmcnt(0)
	s_mov_b32 s44, s34
	s_cbranch_vccnz .LBB134_3
; %bb.2:
	s_load_b32 s44, s[34:35], 0x0
.LBB134_3:
	s_and_not1_b32 vcc_lo, exec_lo, s3
	s_cbranch_vccnz .LBB134_5
; %bb.4:
	s_load_b32 s35, s[34:35], 0x4
.LBB134_5:
	s_bitcmp1_b32 s2, 8
	s_mov_b32 s33, 0
	s_cselect_b32 s34, -1, 0
	s_bfe_u32 s2, s2, 0x10008
	s_mov_b32 s14, 0
	s_cmp_eq_u32 s2, 0
	s_cbranch_scc1 .LBB134_11
; %bb.6:
	v_cmp_ne_u32_e32 vcc_lo, 1, v1
	s_mov_b32 s14, s20
	s_cbranch_vccnz .LBB134_8
; %bb.7:
	s_load_b32 s14, s[20:21], 0x0
.LBB134_8:
	v_cmp_ne_u32_e32 vcc_lo, 1, v1
	s_cbranch_vccnz .LBB134_10
; %bb.9:
	s_load_b32 s21, s[20:21], 0x4
.LBB134_10:
	s_waitcnt lgkmcnt(0)
	s_mov_b32 s33, s21
.LBB134_11:
	s_load_b128 s[0:3], s[0:1], 0x0
	v_and_b32_e32 v18, 15, v0
	v_lshrrev_b32_e32 v4, 4, v0
	s_mov_b32 s20, 0
	s_delay_alu instid0(VALU_DEP_2) | instskip(NEXT) | instid1(VALU_DEP_1)
	v_dual_mov_b32 v0, 0 :: v_dual_lshlrev_b32 v1, 3, v18
	v_lshl_or_b32 v14, v4, 8, v1
	s_delay_alu instid0(VALU_DEP_2) | instskip(SKIP_1) | instid1(VALU_DEP_1)
	v_mov_b32_e32 v1, v0
	v_or_b32_e32 v15, -16, v18
	v_dual_mov_b32 v5, v14 :: v_dual_mov_b32 v6, v15
	s_waitcnt lgkmcnt(0)
	v_dual_mov_b32 v2, s2 :: v_dual_mov_b32 v3, s3
.LBB134_12:                             ; =>This Inner Loop Header: Depth=1
	s_delay_alu instid0(VALU_DEP_2) | instskip(NEXT) | instid1(VALU_DEP_1)
	v_add_co_u32 v6, s21, v6, 16
	s_xor_b32 s21, s21, -1
	ds_store_2addr_stride64_b64 v5, v[0:1], v[2:3] offset1:8
	v_add_nc_u32_e32 v5, 0x80, v5
	s_and_b32 s21, exec_lo, s21
	s_delay_alu instid0(SALU_CYCLE_1) | instskip(NEXT) | instid1(SALU_CYCLE_1)
	s_or_b32 s20, s21, s20
	s_and_not1_b32 exec_lo, exec_lo, s20
	s_cbranch_execnz .LBB134_12
; %bb.13:
	s_or_b32 exec_lo, exec_lo, s20
	s_lshl_b32 s15, s15, 4
	v_mov_b32_e32 v1, 0
	v_and_or_b32 v0, 0xffffff0, s15, v4
	s_waitcnt lgkmcnt(0)
	buffer_gl0_inv
	v_cmp_gt_i64_e32 vcc_lo, s[0:1], v[0:1]
	s_and_saveexec_b32 s0, vcc_lo
	s_cbranch_execz .LBB134_57
; %bb.14:
	s_cmp_eq_u64 s[42:43], 0
	s_cbranch_scc1 .LBB134_16
; %bb.15:
	s_load_b64 s[0:1], s[40:41], 0x0
	v_lshlrev_b32_e32 v0, 3, v0
	s_waitcnt lgkmcnt(0)
	s_lshl_b64 s[0:1], s[0:1], 3
	s_delay_alu instid0(SALU_CYCLE_1)
	s_add_u32 s0, s42, s0
	s_addc_u32 s1, s43, s1
	global_load_b64 v[0:1], v0, s[0:1]
.LBB134_16:
	v_lshlrev_b32_e32 v17, 8, v4
	s_waitcnt vmcnt(0)
	v_lshlrev_b64 v[4:5], 3, v[0:1]
	s_and_not1_b32 vcc_lo, exec_lo, s45
	s_delay_alu instid0(VALU_DEP_2)
	v_or_b32_e32 v16, 0x1000, v17
	s_cbranch_vccnz .LBB134_36
; %bb.17:
	s_delay_alu instid0(VALU_DEP_2) | instskip(NEXT) | instid1(VALU_DEP_3)
	v_add_co_u32 v0, vcc_lo, s24, v4
	v_add_co_ci_u32_e32 v1, vcc_lo, s25, v5, vcc_lo
	v_sub_co_u32 v8, s0, v18, s36
	s_delay_alu instid0(VALU_DEP_1)
	v_sub_co_ci_u32_e64 v9, null, 0, 0, s0
	global_load_b128 v[0:3], v[0:1], off
	s_mov_b32 s1, 0
	s_mov_b32 s0, exec_lo
	s_waitcnt vmcnt(0)
	v_sub_co_u32 v6, vcc_lo, v2, s36
	v_subrev_co_ci_u32_e32 v7, vcc_lo, 0, v3, vcc_lo
	v_add_co_u32 v8, vcc_lo, v0, v8
	v_add_co_ci_u32_e32 v9, vcc_lo, v1, v9, vcc_lo
	s_delay_alu instid0(VALU_DEP_1)
	v_cmpx_lt_i64_e64 v[8:9], v[6:7]
	s_cbranch_execz .LBB134_35
; %bb.18:
	s_mov_b32 s15, s37
	s_branch .LBB134_20
.LBB134_19:                             ;   in Loop: Header=BB134_20 Depth=1
	s_or_b32 exec_lo, exec_lo, s20
	v_add_co_u32 v8, vcc_lo, v8, 16
	v_add_co_ci_u32_e32 v9, vcc_lo, 0, v9, vcc_lo
	s_delay_alu instid0(VALU_DEP_1) | instskip(SKIP_1) | instid1(SALU_CYCLE_1)
	v_cmp_ge_i64_e32 vcc_lo, v[8:9], v[6:7]
	s_or_b32 s1, vcc_lo, s1
	s_and_not1_b32 exec_lo, exec_lo, s1
	s_cbranch_execz .LBB134_35
.LBB134_20:                             ; =>This Loop Header: Depth=1
                                        ;     Child Loop BB134_23 Depth 2
                                        ;       Child Loop BB134_25 Depth 3
	v_lshlrev_b64 v[10:11], 3, v[8:9]
	s_mov_b32 s20, exec_lo
	s_delay_alu instid0(VALU_DEP_1) | instskip(NEXT) | instid1(VALU_DEP_2)
	v_add_co_u32 v0, vcc_lo, s26, v10
	v_add_co_ci_u32_e32 v1, vcc_lo, s27, v11, vcc_lo
	global_load_b64 v[0:1], v[0:1], off
	s_waitcnt vmcnt(0)
	v_sub_co_u32 v0, vcc_lo, v0, s36
	v_subrev_co_ci_u32_e32 v1, vcc_lo, 0, v1, vcc_lo
	s_delay_alu instid0(VALU_DEP_1) | instskip(NEXT) | instid1(VALU_DEP_1)
	v_lshlrev_b64 v[0:1], 3, v[0:1]
	v_add_co_u32 v0, vcc_lo, s30, v0
	s_delay_alu instid0(VALU_DEP_2)
	v_add_co_ci_u32_e32 v1, vcc_lo, s31, v1, vcc_lo
	global_load_b128 v[0:3], v[0:1], off
	s_waitcnt vmcnt(0)
	v_cmpx_lt_i64_e64 v[0:1], v[2:3]
	s_cbranch_execz .LBB134_19
; %bb.21:                               ;   in Loop: Header=BB134_20 Depth=1
	v_add_co_u32 v10, vcc_lo, s28, v10
	v_add_co_ci_u32_e32 v11, vcc_lo, s29, v11, vcc_lo
	v_sub_co_u32 v2, vcc_lo, v2, s15
	v_subrev_co_ci_u32_e32 v3, vcc_lo, 0, v3, vcc_lo
	global_load_b64 v[10:11], v[10:11], off
	v_sub_co_u32 v0, vcc_lo, v0, s15
	v_subrev_co_ci_u32_e32 v1, vcc_lo, 0, v1, vcc_lo
	s_mov_b32 s21, 0
	s_waitcnt vmcnt(0)
	v_mul_f32_e64 v19, v11, -s35
	s_delay_alu instid0(VALU_DEP_1) | instskip(NEXT) | instid1(VALU_DEP_1)
	v_dual_mul_f32 v20, s44, v11 :: v_dual_fmac_f32 v19, s44, v10
	v_fmac_f32_e32 v20, s35, v10
	s_branch .LBB134_23
.LBB134_22:                             ;   in Loop: Header=BB134_23 Depth=2
	s_or_b32 exec_lo, exec_lo, s24
	v_add_co_u32 v0, vcc_lo, v0, 1
	v_add_co_ci_u32_e32 v1, vcc_lo, 0, v1, vcc_lo
	s_delay_alu instid0(VALU_DEP_1) | instskip(SKIP_1) | instid1(SALU_CYCLE_1)
	v_cmp_ge_i64_e32 vcc_lo, v[0:1], v[2:3]
	s_or_b32 s21, vcc_lo, s21
	s_and_not1_b32 exec_lo, exec_lo, s21
	s_cbranch_execz .LBB134_19
.LBB134_23:                             ;   Parent Loop BB134_20 Depth=1
                                        ; =>  This Loop Header: Depth=2
                                        ;       Child Loop BB134_25 Depth 3
	v_lshlrev_b64 v[10:11], 3, v[0:1]
	s_mov_b32 s24, 0
	s_delay_alu instid0(VALU_DEP_1) | instskip(NEXT) | instid1(VALU_DEP_2)
	v_add_co_u32 v12, vcc_lo, s16, v10
	v_add_co_ci_u32_e32 v13, vcc_lo, s17, v11, vcc_lo
	v_add_co_u32 v10, vcc_lo, s18, v10
	v_add_co_ci_u32_e32 v11, vcc_lo, s19, v11, vcc_lo
	global_load_b64 v[12:13], v[12:13], off
	global_load_b64 v[23:24], v[10:11], off
	s_waitcnt vmcnt(1)
	v_sub_co_u32 v10, vcc_lo, v12, s15
	s_waitcnt vmcnt(0)
	v_mul_f32_e64 v21, v24, -v20
	v_mul_f32_e32 v22, v19, v24
	v_subrev_co_ci_u32_e32 v11, vcc_lo, 0, v13, vcc_lo
	v_lshl_add_u32 v12, v10, 3, v10
	s_delay_alu instid0(VALU_DEP_4) | instskip(NEXT) | instid1(VALU_DEP_2)
	v_fmac_f32_e32 v21, v19, v23
	v_dual_fmac_f32 v22, v20, v23 :: v_dual_and_b32 v23, 31, v12
	s_branch .LBB134_25
.LBB134_24:                             ;   in Loop: Header=BB134_25 Depth=3
	s_or_b32 exec_lo, exec_lo, s25
	s_xor_b32 s25, s37, -1
	s_delay_alu instid0(SALU_CYCLE_1) | instskip(NEXT) | instid1(SALU_CYCLE_1)
	s_and_b32 s25, exec_lo, s25
	s_or_b32 s24, s25, s24
	s_delay_alu instid0(SALU_CYCLE_1)
	s_and_not1_b32 exec_lo, exec_lo, s24
	s_cbranch_execz .LBB134_22
.LBB134_25:                             ;   Parent Loop BB134_20 Depth=1
                                        ;     Parent Loop BB134_23 Depth=2
                                        ; =>    This Inner Loop Header: Depth=3
	s_delay_alu instid0(VALU_DEP_1)
	v_lshl_add_u32 v24, v23, 3, v16
	s_mov_b32 s25, exec_lo
                                        ; implicit-def: $sgpr37
	ds_load_b64 v[12:13], v24
	s_waitcnt lgkmcnt(0)
	v_cmpx_ne_u64_e64 v[12:13], v[10:11]
	s_xor_b32 s25, exec_lo, s25
	s_cbranch_execz .LBB134_33
; %bb.26:                               ;   in Loop: Header=BB134_25 Depth=3
	s_mov_b32 s40, exec_lo
                                        ; implicit-def: $sgpr37
	v_cmpx_ne_u64_e64 s[2:3], v[12:13]
	s_xor_b32 s40, exec_lo, s40
; %bb.27:                               ;   in Loop: Header=BB134_25 Depth=3
	v_add_nc_u32_e32 v12, 1, v23
	s_mov_b32 s37, -1
                                        ; implicit-def: $vgpr24
	s_delay_alu instid0(VALU_DEP_1)
	v_and_b32_e32 v23, 31, v12
; %bb.28:                               ;   in Loop: Header=BB134_25 Depth=3
	s_and_not1_saveexec_b32 s40, s40
	s_cbranch_execz .LBB134_32
; %bb.29:                               ;   in Loop: Header=BB134_25 Depth=3
	v_dual_mov_b32 v13, s3 :: v_dual_mov_b32 v12, s2
	s_mov_b32 s41, -1
	s_mov_b32 s42, exec_lo
	ds_cmpstore_rtn_b64 v[12:13], v24, v[10:11], v[12:13]
	s_waitcnt lgkmcnt(0)
	v_cmpx_eq_u64_e64 s[2:3], v[12:13]
	s_cbranch_execz .LBB134_31
; %bb.30:                               ;   in Loop: Header=BB134_25 Depth=3
	v_lshl_add_u32 v12, v23, 3, v17
	s_xor_b32 s41, exec_lo, -1
	ds_add_f32 v12, v21
	ds_add_f32 v12, v22 offset:4
.LBB134_31:                             ;   in Loop: Header=BB134_25 Depth=3
	s_or_b32 exec_lo, exec_lo, s42
	s_delay_alu instid0(SALU_CYCLE_1) | instskip(SKIP_1) | instid1(SALU_CYCLE_1)
	s_and_not1_b32 s37, s37, exec_lo
	s_and_b32 s41, s41, exec_lo
	s_or_b32 s37, s37, s41
.LBB134_32:                             ;   in Loop: Header=BB134_25 Depth=3
	s_or_b32 exec_lo, exec_lo, s40
	s_delay_alu instid0(SALU_CYCLE_1)
	s_and_b32 s37, s37, exec_lo
.LBB134_33:                             ;   in Loop: Header=BB134_25 Depth=3
	s_and_not1_saveexec_b32 s25, s25
	s_cbranch_execz .LBB134_24
; %bb.34:                               ;   in Loop: Header=BB134_25 Depth=3
	v_lshl_add_u32 v12, v23, 3, v17
	s_and_not1_b32 s37, s37, exec_lo
	ds_add_f32 v12, v21
	ds_add_f32 v12, v22 offset:4
	s_branch .LBB134_24
.LBB134_35:
	s_or_b32 exec_lo, exec_lo, s0
.LBB134_36:
	s_delay_alu instid0(SALU_CYCLE_1)
	s_and_not1_b32 vcc_lo, exec_lo, s34
	s_cbranch_vccnz .LBB134_53
; %bb.37:
	v_add_co_u32 v0, vcc_lo, s22, v4
	v_add_co_ci_u32_e32 v1, vcc_lo, s23, v5, vcc_lo
	v_sub_co_u32 v2, s0, v18, s39
	s_delay_alu instid0(VALU_DEP_1)
	v_sub_co_ci_u32_e64 v3, null, 0, 0, s0
	global_load_b128 v[6:9], v[0:1], off
	s_mov_b32 s0, 0
	s_mov_b32 s1, exec_lo
	s_waitcnt vmcnt(0)
	v_sub_co_u32 v0, vcc_lo, v8, s39
	v_subrev_co_ci_u32_e32 v1, vcc_lo, 0, v9, vcc_lo
	v_add_co_u32 v2, vcc_lo, v6, v2
	v_add_co_ci_u32_e32 v3, vcc_lo, v7, v3, vcc_lo
	s_delay_alu instid0(VALU_DEP_1)
	v_cmpx_lt_i64_e64 v[2:3], v[0:1]
	s_cbranch_execz .LBB134_52
; %bb.38:
	s_mov_b32 s15, s39
	s_branch .LBB134_40
.LBB134_39:                             ;   in Loop: Header=BB134_40 Depth=1
	s_or_b32 exec_lo, exec_lo, s16
	v_add_co_u32 v2, vcc_lo, v2, 16
	v_add_co_ci_u32_e32 v3, vcc_lo, 0, v3, vcc_lo
	s_delay_alu instid0(VALU_DEP_1) | instskip(SKIP_1) | instid1(SALU_CYCLE_1)
	v_cmp_ge_i64_e32 vcc_lo, v[2:3], v[0:1]
	s_or_b32 s0, vcc_lo, s0
	s_and_not1_b32 exec_lo, exec_lo, s0
	s_cbranch_execz .LBB134_52
.LBB134_40:                             ; =>This Loop Header: Depth=1
                                        ;     Child Loop BB134_42 Depth 2
	v_lshlrev_b64 v[6:7], 3, v[2:3]
	s_mov_b32 s16, 0
	s_delay_alu instid0(VALU_DEP_1) | instskip(NEXT) | instid1(VALU_DEP_2)
	v_add_co_u32 v8, vcc_lo, s4, v6
	v_add_co_ci_u32_e32 v9, vcc_lo, s5, v7, vcc_lo
	v_add_co_u32 v6, vcc_lo, s6, v6
	v_add_co_ci_u32_e32 v7, vcc_lo, s7, v7, vcc_lo
	global_load_b64 v[8:9], v[8:9], off
	global_load_b64 v[12:13], v[6:7], off
	s_waitcnt vmcnt(1)
	v_sub_co_u32 v6, vcc_lo, v8, s15
	s_waitcnt vmcnt(0)
	v_mul_f32_e64 v10, v13, -s33
	v_mul_f32_e32 v11, s14, v13
	v_subrev_co_ci_u32_e32 v7, vcc_lo, 0, v9, vcc_lo
	v_lshl_add_u32 v8, v6, 3, v6
	s_delay_alu instid0(VALU_DEP_4) | instskip(NEXT) | instid1(VALU_DEP_4)
	v_fmac_f32_e32 v10, s14, v12
	v_fmac_f32_e32 v11, s33, v12
	s_delay_alu instid0(VALU_DEP_3)
	v_and_b32_e32 v12, 31, v8
	s_branch .LBB134_42
.LBB134_41:                             ;   in Loop: Header=BB134_42 Depth=2
	s_or_b32 exec_lo, exec_lo, s17
	s_xor_b32 s17, s18, -1
	s_delay_alu instid0(SALU_CYCLE_1) | instskip(NEXT) | instid1(SALU_CYCLE_1)
	s_and_b32 s17, exec_lo, s17
	s_or_b32 s16, s17, s16
	s_delay_alu instid0(SALU_CYCLE_1)
	s_and_not1_b32 exec_lo, exec_lo, s16
	s_cbranch_execz .LBB134_39
.LBB134_42:                             ;   Parent Loop BB134_40 Depth=1
                                        ; =>  This Inner Loop Header: Depth=2
	s_delay_alu instid0(VALU_DEP_1)
	v_lshl_add_u32 v13, v12, 3, v16
	s_mov_b32 s17, exec_lo
                                        ; implicit-def: $sgpr18
	ds_load_b64 v[8:9], v13
	s_waitcnt lgkmcnt(0)
	v_cmpx_ne_u64_e64 v[8:9], v[6:7]
	s_xor_b32 s17, exec_lo, s17
	s_cbranch_execz .LBB134_50
; %bb.43:                               ;   in Loop: Header=BB134_42 Depth=2
	s_mov_b32 s19, exec_lo
                                        ; implicit-def: $sgpr18
	v_cmpx_ne_u64_e64 s[2:3], v[8:9]
	s_xor_b32 s19, exec_lo, s19
; %bb.44:                               ;   in Loop: Header=BB134_42 Depth=2
	v_add_nc_u32_e32 v8, 1, v12
	s_mov_b32 s18, -1
                                        ; implicit-def: $vgpr13
	s_delay_alu instid0(VALU_DEP_1)
	v_and_b32_e32 v12, 31, v8
; %bb.45:                               ;   in Loop: Header=BB134_42 Depth=2
	s_and_not1_saveexec_b32 s19, s19
	s_cbranch_execz .LBB134_49
; %bb.46:                               ;   in Loop: Header=BB134_42 Depth=2
	v_dual_mov_b32 v9, s3 :: v_dual_mov_b32 v8, s2
	s_mov_b32 s20, -1
	s_mov_b32 s21, exec_lo
	ds_cmpstore_rtn_b64 v[8:9], v13, v[6:7], v[8:9]
	s_waitcnt lgkmcnt(0)
	v_cmpx_eq_u64_e64 s[2:3], v[8:9]
	s_cbranch_execz .LBB134_48
; %bb.47:                               ;   in Loop: Header=BB134_42 Depth=2
	v_lshl_add_u32 v8, v12, 3, v17
	s_xor_b32 s20, exec_lo, -1
	ds_add_f32 v8, v10
	ds_add_f32 v8, v11 offset:4
.LBB134_48:                             ;   in Loop: Header=BB134_42 Depth=2
	s_or_b32 exec_lo, exec_lo, s21
	s_delay_alu instid0(SALU_CYCLE_1) | instskip(SKIP_1) | instid1(SALU_CYCLE_1)
	s_and_not1_b32 s18, s18, exec_lo
	s_and_b32 s20, s20, exec_lo
	s_or_b32 s18, s18, s20
.LBB134_49:                             ;   in Loop: Header=BB134_42 Depth=2
	s_or_b32 exec_lo, exec_lo, s19
	s_delay_alu instid0(SALU_CYCLE_1)
	s_and_b32 s18, s18, exec_lo
.LBB134_50:                             ;   in Loop: Header=BB134_42 Depth=2
	s_and_not1_saveexec_b32 s17, s17
	s_cbranch_execz .LBB134_41
; %bb.51:                               ;   in Loop: Header=BB134_42 Depth=2
	v_lshl_add_u32 v8, v12, 3, v17
	s_and_not1_b32 s18, s18, exec_lo
	ds_add_f32 v8, v10
	ds_add_f32 v8, v11 offset:4
	s_branch .LBB134_41
.LBB134_52:
	s_or_b32 exec_lo, exec_lo, s1
.LBB134_53:
	v_add_co_u32 v0, vcc_lo, s8, v4
	v_add_co_ci_u32_e32 v1, vcc_lo, s9, v5, vcc_lo
	s_waitcnt lgkmcnt(0)
	buffer_gl0_inv
	s_mov_b32 s0, 0
	global_load_b64 v[0:1], v[0:1], off
	s_waitcnt vmcnt(0)
	v_sub_co_u32 v2, vcc_lo, v0, s38
	v_subrev_co_ci_u32_e32 v3, vcc_lo, 0, v1, vcc_lo
	s_branch .LBB134_55
.LBB134_54:                             ;   in Loop: Header=BB134_55 Depth=1
	s_or_b32 exec_lo, exec_lo, s1
	v_add_co_u32 v15, s1, v15, 16
	s_delay_alu instid0(VALU_DEP_1) | instskip(SKIP_2) | instid1(SALU_CYCLE_1)
	s_xor_b32 s1, s1, -1
	v_add_nc_u32_e32 v14, 0x80, v14
	s_and_b32 s1, exec_lo, s1
	s_or_b32 s0, s1, s0
	s_delay_alu instid0(SALU_CYCLE_1)
	s_and_not1_b32 exec_lo, exec_lo, s0
	s_cbranch_execz .LBB134_57
.LBB134_55:                             ; =>This Inner Loop Header: Depth=1
	ds_load_b64 v[0:1], v14 offset:4096
	s_mov_b32 s1, exec_lo
	s_waitcnt lgkmcnt(0)
	v_cmpx_gt_i64_e64 s[2:3], v[0:1]
	s_cbranch_execz .LBB134_54
; %bb.56:                               ;   in Loop: Header=BB134_55 Depth=1
	ds_load_b128 v[4:7], v16
	ds_load_b128 v[8:11], v16 offset:16
	ds_load_b128 v[17:20], v16 offset:32
	;; [unrolled: 1-line block ×7, first 2 shown]
	s_waitcnt lgkmcnt(7)
	v_cmp_gt_i64_e32 vcc_lo, v[0:1], v[4:5]
	v_cndmask_b32_e64 v4, 0, 1, vcc_lo
	v_cmp_gt_i64_e32 vcc_lo, v[0:1], v[6:7]
	v_cndmask_b32_e64 v5, 0, 1, vcc_lo
	s_delay_alu instid0(VALU_DEP_3)
	v_add_co_u32 v4, vcc_lo, v2, v4
	v_add_co_ci_u32_e32 v6, vcc_lo, 0, v3, vcc_lo
	s_waitcnt lgkmcnt(6)
	v_cmp_gt_i64_e32 vcc_lo, v[0:1], v[8:9]
	v_cndmask_b32_e64 v7, 0, 1, vcc_lo
	v_add_co_u32 v4, vcc_lo, v4, v5
	v_add_co_ci_u32_e32 v5, vcc_lo, 0, v6, vcc_lo
	v_cmp_gt_i64_e32 vcc_lo, v[0:1], v[10:11]
	v_cndmask_b32_e64 v6, 0, 1, vcc_lo
	s_delay_alu instid0(VALU_DEP_4) | instskip(NEXT) | instid1(VALU_DEP_4)
	v_add_co_u32 v4, vcc_lo, v4, v7
	v_add_co_ci_u32_e32 v5, vcc_lo, 0, v5, vcc_lo
	s_waitcnt lgkmcnt(5)
	v_cmp_gt_i64_e32 vcc_lo, v[0:1], v[17:18]
	v_cndmask_b32_e64 v7, 0, 1, vcc_lo
	v_add_co_u32 v4, vcc_lo, v4, v6
	v_add_co_ci_u32_e32 v5, vcc_lo, 0, v5, vcc_lo
	v_cmp_gt_i64_e32 vcc_lo, v[0:1], v[19:20]
	v_cndmask_b32_e64 v6, 0, 1, vcc_lo
	s_delay_alu instid0(VALU_DEP_4) | instskip(NEXT) | instid1(VALU_DEP_4)
	;; [unrolled: 10-line block ×5, first 2 shown]
	v_add_co_u32 v4, vcc_lo, v4, v7
	v_add_co_ci_u32_e32 v5, vcc_lo, 0, v5, vcc_lo
	s_delay_alu instid0(VALU_DEP_2) | instskip(NEXT) | instid1(VALU_DEP_2)
	v_add_co_u32 v8, vcc_lo, v4, v6
	v_add_co_ci_u32_e32 v9, vcc_lo, 0, v5, vcc_lo
	s_waitcnt lgkmcnt(1)
	v_cmp_gt_i64_e32 vcc_lo, v[0:1], v[33:34]
	ds_load_b128 v[4:7], v16 offset:128
	v_cndmask_b32_e64 v10, 0, 1, vcc_lo
	v_cmp_gt_i64_e32 vcc_lo, v[0:1], v[35:36]
	v_cndmask_b32_e64 v11, 0, 1, vcc_lo
	s_delay_alu instid0(VALU_DEP_3) | instskip(SKIP_1) | instid1(VALU_DEP_2)
	v_add_co_u32 v8, vcc_lo, v8, v10
	v_add_co_ci_u32_e32 v9, vcc_lo, 0, v9, vcc_lo
	v_add_co_u32 v12, vcc_lo, v8, v11
	s_delay_alu instid0(VALU_DEP_2)
	v_add_co_ci_u32_e32 v13, vcc_lo, 0, v9, vcc_lo
	ds_load_b128 v[8:11], v16 offset:144
	s_waitcnt lgkmcnt(2)
	v_cmp_gt_i64_e32 vcc_lo, v[0:1], v[37:38]
	v_cndmask_b32_e64 v17, 0, 1, vcc_lo
	v_cmp_gt_i64_e32 vcc_lo, v[0:1], v[39:40]
	v_cndmask_b32_e64 v18, 0, 1, vcc_lo
	s_delay_alu instid0(VALU_DEP_3) | instskip(SKIP_1) | instid1(VALU_DEP_2)
	v_add_co_u32 v12, vcc_lo, v12, v17
	v_add_co_ci_u32_e32 v13, vcc_lo, 0, v13, vcc_lo
	v_add_co_u32 v12, vcc_lo, v12, v18
	s_delay_alu instid0(VALU_DEP_2)
	v_add_co_ci_u32_e32 v13, vcc_lo, 0, v13, vcc_lo
	s_waitcnt lgkmcnt(1)
	v_cmp_gt_i64_e32 vcc_lo, v[0:1], v[4:5]
	v_cndmask_b32_e64 v17, 0, 1, vcc_lo
	v_cmp_gt_i64_e32 vcc_lo, v[0:1], v[6:7]
	ds_load_b128 v[4:7], v16 offset:160
	v_cndmask_b32_e64 v18, 0, 1, vcc_lo
	v_add_co_u32 v12, vcc_lo, v12, v17
	v_add_co_ci_u32_e32 v13, vcc_lo, 0, v13, vcc_lo
	s_waitcnt lgkmcnt(1)
	v_cmp_gt_i64_e32 vcc_lo, v[0:1], v[8:9]
	v_cndmask_b32_e64 v8, 0, 1, vcc_lo
	v_add_co_u32 v9, vcc_lo, v12, v18
	v_add_co_ci_u32_e32 v12, vcc_lo, 0, v13, vcc_lo
	v_cmp_gt_i64_e32 vcc_lo, v[0:1], v[10:11]
	v_cndmask_b32_e64 v13, 0, 1, vcc_lo
	s_delay_alu instid0(VALU_DEP_4)
	v_add_co_u32 v17, vcc_lo, v9, v8
	ds_load_b128 v[8:11], v16 offset:176
	v_add_co_ci_u32_e32 v12, vcc_lo, 0, v12, vcc_lo
	v_add_co_u32 v13, vcc_lo, v17, v13
	ds_load_b128 v[17:20], v16 offset:192
	v_add_co_ci_u32_e32 v12, vcc_lo, 0, v12, vcc_lo
	s_waitcnt lgkmcnt(2)
	v_cmp_gt_i64_e32 vcc_lo, v[0:1], v[4:5]
	v_cndmask_b32_e64 v4, 0, 1, vcc_lo
	v_cmp_gt_i64_e32 vcc_lo, v[0:1], v[6:7]
	v_cndmask_b32_e64 v5, 0, 1, vcc_lo
	s_delay_alu instid0(VALU_DEP_3) | instskip(SKIP_1) | instid1(VALU_DEP_2)
	v_add_co_u32 v4, vcc_lo, v13, v4
	v_add_co_ci_u32_e32 v6, vcc_lo, 0, v12, vcc_lo
	v_add_co_u32 v12, vcc_lo, v4, v5
	s_delay_alu instid0(VALU_DEP_2)
	v_add_co_ci_u32_e32 v13, vcc_lo, 0, v6, vcc_lo
	ds_load_b128 v[4:7], v16 offset:208
	s_waitcnt lgkmcnt(2)
	v_cmp_gt_i64_e32 vcc_lo, v[0:1], v[8:9]
	v_cndmask_b32_e64 v8, 0, 1, vcc_lo
	v_cmp_gt_i64_e32 vcc_lo, v[0:1], v[10:11]
	v_cndmask_b32_e64 v9, 0, 1, vcc_lo
	s_delay_alu instid0(VALU_DEP_3)
	v_add_co_u32 v8, vcc_lo, v12, v8
	v_add_co_ci_u32_e32 v10, vcc_lo, 0, v13, vcc_lo
	s_waitcnt lgkmcnt(1)
	v_cmp_gt_i64_e32 vcc_lo, v[0:1], v[17:18]
	v_cndmask_b32_e64 v12, 0, 1, vcc_lo
	v_add_co_u32 v13, vcc_lo, v8, v9
	v_add_co_ci_u32_e32 v17, vcc_lo, 0, v10, vcc_lo
	ds_load_b128 v[8:11], v16 offset:224
	v_add_co_u32 v12, vcc_lo, v13, v12
	v_add_co_ci_u32_e32 v13, vcc_lo, 0, v17, vcc_lo
	v_cmp_gt_i64_e32 vcc_lo, v[0:1], v[19:20]
	ds_load_b128 v[17:20], v16 offset:240
	v_cndmask_b32_e64 v21, 0, 1, vcc_lo
	s_waitcnt lgkmcnt(2)
	v_cmp_gt_i64_e32 vcc_lo, v[0:1], v[4:5]
	v_cndmask_b32_e64 v4, 0, 1, vcc_lo
	s_delay_alu instid0(VALU_DEP_3) | instskip(SKIP_3) | instid1(VALU_DEP_4)
	v_add_co_u32 v5, vcc_lo, v12, v21
	v_add_co_ci_u32_e32 v12, vcc_lo, 0, v13, vcc_lo
	v_cmp_gt_i64_e32 vcc_lo, v[0:1], v[6:7]
	v_cndmask_b32_e64 v6, 0, 1, vcc_lo
	v_add_co_u32 v4, vcc_lo, v5, v4
	s_delay_alu instid0(VALU_DEP_4)
	v_add_co_ci_u32_e32 v5, vcc_lo, 0, v12, vcc_lo
	s_waitcnt lgkmcnt(1)
	v_cmp_gt_i64_e32 vcc_lo, v[0:1], v[8:9]
	v_cndmask_b32_e64 v7, 0, 1, vcc_lo
	v_add_co_u32 v4, vcc_lo, v4, v6
	v_add_co_ci_u32_e32 v5, vcc_lo, 0, v5, vcc_lo
	v_cmp_gt_i64_e32 vcc_lo, v[0:1], v[10:11]
	v_cndmask_b32_e64 v6, 0, 1, vcc_lo
	s_delay_alu instid0(VALU_DEP_4) | instskip(NEXT) | instid1(VALU_DEP_4)
	v_add_co_u32 v4, vcc_lo, v4, v7
	v_add_co_ci_u32_e32 v5, vcc_lo, 0, v5, vcc_lo
	s_waitcnt lgkmcnt(0)
	v_cmp_gt_i64_e32 vcc_lo, v[0:1], v[17:18]
	v_cndmask_b32_e64 v7, 0, 1, vcc_lo
	v_add_co_u32 v4, vcc_lo, v4, v6
	v_add_co_ci_u32_e32 v5, vcc_lo, 0, v5, vcc_lo
	v_cmp_gt_i64_e32 vcc_lo, v[0:1], v[19:20]
	v_cndmask_b32_e64 v6, 0, 1, vcc_lo
	s_delay_alu instid0(VALU_DEP_4) | instskip(NEXT) | instid1(VALU_DEP_4)
	v_add_co_u32 v4, vcc_lo, v4, v7
	v_add_co_ci_u32_e32 v5, vcc_lo, 0, v5, vcc_lo
	s_delay_alu instid0(VALU_DEP_2) | instskip(NEXT) | instid1(VALU_DEP_2)
	v_add_co_u32 v4, vcc_lo, v4, v6
	v_add_co_ci_u32_e32 v5, vcc_lo, 0, v5, vcc_lo
	ds_load_b64 v[6:7], v14
	v_add_co_u32 v0, vcc_lo, v0, s38
	v_lshlrev_b64 v[4:5], 3, v[4:5]
	v_add_co_ci_u32_e32 v1, vcc_lo, 0, v1, vcc_lo
	s_delay_alu instid0(VALU_DEP_2) | instskip(NEXT) | instid1(VALU_DEP_3)
	v_add_co_u32 v8, vcc_lo, s10, v4
	v_add_co_ci_u32_e32 v9, vcc_lo, s11, v5, vcc_lo
	v_add_co_u32 v4, vcc_lo, s12, v4
	v_add_co_ci_u32_e32 v5, vcc_lo, s13, v5, vcc_lo
	global_store_b64 v[8:9], v[0:1], off
	s_waitcnt lgkmcnt(0)
	global_store_b64 v[4:5], v[6:7], off
	s_branch .LBB134_54
.LBB134_57:
	s_nop 0
	s_sendmsg sendmsg(MSG_DEALLOC_VGPRS)
	s_endpgm
	.section	.rodata,"a",@progbits
	.p2align	6, 0x0
	.amdhsa_kernel _ZN9rocsparseL23csrgemm_fill_wf_per_rowILj256ELj16ELj32ELj137Ell21rocsparse_complex_numIfEEEvT4_S3_PKS3_S5_NS_24const_host_device_scalarIT5_EEPKT3_S5_PKS7_SB_S5_SD_S8_SB_S5_SD_SB_PS3_PS7_21rocsparse_index_base_SG_SG_SG_bbb
		.amdhsa_group_segment_fixed_size 8192
		.amdhsa_private_segment_fixed_size 0
		.amdhsa_kernarg_size 164
		.amdhsa_user_sgpr_count 15
		.amdhsa_user_sgpr_dispatch_ptr 0
		.amdhsa_user_sgpr_queue_ptr 0
		.amdhsa_user_sgpr_kernarg_segment_ptr 1
		.amdhsa_user_sgpr_dispatch_id 0
		.amdhsa_user_sgpr_private_segment_size 0
		.amdhsa_wavefront_size32 1
		.amdhsa_uses_dynamic_stack 0
		.amdhsa_enable_private_segment 0
		.amdhsa_system_sgpr_workgroup_id_x 1
		.amdhsa_system_sgpr_workgroup_id_y 0
		.amdhsa_system_sgpr_workgroup_id_z 0
		.amdhsa_system_sgpr_workgroup_info 0
		.amdhsa_system_vgpr_workitem_id 0
		.amdhsa_next_free_vgpr 41
		.amdhsa_next_free_sgpr 46
		.amdhsa_reserve_vcc 1
		.amdhsa_float_round_mode_32 0
		.amdhsa_float_round_mode_16_64 0
		.amdhsa_float_denorm_mode_32 3
		.amdhsa_float_denorm_mode_16_64 3
		.amdhsa_dx10_clamp 1
		.amdhsa_ieee_mode 1
		.amdhsa_fp16_overflow 0
		.amdhsa_workgroup_processor_mode 1
		.amdhsa_memory_ordered 1
		.amdhsa_forward_progress 0
		.amdhsa_shared_vgpr_count 0
		.amdhsa_exception_fp_ieee_invalid_op 0
		.amdhsa_exception_fp_denorm_src 0
		.amdhsa_exception_fp_ieee_div_zero 0
		.amdhsa_exception_fp_ieee_overflow 0
		.amdhsa_exception_fp_ieee_underflow 0
		.amdhsa_exception_fp_ieee_inexact 0
		.amdhsa_exception_int_div_zero 0
	.end_amdhsa_kernel
	.section	.text._ZN9rocsparseL23csrgemm_fill_wf_per_rowILj256ELj16ELj32ELj137Ell21rocsparse_complex_numIfEEEvT4_S3_PKS3_S5_NS_24const_host_device_scalarIT5_EEPKT3_S5_PKS7_SB_S5_SD_S8_SB_S5_SD_SB_PS3_PS7_21rocsparse_index_base_SG_SG_SG_bbb,"axG",@progbits,_ZN9rocsparseL23csrgemm_fill_wf_per_rowILj256ELj16ELj32ELj137Ell21rocsparse_complex_numIfEEEvT4_S3_PKS3_S5_NS_24const_host_device_scalarIT5_EEPKT3_S5_PKS7_SB_S5_SD_S8_SB_S5_SD_SB_PS3_PS7_21rocsparse_index_base_SG_SG_SG_bbb,comdat
.Lfunc_end134:
	.size	_ZN9rocsparseL23csrgemm_fill_wf_per_rowILj256ELj16ELj32ELj137Ell21rocsparse_complex_numIfEEEvT4_S3_PKS3_S5_NS_24const_host_device_scalarIT5_EEPKT3_S5_PKS7_SB_S5_SD_S8_SB_S5_SD_SB_PS3_PS7_21rocsparse_index_base_SG_SG_SG_bbb, .Lfunc_end134-_ZN9rocsparseL23csrgemm_fill_wf_per_rowILj256ELj16ELj32ELj137Ell21rocsparse_complex_numIfEEEvT4_S3_PKS3_S5_NS_24const_host_device_scalarIT5_EEPKT3_S5_PKS7_SB_S5_SD_S8_SB_S5_SD_SB_PS3_PS7_21rocsparse_index_base_SG_SG_SG_bbb
                                        ; -- End function
	.section	.AMDGPU.csdata,"",@progbits
; Kernel info:
; codeLenInByte = 3024
; NumSgprs: 48
; NumVgprs: 41
; ScratchSize: 0
; MemoryBound: 0
; FloatMode: 240
; IeeeMode: 1
; LDSByteSize: 8192 bytes/workgroup (compile time only)
; SGPRBlocks: 5
; VGPRBlocks: 5
; NumSGPRsForWavesPerEU: 48
; NumVGPRsForWavesPerEU: 41
; Occupancy: 16
; WaveLimiterHint : 1
; COMPUTE_PGM_RSRC2:SCRATCH_EN: 0
; COMPUTE_PGM_RSRC2:USER_SGPR: 15
; COMPUTE_PGM_RSRC2:TRAP_HANDLER: 0
; COMPUTE_PGM_RSRC2:TGID_X_EN: 1
; COMPUTE_PGM_RSRC2:TGID_Y_EN: 0
; COMPUTE_PGM_RSRC2:TGID_Z_EN: 0
; COMPUTE_PGM_RSRC2:TIDIG_COMP_CNT: 0
	.section	.text._ZN9rocsparseL26csrgemm_fill_block_per_rowILj128ELj16ELj256ELj137ELj32Ell21rocsparse_complex_numIfEEEvT5_PKS3_S5_NS_24const_host_device_scalarIT6_EEPKT4_S5_PKS7_SB_S5_SD_S8_SB_S5_SD_SB_PS3_PS7_21rocsparse_index_base_SG_SG_SG_bbb,"axG",@progbits,_ZN9rocsparseL26csrgemm_fill_block_per_rowILj128ELj16ELj256ELj137ELj32Ell21rocsparse_complex_numIfEEEvT5_PKS3_S5_NS_24const_host_device_scalarIT6_EEPKT4_S5_PKS7_SB_S5_SD_S8_SB_S5_SD_SB_PS3_PS7_21rocsparse_index_base_SG_SG_SG_bbb,comdat
	.globl	_ZN9rocsparseL26csrgemm_fill_block_per_rowILj128ELj16ELj256ELj137ELj32Ell21rocsparse_complex_numIfEEEvT5_PKS3_S5_NS_24const_host_device_scalarIT6_EEPKT4_S5_PKS7_SB_S5_SD_S8_SB_S5_SD_SB_PS3_PS7_21rocsparse_index_base_SG_SG_SG_bbb ; -- Begin function _ZN9rocsparseL26csrgemm_fill_block_per_rowILj128ELj16ELj256ELj137ELj32Ell21rocsparse_complex_numIfEEEvT5_PKS3_S5_NS_24const_host_device_scalarIT6_EEPKT4_S5_PKS7_SB_S5_SD_S8_SB_S5_SD_SB_PS3_PS7_21rocsparse_index_base_SG_SG_SG_bbb
	.p2align	8
	.type	_ZN9rocsparseL26csrgemm_fill_block_per_rowILj128ELj16ELj256ELj137ELj32Ell21rocsparse_complex_numIfEEEvT5_PKS3_S5_NS_24const_host_device_scalarIT6_EEPKT4_S5_PKS7_SB_S5_SD_S8_SB_S5_SD_SB_PS3_PS7_21rocsparse_index_base_SG_SG_SG_bbb,@function
_ZN9rocsparseL26csrgemm_fill_block_per_rowILj128ELj16ELj256ELj137ELj32Ell21rocsparse_complex_numIfEEEvT5_PKS3_S5_NS_24const_host_device_scalarIT6_EEPKT4_S5_PKS7_SB_S5_SD_S8_SB_S5_SD_SB_PS3_PS7_21rocsparse_index_base_SG_SG_SG_bbb: ; @_ZN9rocsparseL26csrgemm_fill_block_per_rowILj128ELj16ELj256ELj137ELj32Ell21rocsparse_complex_numIfEEEvT5_PKS3_S5_NS_24const_host_device_scalarIT6_EEPKT4_S5_PKS7_SB_S5_SD_S8_SB_S5_SD_SB_PS3_PS7_21rocsparse_index_base_SG_SG_SG_bbb
; %bb.0:
	s_mov_b32 s40, s15
	s_clause 0x6
	s_load_b32 s33, s[0:1], 0x98
	s_load_b256 s[4:11], s[0:1], 0x60
	s_load_b256 s[12:19], s[0:1], 0x40
	s_load_b128 s[36:39], s[0:1], 0x8
	s_load_b256 s[20:27], s[0:1], 0x20
	s_load_b64 s[34:35], s[0:1], 0x80
	s_load_b128 s[28:31], s[0:1], 0x88
	s_mov_b32 s3, 0
	s_mov_b32 s43, 0
	s_waitcnt lgkmcnt(0)
	s_bitcmp1_b32 s33, 0
	s_cselect_b32 s44, -1, 0
	s_bitcmp1_b32 s33, 16
	s_cselect_b32 s2, -1, 0
	s_delay_alu instid0(SALU_CYCLE_1) | instskip(SKIP_2) | instid1(VALU_DEP_1)
	s_xor_b32 s41, s2, -1
	s_bitcmp0_b32 s33, 0
	v_cndmask_b32_e64 v1, 0, 1, s41
	v_cmp_ne_u32_e32 vcc_lo, 1, v1
	s_cbranch_scc1 .LBB135_5
; %bb.1:
	s_load_b64 s[2:3], s[0:1], 0x18
	s_and_b32 vcc_lo, exec_lo, vcc_lo
	s_waitcnt lgkmcnt(0)
	s_mov_b32 s43, s2
	s_cbranch_vccnz .LBB135_3
; %bb.2:
	s_load_b32 s43, s[2:3], 0x0
.LBB135_3:
	s_and_not1_b32 vcc_lo, exec_lo, s41
	s_cbranch_vccnz .LBB135_5
; %bb.4:
	s_load_b32 s3, s[2:3], 0x4
.LBB135_5:
	s_bitcmp1_b32 s33, 8
	s_mov_b32 s42, 0
	s_cselect_b32 s2, -1, 0
	s_bfe_u32 s33, s33, 0x10008
	s_delay_alu instid0(SALU_CYCLE_1)
	s_cmp_eq_u32 s33, 0
	s_mov_b32 s33, 0
	s_cbranch_scc1 .LBB135_11
; %bb.6:
	v_cmp_ne_u32_e32 vcc_lo, 1, v1
	s_mov_b32 s33, s16
	s_cbranch_vccnz .LBB135_8
; %bb.7:
	s_load_b32 s33, s[16:17], 0x0
.LBB135_8:
	v_cmp_ne_u32_e32 vcc_lo, 1, v1
	s_cbranch_vccnz .LBB135_10
; %bb.9:
	s_load_b32 s17, s[16:17], 0x4
.LBB135_10:
	s_waitcnt lgkmcnt(0)
	s_mov_b32 s42, s17
.LBB135_11:
	s_load_b64 s[16:17], s[0:1], 0x0
	v_cmp_gt_u32_e64 s0, 0x100, v0
	v_or_b32_e32 v12, 0xffffff80, v0
	v_lshl_add_u32 v13, v0, 3, 0
	s_delay_alu instid0(VALU_DEP_3)
	s_and_saveexec_b32 s1, s0
	s_cbranch_execz .LBB135_14
; %bb.12:
	v_or_b32_e32 v3, 0xffffff80, v0
	v_lshl_add_u32 v4, v0, 3, 0
	s_waitcnt lgkmcnt(0)
	v_dual_mov_b32 v1, s16 :: v_dual_mov_b32 v2, s17
	v_mov_b32_e32 v5, 0
	s_mov_b32 s41, 0
.LBB135_13:                             ; =>This Inner Loop Header: Depth=1
	v_add_co_u32 v3, s45, 0x80, v3
	s_delay_alu instid0(VALU_DEP_1)
	s_xor_b32 s45, s45, -1
	v_add_nc_u32_e32 v6, 0x800, v4
	ds_store_b64 v4, v[1:2]
	v_add_nc_u32_e32 v4, 0x400, v4
	s_and_b32 s45, exec_lo, s45
	ds_store_2addr_b32 v6, v5, v5 offset1:1
	s_or_b32 s41, s45, s41
	s_delay_alu instid0(SALU_CYCLE_1)
	s_and_not1_b32 exec_lo, exec_lo, s41
	s_cbranch_execnz .LBB135_13
.LBB135_14:
	s_or_b32 exec_lo, exec_lo, s1
	s_waitcnt lgkmcnt(0)
	s_barrier
	buffer_gl0_inv
	s_load_b64 s[36:37], s[36:37], 0x0
	s_mov_b32 s41, 0
	s_waitcnt lgkmcnt(0)
	s_lshl_b64 s[36:37], s[36:37], 3
	s_delay_alu instid0(SALU_CYCLE_1) | instskip(SKIP_2) | instid1(SALU_CYCLE_1)
	s_add_u32 s1, s38, s36
	s_addc_u32 s38, s39, s37
	s_lshl_b64 s[36:37], s[40:41], 3
	s_add_u32 s36, s1, s36
	s_addc_u32 s37, s38, s37
	s_and_b32 vcc_lo, exec_lo, s44
	s_load_b64 s[36:37], s[36:37], 0x0
	s_cbranch_vccz .LBB135_34
; %bb.15:
	s_waitcnt lgkmcnt(0)
	s_lshl_b64 s[38:39], s[36:37], 3
	v_lshrrev_b32_e32 v1, 4, v0
	s_add_u32 s20, s20, s38
	s_addc_u32 s21, s21, s39
	s_load_b128 s[44:47], s[20:21], 0x0
	s_delay_alu instid0(VALU_DEP_1) | instskip(NEXT) | instid1(VALU_DEP_1)
	v_sub_co_u32 v1, s1, v1, s28
	v_sub_co_ci_u32_e64 v2, null, 0, 0, s1
	s_mov_b32 s1, exec_lo
	s_waitcnt lgkmcnt(0)
	s_delay_alu instid0(VALU_DEP_2) | instskip(NEXT) | instid1(VALU_DEP_2)
	v_add_co_u32 v1, vcc_lo, s44, v1
	v_add_co_ci_u32_e32 v2, vcc_lo, s45, v2, vcc_lo
	s_sub_u32 s20, s46, s28
	s_subb_u32 s21, s47, 0
	s_delay_alu instid0(VALU_DEP_1) | instid1(SALU_CYCLE_1)
	v_cmpx_gt_i64_e64 s[20:21], v[1:2]
	s_cbranch_execz .LBB135_33
; %bb.16:
	v_and_b32_e32 v3, 15, v0
	s_delay_alu instid0(VALU_DEP_1) | instskip(NEXT) | instid1(VALU_DEP_1)
	v_sub_co_u32 v11, s38, v3, s29
	v_sub_co_ci_u32_e64 v14, null, 0, 0, s38
	s_mov_b32 s38, 0
	s_branch .LBB135_18
.LBB135_17:                             ;   in Loop: Header=BB135_18 Depth=1
	s_or_b32 exec_lo, exec_lo, s39
	v_add_co_u32 v1, vcc_lo, v1, 8
	v_add_co_ci_u32_e32 v2, vcc_lo, 0, v2, vcc_lo
	s_delay_alu instid0(VALU_DEP_1) | instskip(SKIP_1) | instid1(SALU_CYCLE_1)
	v_cmp_le_i64_e32 vcc_lo, s[20:21], v[1:2]
	s_or_b32 s38, vcc_lo, s38
	s_and_not1_b32 exec_lo, exec_lo, s38
	s_cbranch_execz .LBB135_33
.LBB135_18:                             ; =>This Loop Header: Depth=1
                                        ;     Child Loop BB135_21 Depth 2
                                        ;       Child Loop BB135_23 Depth 3
	v_lshlrev_b64 v[7:8], 3, v[1:2]
	s_mov_b32 s39, exec_lo
	s_delay_alu instid0(VALU_DEP_1) | instskip(NEXT) | instid1(VALU_DEP_2)
	v_add_co_u32 v3, vcc_lo, s22, v7
	v_add_co_ci_u32_e32 v4, vcc_lo, s23, v8, vcc_lo
	global_load_b64 v[3:4], v[3:4], off
	s_waitcnt vmcnt(0)
	v_sub_co_u32 v3, vcc_lo, v3, s28
	v_subrev_co_ci_u32_e32 v4, vcc_lo, 0, v4, vcc_lo
	s_delay_alu instid0(VALU_DEP_1) | instskip(NEXT) | instid1(VALU_DEP_1)
	v_lshlrev_b64 v[3:4], 3, v[3:4]
	v_add_co_u32 v3, vcc_lo, s26, v3
	s_delay_alu instid0(VALU_DEP_2)
	v_add_co_ci_u32_e32 v4, vcc_lo, s27, v4, vcc_lo
	global_load_b128 v[15:18], v[3:4], off
	s_waitcnt vmcnt(0)
	v_sub_co_u32 v3, vcc_lo, v17, s29
	v_subrev_co_ci_u32_e32 v4, vcc_lo, 0, v18, vcc_lo
	v_add_co_u32 v5, vcc_lo, v15, v11
	v_add_co_ci_u32_e32 v6, vcc_lo, v16, v14, vcc_lo
	s_delay_alu instid0(VALU_DEP_1)
	v_cmpx_lt_i64_e64 v[5:6], v[3:4]
	s_cbranch_execz .LBB135_17
; %bb.19:                               ;   in Loop: Header=BB135_18 Depth=1
	v_add_co_u32 v7, vcc_lo, s24, v7
	v_add_co_ci_u32_e32 v8, vcc_lo, s25, v8, vcc_lo
	s_mov_b32 s40, 0
	global_load_b64 v[7:8], v[7:8], off
	s_waitcnt vmcnt(0)
	v_mul_f32_e64 v15, v8, -s3
	s_delay_alu instid0(VALU_DEP_1) | instskip(NEXT) | instid1(VALU_DEP_1)
	v_dual_mul_f32 v16, s43, v8 :: v_dual_fmac_f32 v15, s43, v7
	v_fmac_f32_e32 v16, s3, v7
	s_branch .LBB135_21
.LBB135_20:                             ;   in Loop: Header=BB135_21 Depth=2
	s_or_b32 exec_lo, exec_lo, s41
	v_add_co_u32 v5, vcc_lo, v5, 16
	v_add_co_ci_u32_e32 v6, vcc_lo, 0, v6, vcc_lo
	s_delay_alu instid0(VALU_DEP_1) | instskip(SKIP_1) | instid1(SALU_CYCLE_1)
	v_cmp_ge_i64_e32 vcc_lo, v[5:6], v[3:4]
	s_or_b32 s40, vcc_lo, s40
	s_and_not1_b32 exec_lo, exec_lo, s40
	s_cbranch_execz .LBB135_17
.LBB135_21:                             ;   Parent Loop BB135_18 Depth=1
                                        ; =>  This Loop Header: Depth=2
                                        ;       Child Loop BB135_23 Depth 3
	v_lshlrev_b64 v[7:8], 3, v[5:6]
	s_mov_b32 s41, 0
	s_delay_alu instid0(VALU_DEP_1) | instskip(NEXT) | instid1(VALU_DEP_2)
	v_add_co_u32 v9, vcc_lo, s12, v7
	v_add_co_ci_u32_e32 v10, vcc_lo, s13, v8, vcc_lo
	v_add_co_u32 v7, vcc_lo, s14, v7
	v_add_co_ci_u32_e32 v8, vcc_lo, s15, v8, vcc_lo
	global_load_b64 v[9:10], v[9:10], off
	global_load_b64 v[19:20], v[7:8], off
	s_waitcnt vmcnt(1)
	v_sub_co_u32 v7, vcc_lo, v9, s29
	v_subrev_co_ci_u32_e32 v8, vcc_lo, 0, v10, vcc_lo
	s_waitcnt vmcnt(0)
	v_mul_f32_e64 v17, v20, -v16
	s_delay_alu instid0(VALU_DEP_3) | instskip(SKIP_1) | instid1(VALU_DEP_3)
	v_mul_lo_u32 v9, 0x89, v7
	v_mul_f32_e32 v18, v15, v20
	v_fmac_f32_e32 v17, v15, v19
	s_delay_alu instid0(VALU_DEP_2)
	v_dual_fmac_f32 v18, v16, v19 :: v_dual_and_b32 v19, 0xff, v9
	s_branch .LBB135_23
.LBB135_22:                             ;   in Loop: Header=BB135_23 Depth=3
	s_or_b32 exec_lo, exec_lo, s44
	s_xor_b32 s44, s45, -1
	s_delay_alu instid0(SALU_CYCLE_1) | instskip(NEXT) | instid1(SALU_CYCLE_1)
	s_and_b32 s44, exec_lo, s44
	s_or_b32 s41, s44, s41
	s_delay_alu instid0(SALU_CYCLE_1)
	s_and_not1_b32 exec_lo, exec_lo, s41
	s_cbranch_execz .LBB135_20
.LBB135_23:                             ;   Parent Loop BB135_18 Depth=1
                                        ;     Parent Loop BB135_21 Depth=2
                                        ; =>    This Inner Loop Header: Depth=3
	s_delay_alu instid0(VALU_DEP_1)
	v_lshl_add_u32 v20, v19, 3, 0
	s_mov_b32 s44, exec_lo
                                        ; implicit-def: $sgpr45
	ds_load_b64 v[9:10], v20
	s_waitcnt lgkmcnt(0)
	v_cmpx_ne_u64_e64 v[9:10], v[7:8]
	s_xor_b32 s44, exec_lo, s44
	s_cbranch_execz .LBB135_31
; %bb.24:                               ;   in Loop: Header=BB135_23 Depth=3
	s_mov_b32 s46, exec_lo
                                        ; implicit-def: $sgpr45
	v_cmpx_ne_u64_e64 s[16:17], v[9:10]
	s_xor_b32 s46, exec_lo, s46
; %bb.25:                               ;   in Loop: Header=BB135_23 Depth=3
	v_add_nc_u32_e32 v9, 1, v19
	s_mov_b32 s45, -1
                                        ; implicit-def: $vgpr20
	s_delay_alu instid0(VALU_DEP_1)
	v_and_b32_e32 v19, 0xff, v9
; %bb.26:                               ;   in Loop: Header=BB135_23 Depth=3
	s_and_not1_saveexec_b32 s46, s46
	s_cbranch_execz .LBB135_30
; %bb.27:                               ;   in Loop: Header=BB135_23 Depth=3
	v_dual_mov_b32 v9, s16 :: v_dual_mov_b32 v10, s17
	s_mov_b32 s47, -1
	s_mov_b32 s48, exec_lo
	ds_cmpstore_rtn_b64 v[9:10], v20, v[7:8], v[9:10]
	s_waitcnt lgkmcnt(0)
	v_cmpx_eq_u64_e64 s[16:17], v[9:10]
	s_cbranch_execz .LBB135_29
; %bb.28:                               ;   in Loop: Header=BB135_23 Depth=3
	ds_add_f32 v20, v17 offset:2048
	ds_add_f32 v20, v18 offset:2052
	s_xor_b32 s47, exec_lo, -1
.LBB135_29:                             ;   in Loop: Header=BB135_23 Depth=3
	s_or_b32 exec_lo, exec_lo, s48
	s_delay_alu instid0(SALU_CYCLE_1) | instskip(SKIP_1) | instid1(SALU_CYCLE_1)
	s_and_not1_b32 s45, s45, exec_lo
	s_and_b32 s47, s47, exec_lo
	s_or_b32 s45, s45, s47
.LBB135_30:                             ;   in Loop: Header=BB135_23 Depth=3
	s_or_b32 exec_lo, exec_lo, s46
	s_delay_alu instid0(SALU_CYCLE_1)
	s_and_b32 s45, s45, exec_lo
                                        ; implicit-def: $vgpr20
.LBB135_31:                             ;   in Loop: Header=BB135_23 Depth=3
	s_and_not1_saveexec_b32 s44, s44
	s_cbranch_execz .LBB135_22
; %bb.32:                               ;   in Loop: Header=BB135_23 Depth=3
	ds_add_f32 v20, v17 offset:2048
	ds_add_f32 v20, v18 offset:2052
	s_and_not1_b32 s45, s45, exec_lo
	s_branch .LBB135_22
.LBB135_33:
	s_or_b32 exec_lo, exec_lo, s1
.LBB135_34:
	s_delay_alu instid0(SALU_CYCLE_1)
	s_and_not1_b32 vcc_lo, exec_lo, s2
	s_cbranch_vccnz .LBB135_51
; %bb.35:
	s_waitcnt lgkmcnt(0)
	s_lshl_b64 s[2:3], s[36:37], 3
	v_sub_co_u32 v1, s1, v0, s31
	s_add_u32 s2, s18, s2
	s_addc_u32 s3, s19, s3
	v_sub_co_ci_u32_e64 v2, null, 0, 0, s1
	s_load_b128 s[12:15], s[2:3], 0x0
	s_mov_b32 s1, 0
	s_waitcnt lgkmcnt(0)
	v_add_co_u32 v1, vcc_lo, s12, v1
	v_add_co_ci_u32_e32 v2, vcc_lo, s13, v2, vcc_lo
	s_sub_u32 s2, s14, s31
	s_subb_u32 s3, s15, 0
	s_mov_b32 s12, exec_lo
	s_delay_alu instid0(VALU_DEP_1)
	v_cmpx_gt_i64_e64 s[2:3], v[1:2]
	s_cbranch_execz .LBB135_50
; %bb.36:
	s_mov_b32 s13, s31
	s_branch .LBB135_38
.LBB135_37:                             ;   in Loop: Header=BB135_38 Depth=1
	s_or_b32 exec_lo, exec_lo, s14
	v_add_co_u32 v1, vcc_lo, 0x80, v1
	v_add_co_ci_u32_e32 v2, vcc_lo, 0, v2, vcc_lo
	s_delay_alu instid0(VALU_DEP_1) | instskip(SKIP_1) | instid1(SALU_CYCLE_1)
	v_cmp_le_i64_e32 vcc_lo, s[2:3], v[1:2]
	s_or_b32 s1, vcc_lo, s1
	s_and_not1_b32 exec_lo, exec_lo, s1
	s_cbranch_execz .LBB135_50
.LBB135_38:                             ; =>This Loop Header: Depth=1
                                        ;     Child Loop BB135_40 Depth 2
	v_lshlrev_b64 v[3:4], 3, v[1:2]
	s_mov_b32 s14, 0
	s_delay_alu instid0(VALU_DEP_1) | instskip(NEXT) | instid1(VALU_DEP_2)
	v_add_co_u32 v5, vcc_lo, s4, v3
	v_add_co_ci_u32_e32 v6, vcc_lo, s5, v4, vcc_lo
	v_add_co_u32 v3, vcc_lo, s6, v3
	v_add_co_ci_u32_e32 v4, vcc_lo, s7, v4, vcc_lo
	global_load_b64 v[5:6], v[5:6], off
	global_load_b64 v[9:10], v[3:4], off
	s_waitcnt vmcnt(1)
	v_sub_co_u32 v3, vcc_lo, v5, s13
	v_subrev_co_ci_u32_e32 v4, vcc_lo, 0, v6, vcc_lo
	s_waitcnt vmcnt(0)
	v_mul_f32_e64 v7, v10, -s42
	s_delay_alu instid0(VALU_DEP_3) | instskip(NEXT) | instid1(VALU_DEP_2)
	v_mul_lo_u32 v5, 0x89, v3
	v_dual_mul_f32 v8, s33, v10 :: v_dual_fmac_f32 v7, s33, v9
	s_delay_alu instid0(VALU_DEP_1) | instskip(NEXT) | instid1(VALU_DEP_3)
	v_fmac_f32_e32 v8, s42, v9
	v_and_b32_e32 v9, 0xff, v5
	s_branch .LBB135_40
.LBB135_39:                             ;   in Loop: Header=BB135_40 Depth=2
	s_or_b32 exec_lo, exec_lo, s15
	s_xor_b32 s15, s18, -1
	s_delay_alu instid0(SALU_CYCLE_1) | instskip(NEXT) | instid1(SALU_CYCLE_1)
	s_and_b32 s15, exec_lo, s15
	s_or_b32 s14, s15, s14
	s_delay_alu instid0(SALU_CYCLE_1)
	s_and_not1_b32 exec_lo, exec_lo, s14
	s_cbranch_execz .LBB135_37
.LBB135_40:                             ;   Parent Loop BB135_38 Depth=1
                                        ; =>  This Inner Loop Header: Depth=2
	s_delay_alu instid0(VALU_DEP_1)
	v_lshl_add_u32 v10, v9, 3, 0
	s_mov_b32 s15, exec_lo
                                        ; implicit-def: $sgpr18
	ds_load_b64 v[5:6], v10
	s_waitcnt lgkmcnt(0)
	v_cmpx_ne_u64_e64 v[5:6], v[3:4]
	s_xor_b32 s15, exec_lo, s15
	s_cbranch_execz .LBB135_48
; %bb.41:                               ;   in Loop: Header=BB135_40 Depth=2
	s_mov_b32 s19, exec_lo
                                        ; implicit-def: $sgpr18
	v_cmpx_ne_u64_e64 s[16:17], v[5:6]
	s_xor_b32 s19, exec_lo, s19
; %bb.42:                               ;   in Loop: Header=BB135_40 Depth=2
	v_add_nc_u32_e32 v5, 1, v9
	s_mov_b32 s18, -1
                                        ; implicit-def: $vgpr10
	s_delay_alu instid0(VALU_DEP_1)
	v_and_b32_e32 v9, 0xff, v5
; %bb.43:                               ;   in Loop: Header=BB135_40 Depth=2
	s_and_not1_saveexec_b32 s19, s19
	s_cbranch_execz .LBB135_47
; %bb.44:                               ;   in Loop: Header=BB135_40 Depth=2
	v_dual_mov_b32 v5, s16 :: v_dual_mov_b32 v6, s17
	s_mov_b32 s20, -1
	s_mov_b32 s21, exec_lo
	ds_cmpstore_rtn_b64 v[5:6], v10, v[3:4], v[5:6]
	s_waitcnt lgkmcnt(0)
	v_cmpx_eq_u64_e64 s[16:17], v[5:6]
	s_cbranch_execz .LBB135_46
; %bb.45:                               ;   in Loop: Header=BB135_40 Depth=2
	ds_add_f32 v10, v7 offset:2048
	ds_add_f32 v10, v8 offset:2052
	s_xor_b32 s20, exec_lo, -1
.LBB135_46:                             ;   in Loop: Header=BB135_40 Depth=2
	s_or_b32 exec_lo, exec_lo, s21
	s_delay_alu instid0(SALU_CYCLE_1) | instskip(SKIP_1) | instid1(SALU_CYCLE_1)
	s_and_not1_b32 s18, s18, exec_lo
	s_and_b32 s20, s20, exec_lo
	s_or_b32 s18, s18, s20
.LBB135_47:                             ;   in Loop: Header=BB135_40 Depth=2
	s_or_b32 exec_lo, exec_lo, s19
	s_delay_alu instid0(SALU_CYCLE_1)
	s_and_b32 s18, s18, exec_lo
                                        ; implicit-def: $vgpr10
.LBB135_48:                             ;   in Loop: Header=BB135_40 Depth=2
	s_and_not1_saveexec_b32 s15, s15
	s_cbranch_execz .LBB135_39
; %bb.49:                               ;   in Loop: Header=BB135_40 Depth=2
	ds_add_f32 v10, v7 offset:2048
	ds_add_f32 v10, v8 offset:2052
	s_and_not1_b32 s18, s18, exec_lo
	s_branch .LBB135_39
.LBB135_50:
	s_or_b32 exec_lo, exec_lo, s12
.LBB135_51:
	s_waitcnt lgkmcnt(0)
	s_barrier
	buffer_gl0_inv
	s_and_saveexec_b32 s4, s0
	s_cbranch_execz .LBB135_64
; %bb.52:
	v_mbcnt_lo_u32_b32 v1, -1, 0
	v_lshrrev_b32_e32 v2, 2, v0
	v_cmp_eq_u32_e32 vcc_lo, 0x7f, v0
	v_cmp_lt_u32_e64 s0, 31, v0
	v_cmp_lt_u32_e64 s1, 63, v0
	v_xor_b32_e32 v1, 63, v1
	v_and_b32_e32 v3, 24, v2
	v_cmp_lt_u32_e64 s2, 0x5f, v0
	s_mov_b32 s5, 0
	v_mov_b32_e32 v5, 0
	v_lshrrev_b64 v[1:2], v1, -1
	v_add_nc_u32_e32 v14, 0, v3
	v_mov_b32_e32 v2, 0
	v_mov_b32_e32 v3, 0
	s_branch .LBB135_54
.LBB135_53:                             ;   in Loop: Header=BB135_54 Depth=1
	s_or_b32 exec_lo, exec_lo, s3
	s_waitcnt lgkmcnt(0)
	s_barrier
	buffer_gl0_inv
	ds_load_b64 v[6:7], v5 offset:4120
	v_add_co_u32 v12, s3, 0x80, v12
	s_delay_alu instid0(VALU_DEP_1) | instskip(SKIP_3) | instid1(VALU_DEP_1)
	s_xor_b32 s6, s3, -1
	v_add_nc_u32_e32 v13, 0x400, v13
	s_waitcnt lgkmcnt(0)
	v_add_co_u32 v2, s3, v6, v2
	v_add_co_ci_u32_e64 v3, s3, v7, v3, s3
	s_and_b32 s3, exec_lo, s6
	s_delay_alu instid0(SALU_CYCLE_1) | instskip(NEXT) | instid1(SALU_CYCLE_1)
	s_or_b32 s5, s3, s5
	s_and_not1_b32 exec_lo, exec_lo, s5
	s_cbranch_execz .LBB135_64
.LBB135_54:                             ; =>This Inner Loop Header: Depth=1
	ds_load_b64 v[6:7], v13
	v_add_nc_u32_e32 v4, 0x800, v13
	ds_load_2addr_b32 v[8:9], v4 offset1:1
	s_waitcnt lgkmcnt(0)
	s_barrier
	buffer_gl0_inv
	v_cmp_gt_i64_e64 s3, s[16:17], v[6:7]
	s_delay_alu instid0(VALU_DEP_1) | instskip(SKIP_1) | instid1(SALU_CYCLE_1)
	v_and_b32_e32 v10, s3, v1
	s_bcnt1_i32_b32 s6, s3
	v_mov_b32_e32 v4, s6
	s_delay_alu instid0(VALU_DEP_2)
	v_bcnt_u32_b32 v10, v10, 0
	ds_store_b64 v14, v[4:5] offset:4096
	s_waitcnt lgkmcnt(0)
	s_barrier
	buffer_gl0_inv
	s_and_saveexec_b32 s6, s0
	s_cbranch_execnz .LBB135_59
; %bb.55:                               ;   in Loop: Header=BB135_54 Depth=1
	s_or_b32 exec_lo, exec_lo, s6
	s_and_saveexec_b32 s6, s1
	s_cbranch_execnz .LBB135_60
.LBB135_56:                             ;   in Loop: Header=BB135_54 Depth=1
	s_or_b32 exec_lo, exec_lo, s6
	s_and_saveexec_b32 s6, s2
	s_cbranch_execnz .LBB135_61
.LBB135_57:                             ;   in Loop: Header=BB135_54 Depth=1
	s_or_b32 exec_lo, exec_lo, s6
	v_ashrrev_i32_e32 v11, 31, v10
	s_and_saveexec_b32 s6, s3
	s_cbranch_execnz .LBB135_62
.LBB135_58:                             ;   in Loop: Header=BB135_54 Depth=1
	s_or_b32 exec_lo, exec_lo, s6
	s_and_saveexec_b32 s3, vcc_lo
	s_cbranch_execz .LBB135_53
	s_branch .LBB135_63
.LBB135_59:                             ;   in Loop: Header=BB135_54 Depth=1
	ds_load_b32 v4, v5 offset:4096
	s_waitcnt lgkmcnt(0)
	v_add_nc_u32_e32 v10, v4, v10
	s_or_b32 exec_lo, exec_lo, s6
	s_and_saveexec_b32 s6, s1
	s_cbranch_execz .LBB135_56
.LBB135_60:                             ;   in Loop: Header=BB135_54 Depth=1
	ds_load_b32 v4, v5 offset:4104
	s_waitcnt lgkmcnt(0)
	v_add_nc_u32_e32 v10, v10, v4
	s_or_b32 exec_lo, exec_lo, s6
	s_and_saveexec_b32 s6, s2
	s_cbranch_execz .LBB135_57
.LBB135_61:                             ;   in Loop: Header=BB135_54 Depth=1
	ds_load_b32 v4, v5 offset:4112
	s_waitcnt lgkmcnt(0)
	v_add_nc_u32_e32 v10, v10, v4
	s_or_b32 exec_lo, exec_lo, s6
	s_delay_alu instid0(VALU_DEP_1)
	v_ashrrev_i32_e32 v11, 31, v10
	s_and_saveexec_b32 s6, s3
	s_cbranch_execz .LBB135_58
.LBB135_62:                             ;   in Loop: Header=BB135_54 Depth=1
	v_add3_u32 v4, v2, -1, v10
	s_delay_alu instid0(VALU_DEP_1) | instskip(NEXT) | instid1(VALU_DEP_1)
	v_lshl_add_u32 v4, v4, 3, 0
	v_add_nc_u32_e32 v15, 0x800, v4
	ds_store_b64 v4, v[6:7]
	ds_store_2addr_b32 v15, v8, v9 offset1:1
	s_or_b32 exec_lo, exec_lo, s6
	s_and_saveexec_b32 s3, vcc_lo
	s_cbranch_execz .LBB135_53
.LBB135_63:                             ;   in Loop: Header=BB135_54 Depth=1
	ds_store_b64 v5, v[10:11] offset:4120
	s_branch .LBB135_53
.LBB135_64:
	s_or_b32 exec_lo, exec_lo, s4
	s_lshl_b64 s[0:1], s[36:37], 3
	v_mov_b32_e32 v1, 0
	s_add_u32 s0, s8, s0
	s_addc_u32 s1, s9, s1
	s_mov_b32 s6, exec_lo
	s_load_b128 s[0:3], s[0:1], 0x0
	s_waitcnt lgkmcnt(0)
	s_sub_u32 s4, s2, s0
	s_subb_u32 s5, s3, s1
	s_delay_alu instid0(SALU_CYCLE_1)
	v_cmpx_gt_i64_e64 s[4:5], v[0:1]
	s_cbranch_execz .LBB135_74
; %bb.65:
	s_sub_u32 s8, s0, s30
	s_subb_u32 s9, s1, 0
	s_and_b32 s6, s4, 7
	s_sub_u32 s0, s0, s2
	s_subb_u32 s1, s1, s3
	s_mov_b32 s7, 0
	v_cmp_lt_u64_e64 s14, s[0:1], -7
	s_and_b32 s2, s4, -8
	s_cmp_lg_u64 s[6:7], 0
	s_mov_b32 s3, s5
	s_cselect_b32 s15, -1, 0
	s_mov_b32 s16, s7
	s_branch .LBB135_67
.LBB135_66:                             ;   in Loop: Header=BB135_67 Depth=1
	s_waitcnt lgkmcnt(1)
	v_add_co_u32 v4, vcc_lo, v4, s30
	v_lshlrev_b64 v[6:7], 3, v[6:7]
	v_add_co_ci_u32_e32 v5, vcc_lo, 0, v5, vcc_lo
	v_add_co_u32 v0, vcc_lo, 0x80, v0
	v_add_co_ci_u32_e32 v1, vcc_lo, 0, v1, vcc_lo
	s_delay_alu instid0(VALU_DEP_4) | instskip(SKIP_1) | instid1(VALU_DEP_3)
	v_add_co_u32 v8, vcc_lo, s10, v6
	v_add_co_ci_u32_e32 v9, vcc_lo, s11, v7, vcc_lo
	v_cmp_le_i64_e32 vcc_lo, s[4:5], v[0:1]
	v_add_co_u32 v6, s0, s34, v6
	s_delay_alu instid0(VALU_DEP_1) | instskip(SKIP_4) | instid1(SALU_CYCLE_1)
	v_add_co_ci_u32_e64 v7, s0, s35, v7, s0
	global_store_b64 v[8:9], v[4:5], off
	s_waitcnt lgkmcnt(0)
	global_store_b64 v[6:7], v[2:3], off
	s_or_b32 s16, vcc_lo, s16
	s_and_not1_b32 exec_lo, exec_lo, s16
	s_cbranch_execz .LBB135_74
.LBB135_67:                             ; =>This Loop Header: Depth=1
                                        ;     Child Loop BB135_69 Depth 2
                                        ;     Child Loop BB135_73 Depth 2
	v_lshl_add_u32 v2, v0, 3, 0
	s_and_not1_b32 vcc_lo, exec_lo, s14
	s_mov_b64 s[0:1], 0
	v_dual_mov_b32 v6, s8 :: v_dual_mov_b32 v7, s9
	s_delay_alu instid0(VALU_DEP_2)
	v_add_nc_u32_e32 v3, 0x800, v2
	ds_load_b64 v[4:5], v2
	ds_load_2addr_b32 v[2:3], v3 offset1:1
	s_cbranch_vccnz .LBB135_71
; %bb.68:                               ;   in Loop: Header=BB135_67 Depth=1
	v_dual_mov_b32 v6, s8 :: v_dual_mov_b32 v7, s9
	s_mov_b64 s[12:13], 0
	s_mov_b32 s1, 0
.LBB135_69:                             ;   Parent Loop BB135_67 Depth=1
                                        ; =>  This Inner Loop Header: Depth=2
	s_delay_alu instid0(SALU_CYCLE_1)
	v_mov_b32_e32 v20, s1
	s_add_u32 s12, s12, 8
	s_addc_u32 s13, s13, 0
	s_add_i32 s1, s1, 64
	s_cmp_eq_u64 s[2:3], s[12:13]
	ds_load_2addr_b64 v[8:11], v20 offset1:1
	ds_load_2addr_b64 v[12:15], v20 offset0:2 offset1:3
	ds_load_2addr_b64 v[16:19], v20 offset0:4 offset1:5
	;; [unrolled: 1-line block ×3, first 2 shown]
	s_waitcnt lgkmcnt(3)
	v_cmp_gt_i64_e32 vcc_lo, v[4:5], v[8:9]
	v_cndmask_b32_e64 v8, 0, 1, vcc_lo
	v_cmp_gt_i64_e32 vcc_lo, v[4:5], v[10:11]
	v_cndmask_b32_e64 v9, 0, 1, vcc_lo
	s_waitcnt lgkmcnt(2)
	v_cmp_gt_i64_e32 vcc_lo, v[4:5], v[12:13]
	v_cndmask_b32_e64 v10, 0, 1, vcc_lo
	v_cmp_gt_i64_e32 vcc_lo, v[4:5], v[14:15]
	v_cndmask_b32_e64 v11, 0, 1, vcc_lo
	s_waitcnt lgkmcnt(1)
	v_cmp_gt_i64_e32 vcc_lo, v[4:5], v[16:17]
	v_cndmask_b32_e64 v12, 0, 1, vcc_lo
	v_add_co_u32 v6, vcc_lo, v6, v8
	v_add_co_ci_u32_e32 v7, vcc_lo, 0, v7, vcc_lo
	v_cmp_gt_i64_e32 vcc_lo, v[4:5], v[18:19]
	s_delay_alu instid0(VALU_DEP_3) | instskip(NEXT) | instid1(VALU_DEP_1)
	v_add_co_u32 v6, s0, v6, v9
	v_add_co_ci_u32_e64 v7, s0, 0, v7, s0
	v_cndmask_b32_e64 v8, 0, 1, vcc_lo
	s_delay_alu instid0(VALU_DEP_3) | instskip(NEXT) | instid1(VALU_DEP_3)
	v_add_co_u32 v6, vcc_lo, v6, v10
	v_add_co_ci_u32_e32 v7, vcc_lo, 0, v7, vcc_lo
	s_waitcnt lgkmcnt(0)
	v_cmp_gt_i64_e32 vcc_lo, v[4:5], v[20:21]
	s_delay_alu instid0(VALU_DEP_3) | instskip(NEXT) | instid1(VALU_DEP_1)
	v_add_co_u32 v6, s0, v6, v11
	v_add_co_ci_u32_e64 v7, s0, 0, v7, s0
	v_cndmask_b32_e64 v9, 0, 1, vcc_lo
	s_delay_alu instid0(VALU_DEP_3) | instskip(NEXT) | instid1(VALU_DEP_3)
	v_add_co_u32 v6, vcc_lo, v6, v12
	v_add_co_ci_u32_e32 v7, vcc_lo, 0, v7, vcc_lo
	v_cmp_gt_i64_e32 vcc_lo, v[4:5], v[22:23]
	s_delay_alu instid0(VALU_DEP_3) | instskip(NEXT) | instid1(VALU_DEP_1)
	v_add_co_u32 v6, s0, v6, v8
	v_add_co_ci_u32_e64 v7, s0, 0, v7, s0
	v_cndmask_b32_e64 v8, 0, 1, vcc_lo
	s_delay_alu instid0(VALU_DEP_3) | instskip(NEXT) | instid1(VALU_DEP_3)
	v_add_co_u32 v6, vcc_lo, v6, v9
	v_add_co_ci_u32_e32 v7, vcc_lo, 0, v7, vcc_lo
	s_delay_alu instid0(VALU_DEP_2) | instskip(NEXT) | instid1(VALU_DEP_2)
	v_add_co_u32 v6, vcc_lo, v6, v8
	v_add_co_ci_u32_e32 v7, vcc_lo, 0, v7, vcc_lo
	s_cbranch_scc0 .LBB135_69
; %bb.70:                               ;   in Loop: Header=BB135_67 Depth=1
	s_mov_b64 s[0:1], s[2:3]
.LBB135_71:                             ;   in Loop: Header=BB135_67 Depth=1
	s_and_not1_b32 vcc_lo, exec_lo, s15
	s_cbranch_vccnz .LBB135_66
; %bb.72:                               ;   in Loop: Header=BB135_67 Depth=1
	s_lshl_b32 s0, s0, 3
	s_delay_alu instid0(SALU_CYCLE_1)
	s_add_i32 s12, s0, 0
	s_mov_b64 s[0:1], s[6:7]
.LBB135_73:                             ;   Parent Loop BB135_67 Depth=1
                                        ; =>  This Inner Loop Header: Depth=2
	v_mov_b32_e32 v8, s12
	s_add_i32 s12, s12, 8
	s_add_u32 s0, s0, -1
	s_addc_u32 s1, s1, -1
	s_delay_alu instid0(SALU_CYCLE_1) | instskip(SKIP_4) | instid1(VALU_DEP_1)
	s_cmp_lg_u64 s[0:1], 0
	ds_load_b64 v[8:9], v8
	s_waitcnt lgkmcnt(0)
	v_cmp_gt_i64_e32 vcc_lo, v[4:5], v[8:9]
	v_cndmask_b32_e64 v8, 0, 1, vcc_lo
	v_add_co_u32 v6, vcc_lo, v6, v8
	v_add_co_ci_u32_e32 v7, vcc_lo, 0, v7, vcc_lo
	s_cbranch_scc1 .LBB135_73
	s_branch .LBB135_66
.LBB135_74:
	s_nop 0
	s_sendmsg sendmsg(MSG_DEALLOC_VGPRS)
	s_endpgm
	.section	.rodata,"a",@progbits
	.p2align	6, 0x0
	.amdhsa_kernel _ZN9rocsparseL26csrgemm_fill_block_per_rowILj128ELj16ELj256ELj137ELj32Ell21rocsparse_complex_numIfEEEvT5_PKS3_S5_NS_24const_host_device_scalarIT6_EEPKT4_S5_PKS7_SB_S5_SD_S8_SB_S5_SD_SB_PS3_PS7_21rocsparse_index_base_SG_SG_SG_bbb
		.amdhsa_group_segment_fixed_size 0
		.amdhsa_private_segment_fixed_size 0
		.amdhsa_kernarg_size 156
		.amdhsa_user_sgpr_count 15
		.amdhsa_user_sgpr_dispatch_ptr 0
		.amdhsa_user_sgpr_queue_ptr 0
		.amdhsa_user_sgpr_kernarg_segment_ptr 1
		.amdhsa_user_sgpr_dispatch_id 0
		.amdhsa_user_sgpr_private_segment_size 0
		.amdhsa_wavefront_size32 1
		.amdhsa_uses_dynamic_stack 0
		.amdhsa_enable_private_segment 0
		.amdhsa_system_sgpr_workgroup_id_x 1
		.amdhsa_system_sgpr_workgroup_id_y 0
		.amdhsa_system_sgpr_workgroup_id_z 0
		.amdhsa_system_sgpr_workgroup_info 0
		.amdhsa_system_vgpr_workitem_id 0
		.amdhsa_next_free_vgpr 24
		.amdhsa_next_free_sgpr 49
		.amdhsa_reserve_vcc 1
		.amdhsa_float_round_mode_32 0
		.amdhsa_float_round_mode_16_64 0
		.amdhsa_float_denorm_mode_32 3
		.amdhsa_float_denorm_mode_16_64 3
		.amdhsa_dx10_clamp 1
		.amdhsa_ieee_mode 1
		.amdhsa_fp16_overflow 0
		.amdhsa_workgroup_processor_mode 1
		.amdhsa_memory_ordered 1
		.amdhsa_forward_progress 0
		.amdhsa_shared_vgpr_count 0
		.amdhsa_exception_fp_ieee_invalid_op 0
		.amdhsa_exception_fp_denorm_src 0
		.amdhsa_exception_fp_ieee_div_zero 0
		.amdhsa_exception_fp_ieee_overflow 0
		.amdhsa_exception_fp_ieee_underflow 0
		.amdhsa_exception_fp_ieee_inexact 0
		.amdhsa_exception_int_div_zero 0
	.end_amdhsa_kernel
	.section	.text._ZN9rocsparseL26csrgemm_fill_block_per_rowILj128ELj16ELj256ELj137ELj32Ell21rocsparse_complex_numIfEEEvT5_PKS3_S5_NS_24const_host_device_scalarIT6_EEPKT4_S5_PKS7_SB_S5_SD_S8_SB_S5_SD_SB_PS3_PS7_21rocsparse_index_base_SG_SG_SG_bbb,"axG",@progbits,_ZN9rocsparseL26csrgemm_fill_block_per_rowILj128ELj16ELj256ELj137ELj32Ell21rocsparse_complex_numIfEEEvT5_PKS3_S5_NS_24const_host_device_scalarIT6_EEPKT4_S5_PKS7_SB_S5_SD_S8_SB_S5_SD_SB_PS3_PS7_21rocsparse_index_base_SG_SG_SG_bbb,comdat
.Lfunc_end135:
	.size	_ZN9rocsparseL26csrgemm_fill_block_per_rowILj128ELj16ELj256ELj137ELj32Ell21rocsparse_complex_numIfEEEvT5_PKS3_S5_NS_24const_host_device_scalarIT6_EEPKT4_S5_PKS7_SB_S5_SD_S8_SB_S5_SD_SB_PS3_PS7_21rocsparse_index_base_SG_SG_SG_bbb, .Lfunc_end135-_ZN9rocsparseL26csrgemm_fill_block_per_rowILj128ELj16ELj256ELj137ELj32Ell21rocsparse_complex_numIfEEEvT5_PKS3_S5_NS_24const_host_device_scalarIT6_EEPKT4_S5_PKS7_SB_S5_SD_S8_SB_S5_SD_SB_PS3_PS7_21rocsparse_index_base_SG_SG_SG_bbb
                                        ; -- End function
	.section	.AMDGPU.csdata,"",@progbits
; Kernel info:
; codeLenInByte = 3020
; NumSgprs: 51
; NumVgprs: 24
; ScratchSize: 0
; MemoryBound: 0
; FloatMode: 240
; IeeeMode: 1
; LDSByteSize: 0 bytes/workgroup (compile time only)
; SGPRBlocks: 6
; VGPRBlocks: 2
; NumSGPRsForWavesPerEU: 51
; NumVGPRsForWavesPerEU: 24
; Occupancy: 16
; WaveLimiterHint : 1
; COMPUTE_PGM_RSRC2:SCRATCH_EN: 0
; COMPUTE_PGM_RSRC2:USER_SGPR: 15
; COMPUTE_PGM_RSRC2:TRAP_HANDLER: 0
; COMPUTE_PGM_RSRC2:TGID_X_EN: 1
; COMPUTE_PGM_RSRC2:TGID_Y_EN: 0
; COMPUTE_PGM_RSRC2:TGID_Z_EN: 0
; COMPUTE_PGM_RSRC2:TIDIG_COMP_CNT: 0
	.section	.text._ZN9rocsparseL26csrgemm_fill_block_per_rowILj128ELj16ELj256ELj137ELj64Ell21rocsparse_complex_numIfEEEvT5_PKS3_S5_NS_24const_host_device_scalarIT6_EEPKT4_S5_PKS7_SB_S5_SD_S8_SB_S5_SD_SB_PS3_PS7_21rocsparse_index_base_SG_SG_SG_bbb,"axG",@progbits,_ZN9rocsparseL26csrgemm_fill_block_per_rowILj128ELj16ELj256ELj137ELj64Ell21rocsparse_complex_numIfEEEvT5_PKS3_S5_NS_24const_host_device_scalarIT6_EEPKT4_S5_PKS7_SB_S5_SD_S8_SB_S5_SD_SB_PS3_PS7_21rocsparse_index_base_SG_SG_SG_bbb,comdat
	.globl	_ZN9rocsparseL26csrgemm_fill_block_per_rowILj128ELj16ELj256ELj137ELj64Ell21rocsparse_complex_numIfEEEvT5_PKS3_S5_NS_24const_host_device_scalarIT6_EEPKT4_S5_PKS7_SB_S5_SD_S8_SB_S5_SD_SB_PS3_PS7_21rocsparse_index_base_SG_SG_SG_bbb ; -- Begin function _ZN9rocsparseL26csrgemm_fill_block_per_rowILj128ELj16ELj256ELj137ELj64Ell21rocsparse_complex_numIfEEEvT5_PKS3_S5_NS_24const_host_device_scalarIT6_EEPKT4_S5_PKS7_SB_S5_SD_S8_SB_S5_SD_SB_PS3_PS7_21rocsparse_index_base_SG_SG_SG_bbb
	.p2align	8
	.type	_ZN9rocsparseL26csrgemm_fill_block_per_rowILj128ELj16ELj256ELj137ELj64Ell21rocsparse_complex_numIfEEEvT5_PKS3_S5_NS_24const_host_device_scalarIT6_EEPKT4_S5_PKS7_SB_S5_SD_S8_SB_S5_SD_SB_PS3_PS7_21rocsparse_index_base_SG_SG_SG_bbb,@function
_ZN9rocsparseL26csrgemm_fill_block_per_rowILj128ELj16ELj256ELj137ELj64Ell21rocsparse_complex_numIfEEEvT5_PKS3_S5_NS_24const_host_device_scalarIT6_EEPKT4_S5_PKS7_SB_S5_SD_S8_SB_S5_SD_SB_PS3_PS7_21rocsparse_index_base_SG_SG_SG_bbb: ; @_ZN9rocsparseL26csrgemm_fill_block_per_rowILj128ELj16ELj256ELj137ELj64Ell21rocsparse_complex_numIfEEEvT5_PKS3_S5_NS_24const_host_device_scalarIT6_EEPKT4_S5_PKS7_SB_S5_SD_S8_SB_S5_SD_SB_PS3_PS7_21rocsparse_index_base_SG_SG_SG_bbb
; %bb.0:
	s_mov_b32 s40, s15
	s_clause 0x6
	s_load_b32 s33, s[0:1], 0x98
	s_load_b256 s[4:11], s[0:1], 0x60
	s_load_b256 s[12:19], s[0:1], 0x40
	s_load_b128 s[36:39], s[0:1], 0x8
	s_load_b256 s[20:27], s[0:1], 0x20
	s_load_b64 s[34:35], s[0:1], 0x80
	s_load_b128 s[28:31], s[0:1], 0x88
	s_mov_b32 s3, 0
	s_mov_b32 s43, 0
	s_waitcnt lgkmcnt(0)
	s_bitcmp1_b32 s33, 0
	s_cselect_b32 s44, -1, 0
	s_bitcmp1_b32 s33, 16
	s_cselect_b32 s2, -1, 0
	s_delay_alu instid0(SALU_CYCLE_1) | instskip(SKIP_2) | instid1(VALU_DEP_1)
	s_xor_b32 s41, s2, -1
	s_bitcmp0_b32 s33, 0
	v_cndmask_b32_e64 v1, 0, 1, s41
	v_cmp_ne_u32_e32 vcc_lo, 1, v1
	s_cbranch_scc1 .LBB136_5
; %bb.1:
	s_load_b64 s[2:3], s[0:1], 0x18
	s_and_b32 vcc_lo, exec_lo, vcc_lo
	s_waitcnt lgkmcnt(0)
	s_mov_b32 s43, s2
	s_cbranch_vccnz .LBB136_3
; %bb.2:
	s_load_b32 s43, s[2:3], 0x0
.LBB136_3:
	s_and_not1_b32 vcc_lo, exec_lo, s41
	s_cbranch_vccnz .LBB136_5
; %bb.4:
	s_load_b32 s3, s[2:3], 0x4
.LBB136_5:
	s_bitcmp1_b32 s33, 8
	s_mov_b32 s42, 0
	s_cselect_b32 s2, -1, 0
	s_bfe_u32 s33, s33, 0x10008
	s_delay_alu instid0(SALU_CYCLE_1)
	s_cmp_eq_u32 s33, 0
	s_mov_b32 s33, 0
	s_cbranch_scc1 .LBB136_11
; %bb.6:
	v_cmp_ne_u32_e32 vcc_lo, 1, v1
	s_mov_b32 s33, s16
	s_cbranch_vccnz .LBB136_8
; %bb.7:
	s_load_b32 s33, s[16:17], 0x0
.LBB136_8:
	v_cmp_ne_u32_e32 vcc_lo, 1, v1
	s_cbranch_vccnz .LBB136_10
; %bb.9:
	s_load_b32 s17, s[16:17], 0x4
.LBB136_10:
	s_waitcnt lgkmcnt(0)
	s_mov_b32 s42, s17
.LBB136_11:
	s_load_b64 s[16:17], s[0:1], 0x0
	v_cmp_gt_u32_e64 s0, 0x100, v0
	v_or_b32_e32 v12, 0xffffff80, v0
	v_lshl_add_u32 v13, v0, 3, 0
	s_delay_alu instid0(VALU_DEP_3)
	s_and_saveexec_b32 s1, s0
	s_cbranch_execz .LBB136_14
; %bb.12:
	v_or_b32_e32 v3, 0xffffff80, v0
	v_lshl_add_u32 v4, v0, 3, 0
	s_waitcnt lgkmcnt(0)
	v_dual_mov_b32 v1, s16 :: v_dual_mov_b32 v2, s17
	v_mov_b32_e32 v5, 0
	s_mov_b32 s41, 0
.LBB136_13:                             ; =>This Inner Loop Header: Depth=1
	v_add_co_u32 v3, s45, 0x80, v3
	s_delay_alu instid0(VALU_DEP_1)
	s_xor_b32 s45, s45, -1
	v_add_nc_u32_e32 v6, 0x800, v4
	ds_store_b64 v4, v[1:2]
	v_add_nc_u32_e32 v4, 0x400, v4
	s_and_b32 s45, exec_lo, s45
	ds_store_2addr_b32 v6, v5, v5 offset1:1
	s_or_b32 s41, s45, s41
	s_delay_alu instid0(SALU_CYCLE_1)
	s_and_not1_b32 exec_lo, exec_lo, s41
	s_cbranch_execnz .LBB136_13
.LBB136_14:
	s_or_b32 exec_lo, exec_lo, s1
	s_waitcnt lgkmcnt(0)
	s_barrier
	buffer_gl0_inv
	s_load_b64 s[36:37], s[36:37], 0x0
	s_mov_b32 s41, 0
	s_waitcnt lgkmcnt(0)
	s_lshl_b64 s[36:37], s[36:37], 3
	s_delay_alu instid0(SALU_CYCLE_1) | instskip(SKIP_2) | instid1(SALU_CYCLE_1)
	s_add_u32 s1, s38, s36
	s_addc_u32 s38, s39, s37
	s_lshl_b64 s[36:37], s[40:41], 3
	s_add_u32 s36, s1, s36
	s_addc_u32 s37, s38, s37
	s_and_b32 vcc_lo, exec_lo, s44
	s_load_b64 s[36:37], s[36:37], 0x0
	s_cbranch_vccz .LBB136_34
; %bb.15:
	s_waitcnt lgkmcnt(0)
	s_lshl_b64 s[38:39], s[36:37], 3
	v_lshrrev_b32_e32 v1, 4, v0
	s_add_u32 s20, s20, s38
	s_addc_u32 s21, s21, s39
	s_load_b128 s[44:47], s[20:21], 0x0
	s_delay_alu instid0(VALU_DEP_1) | instskip(NEXT) | instid1(VALU_DEP_1)
	v_sub_co_u32 v1, s1, v1, s28
	v_sub_co_ci_u32_e64 v2, null, 0, 0, s1
	s_mov_b32 s1, exec_lo
	s_waitcnt lgkmcnt(0)
	s_delay_alu instid0(VALU_DEP_2) | instskip(NEXT) | instid1(VALU_DEP_2)
	v_add_co_u32 v1, vcc_lo, s44, v1
	v_add_co_ci_u32_e32 v2, vcc_lo, s45, v2, vcc_lo
	s_sub_u32 s20, s46, s28
	s_subb_u32 s21, s47, 0
	s_delay_alu instid0(VALU_DEP_1) | instid1(SALU_CYCLE_1)
	v_cmpx_gt_i64_e64 s[20:21], v[1:2]
	s_cbranch_execz .LBB136_33
; %bb.16:
	v_and_b32_e32 v3, 15, v0
	s_delay_alu instid0(VALU_DEP_1) | instskip(NEXT) | instid1(VALU_DEP_1)
	v_sub_co_u32 v11, s38, v3, s29
	v_sub_co_ci_u32_e64 v14, null, 0, 0, s38
	s_mov_b32 s38, 0
	s_branch .LBB136_18
.LBB136_17:                             ;   in Loop: Header=BB136_18 Depth=1
	s_or_b32 exec_lo, exec_lo, s39
	v_add_co_u32 v1, vcc_lo, v1, 8
	v_add_co_ci_u32_e32 v2, vcc_lo, 0, v2, vcc_lo
	s_delay_alu instid0(VALU_DEP_1) | instskip(SKIP_1) | instid1(SALU_CYCLE_1)
	v_cmp_le_i64_e32 vcc_lo, s[20:21], v[1:2]
	s_or_b32 s38, vcc_lo, s38
	s_and_not1_b32 exec_lo, exec_lo, s38
	s_cbranch_execz .LBB136_33
.LBB136_18:                             ; =>This Loop Header: Depth=1
                                        ;     Child Loop BB136_21 Depth 2
                                        ;       Child Loop BB136_23 Depth 3
	v_lshlrev_b64 v[7:8], 3, v[1:2]
	s_mov_b32 s39, exec_lo
	s_delay_alu instid0(VALU_DEP_1) | instskip(NEXT) | instid1(VALU_DEP_2)
	v_add_co_u32 v3, vcc_lo, s22, v7
	v_add_co_ci_u32_e32 v4, vcc_lo, s23, v8, vcc_lo
	global_load_b64 v[3:4], v[3:4], off
	s_waitcnt vmcnt(0)
	v_sub_co_u32 v3, vcc_lo, v3, s28
	v_subrev_co_ci_u32_e32 v4, vcc_lo, 0, v4, vcc_lo
	s_delay_alu instid0(VALU_DEP_1) | instskip(NEXT) | instid1(VALU_DEP_1)
	v_lshlrev_b64 v[3:4], 3, v[3:4]
	v_add_co_u32 v3, vcc_lo, s26, v3
	s_delay_alu instid0(VALU_DEP_2)
	v_add_co_ci_u32_e32 v4, vcc_lo, s27, v4, vcc_lo
	global_load_b128 v[15:18], v[3:4], off
	s_waitcnt vmcnt(0)
	v_sub_co_u32 v3, vcc_lo, v17, s29
	v_subrev_co_ci_u32_e32 v4, vcc_lo, 0, v18, vcc_lo
	v_add_co_u32 v5, vcc_lo, v15, v11
	v_add_co_ci_u32_e32 v6, vcc_lo, v16, v14, vcc_lo
	s_delay_alu instid0(VALU_DEP_1)
	v_cmpx_lt_i64_e64 v[5:6], v[3:4]
	s_cbranch_execz .LBB136_17
; %bb.19:                               ;   in Loop: Header=BB136_18 Depth=1
	v_add_co_u32 v7, vcc_lo, s24, v7
	v_add_co_ci_u32_e32 v8, vcc_lo, s25, v8, vcc_lo
	s_mov_b32 s40, 0
	global_load_b64 v[7:8], v[7:8], off
	s_waitcnt vmcnt(0)
	v_mul_f32_e64 v15, v8, -s3
	s_delay_alu instid0(VALU_DEP_1) | instskip(NEXT) | instid1(VALU_DEP_1)
	v_dual_mul_f32 v16, s43, v8 :: v_dual_fmac_f32 v15, s43, v7
	v_fmac_f32_e32 v16, s3, v7
	s_branch .LBB136_21
.LBB136_20:                             ;   in Loop: Header=BB136_21 Depth=2
	s_or_b32 exec_lo, exec_lo, s41
	v_add_co_u32 v5, vcc_lo, v5, 16
	v_add_co_ci_u32_e32 v6, vcc_lo, 0, v6, vcc_lo
	s_delay_alu instid0(VALU_DEP_1) | instskip(SKIP_1) | instid1(SALU_CYCLE_1)
	v_cmp_ge_i64_e32 vcc_lo, v[5:6], v[3:4]
	s_or_b32 s40, vcc_lo, s40
	s_and_not1_b32 exec_lo, exec_lo, s40
	s_cbranch_execz .LBB136_17
.LBB136_21:                             ;   Parent Loop BB136_18 Depth=1
                                        ; =>  This Loop Header: Depth=2
                                        ;       Child Loop BB136_23 Depth 3
	v_lshlrev_b64 v[7:8], 3, v[5:6]
	s_mov_b32 s41, 0
	s_delay_alu instid0(VALU_DEP_1) | instskip(NEXT) | instid1(VALU_DEP_2)
	v_add_co_u32 v9, vcc_lo, s12, v7
	v_add_co_ci_u32_e32 v10, vcc_lo, s13, v8, vcc_lo
	v_add_co_u32 v7, vcc_lo, s14, v7
	v_add_co_ci_u32_e32 v8, vcc_lo, s15, v8, vcc_lo
	global_load_b64 v[9:10], v[9:10], off
	global_load_b64 v[19:20], v[7:8], off
	s_waitcnt vmcnt(1)
	v_sub_co_u32 v7, vcc_lo, v9, s29
	v_subrev_co_ci_u32_e32 v8, vcc_lo, 0, v10, vcc_lo
	s_waitcnt vmcnt(0)
	v_mul_f32_e64 v17, v20, -v16
	s_delay_alu instid0(VALU_DEP_3) | instskip(SKIP_1) | instid1(VALU_DEP_3)
	v_mul_lo_u32 v9, 0x89, v7
	v_mul_f32_e32 v18, v15, v20
	v_fmac_f32_e32 v17, v15, v19
	s_delay_alu instid0(VALU_DEP_2)
	v_dual_fmac_f32 v18, v16, v19 :: v_dual_and_b32 v19, 0xff, v9
	s_branch .LBB136_23
.LBB136_22:                             ;   in Loop: Header=BB136_23 Depth=3
	s_or_b32 exec_lo, exec_lo, s44
	s_xor_b32 s44, s45, -1
	s_delay_alu instid0(SALU_CYCLE_1) | instskip(NEXT) | instid1(SALU_CYCLE_1)
	s_and_b32 s44, exec_lo, s44
	s_or_b32 s41, s44, s41
	s_delay_alu instid0(SALU_CYCLE_1)
	s_and_not1_b32 exec_lo, exec_lo, s41
	s_cbranch_execz .LBB136_20
.LBB136_23:                             ;   Parent Loop BB136_18 Depth=1
                                        ;     Parent Loop BB136_21 Depth=2
                                        ; =>    This Inner Loop Header: Depth=3
	s_delay_alu instid0(VALU_DEP_1)
	v_lshl_add_u32 v20, v19, 3, 0
	s_mov_b32 s44, exec_lo
                                        ; implicit-def: $sgpr45
	ds_load_b64 v[9:10], v20
	s_waitcnt lgkmcnt(0)
	v_cmpx_ne_u64_e64 v[9:10], v[7:8]
	s_xor_b32 s44, exec_lo, s44
	s_cbranch_execz .LBB136_31
; %bb.24:                               ;   in Loop: Header=BB136_23 Depth=3
	s_mov_b32 s46, exec_lo
                                        ; implicit-def: $sgpr45
	v_cmpx_ne_u64_e64 s[16:17], v[9:10]
	s_xor_b32 s46, exec_lo, s46
; %bb.25:                               ;   in Loop: Header=BB136_23 Depth=3
	v_add_nc_u32_e32 v9, 1, v19
	s_mov_b32 s45, -1
                                        ; implicit-def: $vgpr20
	s_delay_alu instid0(VALU_DEP_1)
	v_and_b32_e32 v19, 0xff, v9
; %bb.26:                               ;   in Loop: Header=BB136_23 Depth=3
	s_and_not1_saveexec_b32 s46, s46
	s_cbranch_execz .LBB136_30
; %bb.27:                               ;   in Loop: Header=BB136_23 Depth=3
	v_dual_mov_b32 v9, s16 :: v_dual_mov_b32 v10, s17
	s_mov_b32 s47, -1
	s_mov_b32 s48, exec_lo
	ds_cmpstore_rtn_b64 v[9:10], v20, v[7:8], v[9:10]
	s_waitcnt lgkmcnt(0)
	v_cmpx_eq_u64_e64 s[16:17], v[9:10]
	s_cbranch_execz .LBB136_29
; %bb.28:                               ;   in Loop: Header=BB136_23 Depth=3
	ds_add_f32 v20, v17 offset:2048
	ds_add_f32 v20, v18 offset:2052
	s_xor_b32 s47, exec_lo, -1
.LBB136_29:                             ;   in Loop: Header=BB136_23 Depth=3
	s_or_b32 exec_lo, exec_lo, s48
	s_delay_alu instid0(SALU_CYCLE_1) | instskip(SKIP_1) | instid1(SALU_CYCLE_1)
	s_and_not1_b32 s45, s45, exec_lo
	s_and_b32 s47, s47, exec_lo
	s_or_b32 s45, s45, s47
.LBB136_30:                             ;   in Loop: Header=BB136_23 Depth=3
	s_or_b32 exec_lo, exec_lo, s46
	s_delay_alu instid0(SALU_CYCLE_1)
	s_and_b32 s45, s45, exec_lo
                                        ; implicit-def: $vgpr20
.LBB136_31:                             ;   in Loop: Header=BB136_23 Depth=3
	s_and_not1_saveexec_b32 s44, s44
	s_cbranch_execz .LBB136_22
; %bb.32:                               ;   in Loop: Header=BB136_23 Depth=3
	ds_add_f32 v20, v17 offset:2048
	ds_add_f32 v20, v18 offset:2052
	s_and_not1_b32 s45, s45, exec_lo
	s_branch .LBB136_22
.LBB136_33:
	s_or_b32 exec_lo, exec_lo, s1
.LBB136_34:
	s_delay_alu instid0(SALU_CYCLE_1)
	s_and_not1_b32 vcc_lo, exec_lo, s2
	s_cbranch_vccnz .LBB136_51
; %bb.35:
	s_waitcnt lgkmcnt(0)
	s_lshl_b64 s[2:3], s[36:37], 3
	v_sub_co_u32 v1, s1, v0, s31
	s_add_u32 s2, s18, s2
	s_addc_u32 s3, s19, s3
	v_sub_co_ci_u32_e64 v2, null, 0, 0, s1
	s_load_b128 s[12:15], s[2:3], 0x0
	s_mov_b32 s1, 0
	s_waitcnt lgkmcnt(0)
	v_add_co_u32 v1, vcc_lo, s12, v1
	v_add_co_ci_u32_e32 v2, vcc_lo, s13, v2, vcc_lo
	s_sub_u32 s2, s14, s31
	s_subb_u32 s3, s15, 0
	s_mov_b32 s12, exec_lo
	s_delay_alu instid0(VALU_DEP_1)
	v_cmpx_gt_i64_e64 s[2:3], v[1:2]
	s_cbranch_execz .LBB136_50
; %bb.36:
	s_mov_b32 s13, s31
	s_branch .LBB136_38
.LBB136_37:                             ;   in Loop: Header=BB136_38 Depth=1
	s_or_b32 exec_lo, exec_lo, s14
	v_add_co_u32 v1, vcc_lo, 0x80, v1
	v_add_co_ci_u32_e32 v2, vcc_lo, 0, v2, vcc_lo
	s_delay_alu instid0(VALU_DEP_1) | instskip(SKIP_1) | instid1(SALU_CYCLE_1)
	v_cmp_le_i64_e32 vcc_lo, s[2:3], v[1:2]
	s_or_b32 s1, vcc_lo, s1
	s_and_not1_b32 exec_lo, exec_lo, s1
	s_cbranch_execz .LBB136_50
.LBB136_38:                             ; =>This Loop Header: Depth=1
                                        ;     Child Loop BB136_40 Depth 2
	v_lshlrev_b64 v[3:4], 3, v[1:2]
	s_mov_b32 s14, 0
	s_delay_alu instid0(VALU_DEP_1) | instskip(NEXT) | instid1(VALU_DEP_2)
	v_add_co_u32 v5, vcc_lo, s4, v3
	v_add_co_ci_u32_e32 v6, vcc_lo, s5, v4, vcc_lo
	v_add_co_u32 v3, vcc_lo, s6, v3
	v_add_co_ci_u32_e32 v4, vcc_lo, s7, v4, vcc_lo
	global_load_b64 v[5:6], v[5:6], off
	global_load_b64 v[9:10], v[3:4], off
	s_waitcnt vmcnt(1)
	v_sub_co_u32 v3, vcc_lo, v5, s13
	v_subrev_co_ci_u32_e32 v4, vcc_lo, 0, v6, vcc_lo
	s_waitcnt vmcnt(0)
	v_mul_f32_e64 v7, v10, -s42
	s_delay_alu instid0(VALU_DEP_3) | instskip(NEXT) | instid1(VALU_DEP_2)
	v_mul_lo_u32 v5, 0x89, v3
	v_dual_mul_f32 v8, s33, v10 :: v_dual_fmac_f32 v7, s33, v9
	s_delay_alu instid0(VALU_DEP_1) | instskip(NEXT) | instid1(VALU_DEP_3)
	v_fmac_f32_e32 v8, s42, v9
	v_and_b32_e32 v9, 0xff, v5
	s_branch .LBB136_40
.LBB136_39:                             ;   in Loop: Header=BB136_40 Depth=2
	s_or_b32 exec_lo, exec_lo, s15
	s_xor_b32 s15, s18, -1
	s_delay_alu instid0(SALU_CYCLE_1) | instskip(NEXT) | instid1(SALU_CYCLE_1)
	s_and_b32 s15, exec_lo, s15
	s_or_b32 s14, s15, s14
	s_delay_alu instid0(SALU_CYCLE_1)
	s_and_not1_b32 exec_lo, exec_lo, s14
	s_cbranch_execz .LBB136_37
.LBB136_40:                             ;   Parent Loop BB136_38 Depth=1
                                        ; =>  This Inner Loop Header: Depth=2
	s_delay_alu instid0(VALU_DEP_1)
	v_lshl_add_u32 v10, v9, 3, 0
	s_mov_b32 s15, exec_lo
                                        ; implicit-def: $sgpr18
	ds_load_b64 v[5:6], v10
	s_waitcnt lgkmcnt(0)
	v_cmpx_ne_u64_e64 v[5:6], v[3:4]
	s_xor_b32 s15, exec_lo, s15
	s_cbranch_execz .LBB136_48
; %bb.41:                               ;   in Loop: Header=BB136_40 Depth=2
	s_mov_b32 s19, exec_lo
                                        ; implicit-def: $sgpr18
	v_cmpx_ne_u64_e64 s[16:17], v[5:6]
	s_xor_b32 s19, exec_lo, s19
; %bb.42:                               ;   in Loop: Header=BB136_40 Depth=2
	v_add_nc_u32_e32 v5, 1, v9
	s_mov_b32 s18, -1
                                        ; implicit-def: $vgpr10
	s_delay_alu instid0(VALU_DEP_1)
	v_and_b32_e32 v9, 0xff, v5
; %bb.43:                               ;   in Loop: Header=BB136_40 Depth=2
	s_and_not1_saveexec_b32 s19, s19
	s_cbranch_execz .LBB136_47
; %bb.44:                               ;   in Loop: Header=BB136_40 Depth=2
	v_dual_mov_b32 v5, s16 :: v_dual_mov_b32 v6, s17
	s_mov_b32 s20, -1
	s_mov_b32 s21, exec_lo
	ds_cmpstore_rtn_b64 v[5:6], v10, v[3:4], v[5:6]
	s_waitcnt lgkmcnt(0)
	v_cmpx_eq_u64_e64 s[16:17], v[5:6]
	s_cbranch_execz .LBB136_46
; %bb.45:                               ;   in Loop: Header=BB136_40 Depth=2
	ds_add_f32 v10, v7 offset:2048
	ds_add_f32 v10, v8 offset:2052
	s_xor_b32 s20, exec_lo, -1
.LBB136_46:                             ;   in Loop: Header=BB136_40 Depth=2
	s_or_b32 exec_lo, exec_lo, s21
	s_delay_alu instid0(SALU_CYCLE_1) | instskip(SKIP_1) | instid1(SALU_CYCLE_1)
	s_and_not1_b32 s18, s18, exec_lo
	s_and_b32 s20, s20, exec_lo
	s_or_b32 s18, s18, s20
.LBB136_47:                             ;   in Loop: Header=BB136_40 Depth=2
	s_or_b32 exec_lo, exec_lo, s19
	s_delay_alu instid0(SALU_CYCLE_1)
	s_and_b32 s18, s18, exec_lo
                                        ; implicit-def: $vgpr10
.LBB136_48:                             ;   in Loop: Header=BB136_40 Depth=2
	s_and_not1_saveexec_b32 s15, s15
	s_cbranch_execz .LBB136_39
; %bb.49:                               ;   in Loop: Header=BB136_40 Depth=2
	ds_add_f32 v10, v7 offset:2048
	ds_add_f32 v10, v8 offset:2052
	s_and_not1_b32 s18, s18, exec_lo
	s_branch .LBB136_39
.LBB136_50:
	s_or_b32 exec_lo, exec_lo, s12
.LBB136_51:
	s_waitcnt lgkmcnt(0)
	s_barrier
	buffer_gl0_inv
	s_and_saveexec_b32 s3, s0
	s_cbranch_execz .LBB136_60
; %bb.52:
	v_mbcnt_lo_u32_b32 v1, -1, 0
	v_lshrrev_b32_e32 v2, 3, v0
	v_cmp_lt_u32_e32 vcc_lo, 63, v0
	v_cmp_eq_u32_e64 s0, 0x7f, v0
	s_mov_b32 s4, 0
	v_xor_b32_e32 v1, 63, v1
	v_and_b32_e32 v3, 8, v2
	v_mov_b32_e32 v5, 0
	s_delay_alu instid0(VALU_DEP_3) | instskip(NEXT) | instid1(VALU_DEP_3)
	v_lshrrev_b64 v[1:2], v1, -1
	v_add_nc_u32_e32 v14, 0, v3
	v_mov_b32_e32 v2, 0
	v_mov_b32_e32 v3, 0
	s_branch .LBB136_54
.LBB136_53:                             ;   in Loop: Header=BB136_54 Depth=1
	s_or_b32 exec_lo, exec_lo, s1
	s_waitcnt lgkmcnt(0)
	s_barrier
	buffer_gl0_inv
	ds_load_b64 v[6:7], v5 offset:4104
	v_add_co_u32 v12, s1, 0x80, v12
	s_delay_alu instid0(VALU_DEP_1) | instskip(SKIP_3) | instid1(VALU_DEP_1)
	s_xor_b32 s2, s1, -1
	v_add_nc_u32_e32 v13, 0x400, v13
	s_waitcnt lgkmcnt(0)
	v_add_co_u32 v2, s1, v6, v2
	v_add_co_ci_u32_e64 v3, s1, v7, v3, s1
	s_and_b32 s1, exec_lo, s2
	s_delay_alu instid0(SALU_CYCLE_1) | instskip(NEXT) | instid1(SALU_CYCLE_1)
	s_or_b32 s4, s1, s4
	s_and_not1_b32 exec_lo, exec_lo, s4
	s_cbranch_execz .LBB136_60
.LBB136_54:                             ; =>This Inner Loop Header: Depth=1
	ds_load_b64 v[6:7], v13
	v_add_nc_u32_e32 v4, 0x800, v13
	ds_load_2addr_b32 v[8:9], v4 offset1:1
	s_waitcnt lgkmcnt(0)
	s_barrier
	buffer_gl0_inv
	v_cmp_gt_i64_e64 s1, s[16:17], v[6:7]
	s_delay_alu instid0(VALU_DEP_1) | instskip(SKIP_1) | instid1(SALU_CYCLE_1)
	v_and_b32_e32 v10, s1, v1
	s_bcnt1_i32_b32 s2, s1
	v_mov_b32_e32 v4, s2
	s_delay_alu instid0(VALU_DEP_2)
	v_bcnt_u32_b32 v10, v10, 0
	ds_store_b64 v14, v[4:5] offset:4096
	s_waitcnt lgkmcnt(0)
	s_barrier
	buffer_gl0_inv
	s_and_saveexec_b32 s5, vcc_lo
	s_cbranch_execnz .LBB136_57
; %bb.55:                               ;   in Loop: Header=BB136_54 Depth=1
	s_or_b32 exec_lo, exec_lo, s5
	s_and_saveexec_b32 s2, s1
	s_cbranch_execnz .LBB136_58
.LBB136_56:                             ;   in Loop: Header=BB136_54 Depth=1
	s_or_b32 exec_lo, exec_lo, s2
	s_and_saveexec_b32 s1, s0
	s_cbranch_execz .LBB136_53
	s_branch .LBB136_59
.LBB136_57:                             ;   in Loop: Header=BB136_54 Depth=1
	ds_load_b64 v[15:16], v5 offset:4096
	s_waitcnt lgkmcnt(0)
	v_add_co_u32 v10, s2, v15, v10
	s_or_b32 exec_lo, exec_lo, s5
	s_and_saveexec_b32 s2, s1
	s_cbranch_execz .LBB136_56
.LBB136_58:                             ;   in Loop: Header=BB136_54 Depth=1
	s_delay_alu instid0(VALU_DEP_1) | instskip(NEXT) | instid1(VALU_DEP_1)
	v_add3_u32 v4, v2, -1, v10
	v_lshl_add_u32 v4, v4, 3, 0
	s_delay_alu instid0(VALU_DEP_1)
	v_add_nc_u32_e32 v11, 0x800, v4
	ds_store_b64 v4, v[6:7]
	ds_store_2addr_b32 v11, v8, v9 offset1:1
	s_or_b32 exec_lo, exec_lo, s2
	s_and_saveexec_b32 s1, s0
	s_cbranch_execz .LBB136_53
.LBB136_59:                             ;   in Loop: Header=BB136_54 Depth=1
	v_ashrrev_i32_e32 v11, 31, v10
	ds_store_b64 v5, v[10:11] offset:4104
	s_branch .LBB136_53
.LBB136_60:
	s_or_b32 exec_lo, exec_lo, s3
	s_lshl_b64 s[0:1], s[36:37], 3
	v_mov_b32_e32 v1, 0
	s_add_u32 s0, s8, s0
	s_addc_u32 s1, s9, s1
	s_mov_b32 s6, exec_lo
	s_load_b128 s[0:3], s[0:1], 0x0
	s_waitcnt lgkmcnt(0)
	s_sub_u32 s4, s2, s0
	s_subb_u32 s5, s3, s1
	s_delay_alu instid0(SALU_CYCLE_1)
	v_cmpx_gt_i64_e64 s[4:5], v[0:1]
	s_cbranch_execz .LBB136_70
; %bb.61:
	s_sub_u32 s8, s0, s30
	s_subb_u32 s9, s1, 0
	s_and_b32 s6, s4, 7
	s_sub_u32 s0, s0, s2
	s_subb_u32 s1, s1, s3
	s_mov_b32 s7, 0
	v_cmp_lt_u64_e64 s14, s[0:1], -7
	s_and_b32 s2, s4, -8
	s_cmp_lg_u64 s[6:7], 0
	s_mov_b32 s3, s5
	s_cselect_b32 s15, -1, 0
	s_mov_b32 s16, s7
	s_branch .LBB136_63
.LBB136_62:                             ;   in Loop: Header=BB136_63 Depth=1
	s_waitcnt lgkmcnt(1)
	v_add_co_u32 v4, vcc_lo, v4, s30
	v_lshlrev_b64 v[6:7], 3, v[6:7]
	v_add_co_ci_u32_e32 v5, vcc_lo, 0, v5, vcc_lo
	v_add_co_u32 v0, vcc_lo, 0x80, v0
	v_add_co_ci_u32_e32 v1, vcc_lo, 0, v1, vcc_lo
	s_delay_alu instid0(VALU_DEP_4) | instskip(SKIP_1) | instid1(VALU_DEP_3)
	v_add_co_u32 v8, vcc_lo, s10, v6
	v_add_co_ci_u32_e32 v9, vcc_lo, s11, v7, vcc_lo
	v_cmp_le_i64_e32 vcc_lo, s[4:5], v[0:1]
	v_add_co_u32 v6, s0, s34, v6
	s_delay_alu instid0(VALU_DEP_1) | instskip(SKIP_4) | instid1(SALU_CYCLE_1)
	v_add_co_ci_u32_e64 v7, s0, s35, v7, s0
	global_store_b64 v[8:9], v[4:5], off
	s_waitcnt lgkmcnt(0)
	global_store_b64 v[6:7], v[2:3], off
	s_or_b32 s16, vcc_lo, s16
	s_and_not1_b32 exec_lo, exec_lo, s16
	s_cbranch_execz .LBB136_70
.LBB136_63:                             ; =>This Loop Header: Depth=1
                                        ;     Child Loop BB136_65 Depth 2
                                        ;     Child Loop BB136_69 Depth 2
	v_lshl_add_u32 v2, v0, 3, 0
	s_and_not1_b32 vcc_lo, exec_lo, s14
	s_mov_b64 s[0:1], 0
	v_dual_mov_b32 v6, s8 :: v_dual_mov_b32 v7, s9
	s_delay_alu instid0(VALU_DEP_2)
	v_add_nc_u32_e32 v3, 0x800, v2
	ds_load_b64 v[4:5], v2
	ds_load_2addr_b32 v[2:3], v3 offset1:1
	s_cbranch_vccnz .LBB136_67
; %bb.64:                               ;   in Loop: Header=BB136_63 Depth=1
	v_dual_mov_b32 v6, s8 :: v_dual_mov_b32 v7, s9
	s_mov_b64 s[12:13], 0
	s_mov_b32 s1, 0
.LBB136_65:                             ;   Parent Loop BB136_63 Depth=1
                                        ; =>  This Inner Loop Header: Depth=2
	s_delay_alu instid0(SALU_CYCLE_1)
	v_mov_b32_e32 v20, s1
	s_add_u32 s12, s12, 8
	s_addc_u32 s13, s13, 0
	s_add_i32 s1, s1, 64
	s_cmp_eq_u64 s[2:3], s[12:13]
	ds_load_2addr_b64 v[8:11], v20 offset1:1
	ds_load_2addr_b64 v[12:15], v20 offset0:2 offset1:3
	ds_load_2addr_b64 v[16:19], v20 offset0:4 offset1:5
	;; [unrolled: 1-line block ×3, first 2 shown]
	s_waitcnt lgkmcnt(3)
	v_cmp_gt_i64_e32 vcc_lo, v[4:5], v[8:9]
	v_cndmask_b32_e64 v8, 0, 1, vcc_lo
	v_cmp_gt_i64_e32 vcc_lo, v[4:5], v[10:11]
	v_cndmask_b32_e64 v9, 0, 1, vcc_lo
	s_waitcnt lgkmcnt(2)
	v_cmp_gt_i64_e32 vcc_lo, v[4:5], v[12:13]
	v_cndmask_b32_e64 v10, 0, 1, vcc_lo
	v_cmp_gt_i64_e32 vcc_lo, v[4:5], v[14:15]
	v_cndmask_b32_e64 v11, 0, 1, vcc_lo
	s_waitcnt lgkmcnt(1)
	v_cmp_gt_i64_e32 vcc_lo, v[4:5], v[16:17]
	v_cndmask_b32_e64 v12, 0, 1, vcc_lo
	v_add_co_u32 v6, vcc_lo, v6, v8
	v_add_co_ci_u32_e32 v7, vcc_lo, 0, v7, vcc_lo
	v_cmp_gt_i64_e32 vcc_lo, v[4:5], v[18:19]
	s_delay_alu instid0(VALU_DEP_3) | instskip(NEXT) | instid1(VALU_DEP_1)
	v_add_co_u32 v6, s0, v6, v9
	v_add_co_ci_u32_e64 v7, s0, 0, v7, s0
	v_cndmask_b32_e64 v8, 0, 1, vcc_lo
	s_delay_alu instid0(VALU_DEP_3) | instskip(NEXT) | instid1(VALU_DEP_3)
	v_add_co_u32 v6, vcc_lo, v6, v10
	v_add_co_ci_u32_e32 v7, vcc_lo, 0, v7, vcc_lo
	s_waitcnt lgkmcnt(0)
	v_cmp_gt_i64_e32 vcc_lo, v[4:5], v[20:21]
	s_delay_alu instid0(VALU_DEP_3) | instskip(NEXT) | instid1(VALU_DEP_1)
	v_add_co_u32 v6, s0, v6, v11
	v_add_co_ci_u32_e64 v7, s0, 0, v7, s0
	v_cndmask_b32_e64 v9, 0, 1, vcc_lo
	s_delay_alu instid0(VALU_DEP_3) | instskip(NEXT) | instid1(VALU_DEP_3)
	v_add_co_u32 v6, vcc_lo, v6, v12
	v_add_co_ci_u32_e32 v7, vcc_lo, 0, v7, vcc_lo
	v_cmp_gt_i64_e32 vcc_lo, v[4:5], v[22:23]
	s_delay_alu instid0(VALU_DEP_3) | instskip(NEXT) | instid1(VALU_DEP_1)
	v_add_co_u32 v6, s0, v6, v8
	v_add_co_ci_u32_e64 v7, s0, 0, v7, s0
	v_cndmask_b32_e64 v8, 0, 1, vcc_lo
	s_delay_alu instid0(VALU_DEP_3) | instskip(NEXT) | instid1(VALU_DEP_3)
	v_add_co_u32 v6, vcc_lo, v6, v9
	v_add_co_ci_u32_e32 v7, vcc_lo, 0, v7, vcc_lo
	s_delay_alu instid0(VALU_DEP_2) | instskip(NEXT) | instid1(VALU_DEP_2)
	v_add_co_u32 v6, vcc_lo, v6, v8
	v_add_co_ci_u32_e32 v7, vcc_lo, 0, v7, vcc_lo
	s_cbranch_scc0 .LBB136_65
; %bb.66:                               ;   in Loop: Header=BB136_63 Depth=1
	s_mov_b64 s[0:1], s[2:3]
.LBB136_67:                             ;   in Loop: Header=BB136_63 Depth=1
	s_and_not1_b32 vcc_lo, exec_lo, s15
	s_cbranch_vccnz .LBB136_62
; %bb.68:                               ;   in Loop: Header=BB136_63 Depth=1
	s_lshl_b32 s0, s0, 3
	s_delay_alu instid0(SALU_CYCLE_1)
	s_add_i32 s12, s0, 0
	s_mov_b64 s[0:1], s[6:7]
.LBB136_69:                             ;   Parent Loop BB136_63 Depth=1
                                        ; =>  This Inner Loop Header: Depth=2
	v_mov_b32_e32 v8, s12
	s_add_i32 s12, s12, 8
	s_add_u32 s0, s0, -1
	s_addc_u32 s1, s1, -1
	s_delay_alu instid0(SALU_CYCLE_1) | instskip(SKIP_4) | instid1(VALU_DEP_1)
	s_cmp_lg_u64 s[0:1], 0
	ds_load_b64 v[8:9], v8
	s_waitcnt lgkmcnt(0)
	v_cmp_gt_i64_e32 vcc_lo, v[4:5], v[8:9]
	v_cndmask_b32_e64 v8, 0, 1, vcc_lo
	v_add_co_u32 v6, vcc_lo, v6, v8
	v_add_co_ci_u32_e32 v7, vcc_lo, 0, v7, vcc_lo
	s_cbranch_scc1 .LBB136_69
	s_branch .LBB136_62
.LBB136_70:
	s_nop 0
	s_sendmsg sendmsg(MSG_DEALLOC_VGPRS)
	s_endpgm
	.section	.rodata,"a",@progbits
	.p2align	6, 0x0
	.amdhsa_kernel _ZN9rocsparseL26csrgemm_fill_block_per_rowILj128ELj16ELj256ELj137ELj64Ell21rocsparse_complex_numIfEEEvT5_PKS3_S5_NS_24const_host_device_scalarIT6_EEPKT4_S5_PKS7_SB_S5_SD_S8_SB_S5_SD_SB_PS3_PS7_21rocsparse_index_base_SG_SG_SG_bbb
		.amdhsa_group_segment_fixed_size 0
		.amdhsa_private_segment_fixed_size 0
		.amdhsa_kernarg_size 156
		.amdhsa_user_sgpr_count 15
		.amdhsa_user_sgpr_dispatch_ptr 0
		.amdhsa_user_sgpr_queue_ptr 0
		.amdhsa_user_sgpr_kernarg_segment_ptr 1
		.amdhsa_user_sgpr_dispatch_id 0
		.amdhsa_user_sgpr_private_segment_size 0
		.amdhsa_wavefront_size32 1
		.amdhsa_uses_dynamic_stack 0
		.amdhsa_enable_private_segment 0
		.amdhsa_system_sgpr_workgroup_id_x 1
		.amdhsa_system_sgpr_workgroup_id_y 0
		.amdhsa_system_sgpr_workgroup_id_z 0
		.amdhsa_system_sgpr_workgroup_info 0
		.amdhsa_system_vgpr_workitem_id 0
		.amdhsa_next_free_vgpr 24
		.amdhsa_next_free_sgpr 49
		.amdhsa_reserve_vcc 1
		.amdhsa_float_round_mode_32 0
		.amdhsa_float_round_mode_16_64 0
		.amdhsa_float_denorm_mode_32 3
		.amdhsa_float_denorm_mode_16_64 3
		.amdhsa_dx10_clamp 1
		.amdhsa_ieee_mode 1
		.amdhsa_fp16_overflow 0
		.amdhsa_workgroup_processor_mode 1
		.amdhsa_memory_ordered 1
		.amdhsa_forward_progress 0
		.amdhsa_shared_vgpr_count 0
		.amdhsa_exception_fp_ieee_invalid_op 0
		.amdhsa_exception_fp_denorm_src 0
		.amdhsa_exception_fp_ieee_div_zero 0
		.amdhsa_exception_fp_ieee_overflow 0
		.amdhsa_exception_fp_ieee_underflow 0
		.amdhsa_exception_fp_ieee_inexact 0
		.amdhsa_exception_int_div_zero 0
	.end_amdhsa_kernel
	.section	.text._ZN9rocsparseL26csrgemm_fill_block_per_rowILj128ELj16ELj256ELj137ELj64Ell21rocsparse_complex_numIfEEEvT5_PKS3_S5_NS_24const_host_device_scalarIT6_EEPKT4_S5_PKS7_SB_S5_SD_S8_SB_S5_SD_SB_PS3_PS7_21rocsparse_index_base_SG_SG_SG_bbb,"axG",@progbits,_ZN9rocsparseL26csrgemm_fill_block_per_rowILj128ELj16ELj256ELj137ELj64Ell21rocsparse_complex_numIfEEEvT5_PKS3_S5_NS_24const_host_device_scalarIT6_EEPKT4_S5_PKS7_SB_S5_SD_S8_SB_S5_SD_SB_PS3_PS7_21rocsparse_index_base_SG_SG_SG_bbb,comdat
.Lfunc_end136:
	.size	_ZN9rocsparseL26csrgemm_fill_block_per_rowILj128ELj16ELj256ELj137ELj64Ell21rocsparse_complex_numIfEEEvT5_PKS3_S5_NS_24const_host_device_scalarIT6_EEPKT4_S5_PKS7_SB_S5_SD_S8_SB_S5_SD_SB_PS3_PS7_21rocsparse_index_base_SG_SG_SG_bbb, .Lfunc_end136-_ZN9rocsparseL26csrgemm_fill_block_per_rowILj128ELj16ELj256ELj137ELj64Ell21rocsparse_complex_numIfEEEvT5_PKS3_S5_NS_24const_host_device_scalarIT6_EEPKT4_S5_PKS7_SB_S5_SD_S8_SB_S5_SD_SB_PS3_PS7_21rocsparse_index_base_SG_SG_SG_bbb
                                        ; -- End function
	.section	.AMDGPU.csdata,"",@progbits
; Kernel info:
; codeLenInByte = 2924
; NumSgprs: 51
; NumVgprs: 24
; ScratchSize: 0
; MemoryBound: 0
; FloatMode: 240
; IeeeMode: 1
; LDSByteSize: 0 bytes/workgroup (compile time only)
; SGPRBlocks: 6
; VGPRBlocks: 2
; NumSGPRsForWavesPerEU: 51
; NumVGPRsForWavesPerEU: 24
; Occupancy: 16
; WaveLimiterHint : 1
; COMPUTE_PGM_RSRC2:SCRATCH_EN: 0
; COMPUTE_PGM_RSRC2:USER_SGPR: 15
; COMPUTE_PGM_RSRC2:TRAP_HANDLER: 0
; COMPUTE_PGM_RSRC2:TGID_X_EN: 1
; COMPUTE_PGM_RSRC2:TGID_Y_EN: 0
; COMPUTE_PGM_RSRC2:TGID_Z_EN: 0
; COMPUTE_PGM_RSRC2:TIDIG_COMP_CNT: 0
	.section	.text._ZN9rocsparseL26csrgemm_fill_block_per_rowILj256ELj32ELj512ELj137ELj32Ell21rocsparse_complex_numIfEEEvT5_PKS3_S5_NS_24const_host_device_scalarIT6_EEPKT4_S5_PKS7_SB_S5_SD_S8_SB_S5_SD_SB_PS3_PS7_21rocsparse_index_base_SG_SG_SG_bbb,"axG",@progbits,_ZN9rocsparseL26csrgemm_fill_block_per_rowILj256ELj32ELj512ELj137ELj32Ell21rocsparse_complex_numIfEEEvT5_PKS3_S5_NS_24const_host_device_scalarIT6_EEPKT4_S5_PKS7_SB_S5_SD_S8_SB_S5_SD_SB_PS3_PS7_21rocsparse_index_base_SG_SG_SG_bbb,comdat
	.globl	_ZN9rocsparseL26csrgemm_fill_block_per_rowILj256ELj32ELj512ELj137ELj32Ell21rocsparse_complex_numIfEEEvT5_PKS3_S5_NS_24const_host_device_scalarIT6_EEPKT4_S5_PKS7_SB_S5_SD_S8_SB_S5_SD_SB_PS3_PS7_21rocsparse_index_base_SG_SG_SG_bbb ; -- Begin function _ZN9rocsparseL26csrgemm_fill_block_per_rowILj256ELj32ELj512ELj137ELj32Ell21rocsparse_complex_numIfEEEvT5_PKS3_S5_NS_24const_host_device_scalarIT6_EEPKT4_S5_PKS7_SB_S5_SD_S8_SB_S5_SD_SB_PS3_PS7_21rocsparse_index_base_SG_SG_SG_bbb
	.p2align	8
	.type	_ZN9rocsparseL26csrgemm_fill_block_per_rowILj256ELj32ELj512ELj137ELj32Ell21rocsparse_complex_numIfEEEvT5_PKS3_S5_NS_24const_host_device_scalarIT6_EEPKT4_S5_PKS7_SB_S5_SD_S8_SB_S5_SD_SB_PS3_PS7_21rocsparse_index_base_SG_SG_SG_bbb,@function
_ZN9rocsparseL26csrgemm_fill_block_per_rowILj256ELj32ELj512ELj137ELj32Ell21rocsparse_complex_numIfEEEvT5_PKS3_S5_NS_24const_host_device_scalarIT6_EEPKT4_S5_PKS7_SB_S5_SD_S8_SB_S5_SD_SB_PS3_PS7_21rocsparse_index_base_SG_SG_SG_bbb: ; @_ZN9rocsparseL26csrgemm_fill_block_per_rowILj256ELj32ELj512ELj137ELj32Ell21rocsparse_complex_numIfEEEvT5_PKS3_S5_NS_24const_host_device_scalarIT6_EEPKT4_S5_PKS7_SB_S5_SD_S8_SB_S5_SD_SB_PS3_PS7_21rocsparse_index_base_SG_SG_SG_bbb
; %bb.0:
	s_mov_b32 s40, s15
	s_clause 0x6
	s_load_b32 s33, s[0:1], 0x98
	s_load_b256 s[4:11], s[0:1], 0x60
	s_load_b256 s[12:19], s[0:1], 0x40
	s_load_b128 s[36:39], s[0:1], 0x8
	s_load_b256 s[20:27], s[0:1], 0x20
	s_load_b64 s[34:35], s[0:1], 0x80
	s_load_b128 s[28:31], s[0:1], 0x88
	s_mov_b32 s3, 0
	s_mov_b32 s43, 0
	s_waitcnt lgkmcnt(0)
	s_bitcmp1_b32 s33, 0
	s_cselect_b32 s44, -1, 0
	s_bitcmp1_b32 s33, 16
	s_cselect_b32 s2, -1, 0
	s_delay_alu instid0(SALU_CYCLE_1) | instskip(SKIP_2) | instid1(VALU_DEP_1)
	s_xor_b32 s41, s2, -1
	s_bitcmp0_b32 s33, 0
	v_cndmask_b32_e64 v1, 0, 1, s41
	v_cmp_ne_u32_e32 vcc_lo, 1, v1
	s_cbranch_scc1 .LBB137_5
; %bb.1:
	s_load_b64 s[2:3], s[0:1], 0x18
	s_and_b32 vcc_lo, exec_lo, vcc_lo
	s_waitcnt lgkmcnt(0)
	s_mov_b32 s43, s2
	s_cbranch_vccnz .LBB137_3
; %bb.2:
	s_load_b32 s43, s[2:3], 0x0
.LBB137_3:
	s_and_not1_b32 vcc_lo, exec_lo, s41
	s_cbranch_vccnz .LBB137_5
; %bb.4:
	s_load_b32 s3, s[2:3], 0x4
.LBB137_5:
	s_bitcmp1_b32 s33, 8
	s_mov_b32 s42, 0
	s_cselect_b32 s2, -1, 0
	s_bfe_u32 s33, s33, 0x10008
	s_delay_alu instid0(SALU_CYCLE_1)
	s_cmp_eq_u32 s33, 0
	s_mov_b32 s33, 0
	s_cbranch_scc1 .LBB137_11
; %bb.6:
	v_cmp_ne_u32_e32 vcc_lo, 1, v1
	s_mov_b32 s33, s16
	s_cbranch_vccnz .LBB137_8
; %bb.7:
	s_load_b32 s33, s[16:17], 0x0
.LBB137_8:
	v_cmp_ne_u32_e32 vcc_lo, 1, v1
	s_cbranch_vccnz .LBB137_10
; %bb.9:
	s_load_b32 s17, s[16:17], 0x4
.LBB137_10:
	s_waitcnt lgkmcnt(0)
	s_mov_b32 s42, s17
.LBB137_11:
	s_load_b64 s[16:17], s[0:1], 0x0
	v_cmp_gt_u32_e64 s0, 0x200, v0
	v_or_b32_e32 v12, 0xffffff00, v0
	v_lshl_add_u32 v13, v0, 3, 0
	s_delay_alu instid0(VALU_DEP_3)
	s_and_saveexec_b32 s1, s0
	s_cbranch_execz .LBB137_14
; %bb.12:
	v_or_b32_e32 v3, 0xffffff00, v0
	v_lshl_add_u32 v4, v0, 3, 0
	s_waitcnt lgkmcnt(0)
	v_dual_mov_b32 v1, s16 :: v_dual_mov_b32 v2, s17
	v_mov_b32_e32 v5, 0
	s_mov_b32 s41, 0
.LBB137_13:                             ; =>This Inner Loop Header: Depth=1
	v_add_co_u32 v3, s45, 0x100, v3
	s_delay_alu instid0(VALU_DEP_1)
	s_xor_b32 s45, s45, -1
	v_add_nc_u32_e32 v6, 0x1000, v4
	ds_store_b64 v4, v[1:2]
	v_add_nc_u32_e32 v4, 0x800, v4
	s_and_b32 s45, exec_lo, s45
	ds_store_2addr_b32 v6, v5, v5 offset1:1
	s_or_b32 s41, s45, s41
	s_delay_alu instid0(SALU_CYCLE_1)
	s_and_not1_b32 exec_lo, exec_lo, s41
	s_cbranch_execnz .LBB137_13
.LBB137_14:
	s_or_b32 exec_lo, exec_lo, s1
	s_waitcnt lgkmcnt(0)
	s_barrier
	buffer_gl0_inv
	s_load_b64 s[36:37], s[36:37], 0x0
	s_mov_b32 s41, 0
	v_lshrrev_b32_e32 v11, 5, v0
	s_waitcnt lgkmcnt(0)
	s_lshl_b64 s[36:37], s[36:37], 3
	s_delay_alu instid0(SALU_CYCLE_1) | instskip(SKIP_2) | instid1(SALU_CYCLE_1)
	s_add_u32 s1, s38, s36
	s_addc_u32 s38, s39, s37
	s_lshl_b64 s[36:37], s[40:41], 3
	s_add_u32 s36, s1, s36
	s_addc_u32 s37, s38, s37
	s_and_b32 vcc_lo, exec_lo, s44
	s_load_b64 s[36:37], s[36:37], 0x0
	s_cbranch_vccz .LBB137_34
; %bb.15:
	s_waitcnt lgkmcnt(0)
	s_lshl_b64 s[38:39], s[36:37], 3
	v_sub_co_u32 v1, s1, v11, s28
	s_add_u32 s20, s20, s38
	s_addc_u32 s21, s21, s39
	v_sub_co_ci_u32_e64 v2, null, 0, 0, s1
	s_load_b128 s[44:47], s[20:21], 0x0
	s_mov_b32 s1, exec_lo
	s_waitcnt lgkmcnt(0)
	v_add_co_u32 v1, vcc_lo, s44, v1
	v_add_co_ci_u32_e32 v2, vcc_lo, s45, v2, vcc_lo
	s_sub_u32 s20, s46, s28
	s_subb_u32 s21, s47, 0
	s_delay_alu instid0(VALU_DEP_1) | instid1(SALU_CYCLE_1)
	v_cmpx_gt_i64_e64 s[20:21], v[1:2]
	s_cbranch_execz .LBB137_33
; %bb.16:
	v_and_b32_e32 v3, 31, v0
	s_delay_alu instid0(VALU_DEP_1) | instskip(NEXT) | instid1(VALU_DEP_1)
	v_sub_co_u32 v14, s38, v3, s29
	v_sub_co_ci_u32_e64 v15, null, 0, 0, s38
	s_mov_b32 s38, 0
	s_branch .LBB137_18
.LBB137_17:                             ;   in Loop: Header=BB137_18 Depth=1
	s_or_b32 exec_lo, exec_lo, s39
	v_add_co_u32 v1, vcc_lo, v1, 8
	v_add_co_ci_u32_e32 v2, vcc_lo, 0, v2, vcc_lo
	s_delay_alu instid0(VALU_DEP_1) | instskip(SKIP_1) | instid1(SALU_CYCLE_1)
	v_cmp_le_i64_e32 vcc_lo, s[20:21], v[1:2]
	s_or_b32 s38, vcc_lo, s38
	s_and_not1_b32 exec_lo, exec_lo, s38
	s_cbranch_execz .LBB137_33
.LBB137_18:                             ; =>This Loop Header: Depth=1
                                        ;     Child Loop BB137_21 Depth 2
                                        ;       Child Loop BB137_23 Depth 3
	v_lshlrev_b64 v[7:8], 3, v[1:2]
	s_mov_b32 s39, exec_lo
	s_delay_alu instid0(VALU_DEP_1) | instskip(NEXT) | instid1(VALU_DEP_2)
	v_add_co_u32 v3, vcc_lo, s22, v7
	v_add_co_ci_u32_e32 v4, vcc_lo, s23, v8, vcc_lo
	global_load_b64 v[3:4], v[3:4], off
	s_waitcnt vmcnt(0)
	v_sub_co_u32 v3, vcc_lo, v3, s28
	v_subrev_co_ci_u32_e32 v4, vcc_lo, 0, v4, vcc_lo
	s_delay_alu instid0(VALU_DEP_1) | instskip(NEXT) | instid1(VALU_DEP_1)
	v_lshlrev_b64 v[3:4], 3, v[3:4]
	v_add_co_u32 v3, vcc_lo, s26, v3
	s_delay_alu instid0(VALU_DEP_2)
	v_add_co_ci_u32_e32 v4, vcc_lo, s27, v4, vcc_lo
	global_load_b128 v[16:19], v[3:4], off
	s_waitcnt vmcnt(0)
	v_sub_co_u32 v3, vcc_lo, v18, s29
	v_subrev_co_ci_u32_e32 v4, vcc_lo, 0, v19, vcc_lo
	v_add_co_u32 v5, vcc_lo, v16, v14
	v_add_co_ci_u32_e32 v6, vcc_lo, v17, v15, vcc_lo
	s_delay_alu instid0(VALU_DEP_1)
	v_cmpx_lt_i64_e64 v[5:6], v[3:4]
	s_cbranch_execz .LBB137_17
; %bb.19:                               ;   in Loop: Header=BB137_18 Depth=1
	v_add_co_u32 v7, vcc_lo, s24, v7
	v_add_co_ci_u32_e32 v8, vcc_lo, s25, v8, vcc_lo
	s_mov_b32 s40, 0
	global_load_b64 v[7:8], v[7:8], off
	s_waitcnt vmcnt(0)
	v_mul_f32_e64 v16, v8, -s3
	s_delay_alu instid0(VALU_DEP_1) | instskip(NEXT) | instid1(VALU_DEP_1)
	v_dual_mul_f32 v17, s43, v8 :: v_dual_fmac_f32 v16, s43, v7
	v_fmac_f32_e32 v17, s3, v7
	s_branch .LBB137_21
.LBB137_20:                             ;   in Loop: Header=BB137_21 Depth=2
	s_or_b32 exec_lo, exec_lo, s41
	v_add_co_u32 v5, vcc_lo, v5, 32
	v_add_co_ci_u32_e32 v6, vcc_lo, 0, v6, vcc_lo
	s_delay_alu instid0(VALU_DEP_1) | instskip(SKIP_1) | instid1(SALU_CYCLE_1)
	v_cmp_ge_i64_e32 vcc_lo, v[5:6], v[3:4]
	s_or_b32 s40, vcc_lo, s40
	s_and_not1_b32 exec_lo, exec_lo, s40
	s_cbranch_execz .LBB137_17
.LBB137_21:                             ;   Parent Loop BB137_18 Depth=1
                                        ; =>  This Loop Header: Depth=2
                                        ;       Child Loop BB137_23 Depth 3
	v_lshlrev_b64 v[7:8], 3, v[5:6]
	s_mov_b32 s41, 0
	s_delay_alu instid0(VALU_DEP_1) | instskip(NEXT) | instid1(VALU_DEP_2)
	v_add_co_u32 v9, vcc_lo, s12, v7
	v_add_co_ci_u32_e32 v10, vcc_lo, s13, v8, vcc_lo
	v_add_co_u32 v7, vcc_lo, s14, v7
	v_add_co_ci_u32_e32 v8, vcc_lo, s15, v8, vcc_lo
	global_load_b64 v[9:10], v[9:10], off
	global_load_b64 v[20:21], v[7:8], off
	s_waitcnt vmcnt(1)
	v_sub_co_u32 v7, vcc_lo, v9, s29
	v_subrev_co_ci_u32_e32 v8, vcc_lo, 0, v10, vcc_lo
	s_waitcnt vmcnt(0)
	v_mul_f32_e64 v18, v21, -v17
	s_delay_alu instid0(VALU_DEP_3) | instskip(SKIP_1) | instid1(VALU_DEP_3)
	v_mul_lo_u32 v9, 0x89, v7
	v_mul_f32_e32 v19, v16, v21
	v_fmac_f32_e32 v18, v16, v20
	s_delay_alu instid0(VALU_DEP_2)
	v_dual_fmac_f32 v19, v17, v20 :: v_dual_and_b32 v20, 0x1ff, v9
	s_branch .LBB137_23
.LBB137_22:                             ;   in Loop: Header=BB137_23 Depth=3
	s_or_b32 exec_lo, exec_lo, s44
	s_xor_b32 s44, s45, -1
	s_delay_alu instid0(SALU_CYCLE_1) | instskip(NEXT) | instid1(SALU_CYCLE_1)
	s_and_b32 s44, exec_lo, s44
	s_or_b32 s41, s44, s41
	s_delay_alu instid0(SALU_CYCLE_1)
	s_and_not1_b32 exec_lo, exec_lo, s41
	s_cbranch_execz .LBB137_20
.LBB137_23:                             ;   Parent Loop BB137_18 Depth=1
                                        ;     Parent Loop BB137_21 Depth=2
                                        ; =>    This Inner Loop Header: Depth=3
	s_delay_alu instid0(VALU_DEP_1)
	v_lshl_add_u32 v21, v20, 3, 0
	s_mov_b32 s44, exec_lo
                                        ; implicit-def: $sgpr45
	ds_load_b64 v[9:10], v21
	s_waitcnt lgkmcnt(0)
	v_cmpx_ne_u64_e64 v[9:10], v[7:8]
	s_xor_b32 s44, exec_lo, s44
	s_cbranch_execz .LBB137_31
; %bb.24:                               ;   in Loop: Header=BB137_23 Depth=3
	s_mov_b32 s46, exec_lo
                                        ; implicit-def: $sgpr45
	v_cmpx_ne_u64_e64 s[16:17], v[9:10]
	s_xor_b32 s46, exec_lo, s46
; %bb.25:                               ;   in Loop: Header=BB137_23 Depth=3
	v_add_nc_u32_e32 v9, 1, v20
	s_mov_b32 s45, -1
                                        ; implicit-def: $vgpr21
	s_delay_alu instid0(VALU_DEP_1)
	v_and_b32_e32 v20, 0x1ff, v9
; %bb.26:                               ;   in Loop: Header=BB137_23 Depth=3
	s_and_not1_saveexec_b32 s46, s46
	s_cbranch_execz .LBB137_30
; %bb.27:                               ;   in Loop: Header=BB137_23 Depth=3
	v_dual_mov_b32 v9, s16 :: v_dual_mov_b32 v10, s17
	s_mov_b32 s47, -1
	s_mov_b32 s48, exec_lo
	ds_cmpstore_rtn_b64 v[9:10], v21, v[7:8], v[9:10]
	s_waitcnt lgkmcnt(0)
	v_cmpx_eq_u64_e64 s[16:17], v[9:10]
	s_cbranch_execz .LBB137_29
; %bb.28:                               ;   in Loop: Header=BB137_23 Depth=3
	ds_add_f32 v21, v18 offset:4096
	ds_add_f32 v21, v19 offset:4100
	s_xor_b32 s47, exec_lo, -1
.LBB137_29:                             ;   in Loop: Header=BB137_23 Depth=3
	s_or_b32 exec_lo, exec_lo, s48
	s_delay_alu instid0(SALU_CYCLE_1) | instskip(SKIP_1) | instid1(SALU_CYCLE_1)
	s_and_not1_b32 s45, s45, exec_lo
	s_and_b32 s47, s47, exec_lo
	s_or_b32 s45, s45, s47
.LBB137_30:                             ;   in Loop: Header=BB137_23 Depth=3
	s_or_b32 exec_lo, exec_lo, s46
	s_delay_alu instid0(SALU_CYCLE_1)
	s_and_b32 s45, s45, exec_lo
                                        ; implicit-def: $vgpr21
.LBB137_31:                             ;   in Loop: Header=BB137_23 Depth=3
	s_and_not1_saveexec_b32 s44, s44
	s_cbranch_execz .LBB137_22
; %bb.32:                               ;   in Loop: Header=BB137_23 Depth=3
	ds_add_f32 v21, v18 offset:4096
	ds_add_f32 v21, v19 offset:4100
	s_and_not1_b32 s45, s45, exec_lo
	s_branch .LBB137_22
.LBB137_33:
	s_or_b32 exec_lo, exec_lo, s1
.LBB137_34:
	s_delay_alu instid0(SALU_CYCLE_1)
	s_and_not1_b32 vcc_lo, exec_lo, s2
	s_cbranch_vccnz .LBB137_51
; %bb.35:
	s_waitcnt lgkmcnt(0)
	s_lshl_b64 s[2:3], s[36:37], 3
	v_sub_co_u32 v1, s1, v0, s31
	s_add_u32 s2, s18, s2
	s_addc_u32 s3, s19, s3
	v_sub_co_ci_u32_e64 v2, null, 0, 0, s1
	s_load_b128 s[12:15], s[2:3], 0x0
	s_mov_b32 s1, 0
	s_waitcnt lgkmcnt(0)
	v_add_co_u32 v1, vcc_lo, s12, v1
	v_add_co_ci_u32_e32 v2, vcc_lo, s13, v2, vcc_lo
	s_sub_u32 s2, s14, s31
	s_subb_u32 s3, s15, 0
	s_mov_b32 s12, exec_lo
	s_delay_alu instid0(VALU_DEP_1)
	v_cmpx_gt_i64_e64 s[2:3], v[1:2]
	s_cbranch_execz .LBB137_50
; %bb.36:
	s_mov_b32 s13, s31
	s_branch .LBB137_38
.LBB137_37:                             ;   in Loop: Header=BB137_38 Depth=1
	s_or_b32 exec_lo, exec_lo, s14
	v_add_co_u32 v1, vcc_lo, 0x100, v1
	v_add_co_ci_u32_e32 v2, vcc_lo, 0, v2, vcc_lo
	s_delay_alu instid0(VALU_DEP_1) | instskip(SKIP_1) | instid1(SALU_CYCLE_1)
	v_cmp_le_i64_e32 vcc_lo, s[2:3], v[1:2]
	s_or_b32 s1, vcc_lo, s1
	s_and_not1_b32 exec_lo, exec_lo, s1
	s_cbranch_execz .LBB137_50
.LBB137_38:                             ; =>This Loop Header: Depth=1
                                        ;     Child Loop BB137_40 Depth 2
	v_lshlrev_b64 v[3:4], 3, v[1:2]
	s_mov_b32 s14, 0
	s_delay_alu instid0(VALU_DEP_1) | instskip(NEXT) | instid1(VALU_DEP_2)
	v_add_co_u32 v5, vcc_lo, s4, v3
	v_add_co_ci_u32_e32 v6, vcc_lo, s5, v4, vcc_lo
	v_add_co_u32 v3, vcc_lo, s6, v3
	v_add_co_ci_u32_e32 v4, vcc_lo, s7, v4, vcc_lo
	global_load_b64 v[5:6], v[5:6], off
	global_load_b64 v[9:10], v[3:4], off
	s_waitcnt vmcnt(1)
	v_sub_co_u32 v3, vcc_lo, v5, s13
	v_subrev_co_ci_u32_e32 v4, vcc_lo, 0, v6, vcc_lo
	s_waitcnt vmcnt(0)
	v_mul_f32_e64 v7, v10, -s42
	s_delay_alu instid0(VALU_DEP_3) | instskip(NEXT) | instid1(VALU_DEP_2)
	v_mul_lo_u32 v5, 0x89, v3
	v_dual_mul_f32 v8, s33, v10 :: v_dual_fmac_f32 v7, s33, v9
	s_delay_alu instid0(VALU_DEP_1) | instskip(NEXT) | instid1(VALU_DEP_3)
	v_fmac_f32_e32 v8, s42, v9
	v_and_b32_e32 v9, 0x1ff, v5
	s_branch .LBB137_40
.LBB137_39:                             ;   in Loop: Header=BB137_40 Depth=2
	s_or_b32 exec_lo, exec_lo, s15
	s_xor_b32 s15, s18, -1
	s_delay_alu instid0(SALU_CYCLE_1) | instskip(NEXT) | instid1(SALU_CYCLE_1)
	s_and_b32 s15, exec_lo, s15
	s_or_b32 s14, s15, s14
	s_delay_alu instid0(SALU_CYCLE_1)
	s_and_not1_b32 exec_lo, exec_lo, s14
	s_cbranch_execz .LBB137_37
.LBB137_40:                             ;   Parent Loop BB137_38 Depth=1
                                        ; =>  This Inner Loop Header: Depth=2
	s_delay_alu instid0(VALU_DEP_1)
	v_lshl_add_u32 v10, v9, 3, 0
	s_mov_b32 s15, exec_lo
                                        ; implicit-def: $sgpr18
	ds_load_b64 v[5:6], v10
	s_waitcnt lgkmcnt(0)
	v_cmpx_ne_u64_e64 v[5:6], v[3:4]
	s_xor_b32 s15, exec_lo, s15
	s_cbranch_execz .LBB137_48
; %bb.41:                               ;   in Loop: Header=BB137_40 Depth=2
	s_mov_b32 s19, exec_lo
                                        ; implicit-def: $sgpr18
	v_cmpx_ne_u64_e64 s[16:17], v[5:6]
	s_xor_b32 s19, exec_lo, s19
; %bb.42:                               ;   in Loop: Header=BB137_40 Depth=2
	v_add_nc_u32_e32 v5, 1, v9
	s_mov_b32 s18, -1
                                        ; implicit-def: $vgpr10
	s_delay_alu instid0(VALU_DEP_1)
	v_and_b32_e32 v9, 0x1ff, v5
; %bb.43:                               ;   in Loop: Header=BB137_40 Depth=2
	s_and_not1_saveexec_b32 s19, s19
	s_cbranch_execz .LBB137_47
; %bb.44:                               ;   in Loop: Header=BB137_40 Depth=2
	v_dual_mov_b32 v5, s16 :: v_dual_mov_b32 v6, s17
	s_mov_b32 s20, -1
	s_mov_b32 s21, exec_lo
	ds_cmpstore_rtn_b64 v[5:6], v10, v[3:4], v[5:6]
	s_waitcnt lgkmcnt(0)
	v_cmpx_eq_u64_e64 s[16:17], v[5:6]
	s_cbranch_execz .LBB137_46
; %bb.45:                               ;   in Loop: Header=BB137_40 Depth=2
	ds_add_f32 v10, v7 offset:4096
	ds_add_f32 v10, v8 offset:4100
	s_xor_b32 s20, exec_lo, -1
.LBB137_46:                             ;   in Loop: Header=BB137_40 Depth=2
	s_or_b32 exec_lo, exec_lo, s21
	s_delay_alu instid0(SALU_CYCLE_1) | instskip(SKIP_1) | instid1(SALU_CYCLE_1)
	s_and_not1_b32 s18, s18, exec_lo
	s_and_b32 s20, s20, exec_lo
	s_or_b32 s18, s18, s20
.LBB137_47:                             ;   in Loop: Header=BB137_40 Depth=2
	s_or_b32 exec_lo, exec_lo, s19
	s_delay_alu instid0(SALU_CYCLE_1)
	s_and_b32 s18, s18, exec_lo
                                        ; implicit-def: $vgpr10
.LBB137_48:                             ;   in Loop: Header=BB137_40 Depth=2
	s_and_not1_saveexec_b32 s15, s15
	s_cbranch_execz .LBB137_39
; %bb.49:                               ;   in Loop: Header=BB137_40 Depth=2
	ds_add_f32 v10, v7 offset:4096
	ds_add_f32 v10, v8 offset:4100
	s_and_not1_b32 s18, s18, exec_lo
	s_branch .LBB137_39
.LBB137_50:
	s_or_b32 exec_lo, exec_lo, s12
.LBB137_51:
	s_waitcnt lgkmcnt(0)
	s_barrier
	buffer_gl0_inv
	s_and_saveexec_b32 s12, s0
	s_cbranch_execz .LBB137_72
; %bb.52:
	v_mbcnt_lo_u32_b32 v1, -1, 0
	v_lshl_add_u32 v14, v11, 3, 0
	v_cmp_eq_u32_e32 vcc_lo, 0xff, v0
	v_cmp_lt_u32_e64 s0, 31, v0
	v_cmp_lt_u32_e64 s1, 63, v0
	v_xor_b32_e32 v1, 63, v1
	v_cmp_lt_u32_e64 s2, 0x5f, v0
	v_cmp_lt_u32_e64 s3, 0x7f, v0
	;; [unrolled: 1-line block ×4, first 2 shown]
	v_lshrrev_b64 v[1:2], v1, -1
	v_dual_mov_b32 v2, 0 :: v_dual_mov_b32 v5, 0
	v_cmp_lt_u32_e64 s6, 0xdf, v0
	v_mov_b32_e32 v3, 0
	s_mov_b32 s13, 0
	s_branch .LBB137_54
.LBB137_53:                             ;   in Loop: Header=BB137_54 Depth=1
	s_or_b32 exec_lo, exec_lo, s7
	s_waitcnt lgkmcnt(0)
	s_barrier
	buffer_gl0_inv
	ds_load_b64 v[6:7], v5 offset:8248
	v_add_co_u32 v12, s7, 0x100, v12
	s_delay_alu instid0(VALU_DEP_1) | instskip(SKIP_3) | instid1(VALU_DEP_1)
	s_xor_b32 s14, s7, -1
	v_add_nc_u32_e32 v13, 0x800, v13
	s_waitcnt lgkmcnt(0)
	v_add_co_u32 v2, s7, v6, v2
	v_add_co_ci_u32_e64 v3, s7, v7, v3, s7
	s_and_b32 s7, exec_lo, s14
	s_delay_alu instid0(SALU_CYCLE_1) | instskip(NEXT) | instid1(SALU_CYCLE_1)
	s_or_b32 s13, s7, s13
	s_and_not1_b32 exec_lo, exec_lo, s13
	s_cbranch_execz .LBB137_72
.LBB137_54:                             ; =>This Inner Loop Header: Depth=1
	ds_load_b64 v[6:7], v13
	v_add_nc_u32_e32 v4, 0x1000, v13
	ds_load_2addr_b32 v[8:9], v4 offset1:1
	s_waitcnt lgkmcnt(0)
	s_barrier
	buffer_gl0_inv
	v_cmp_gt_i64_e64 s7, s[16:17], v[6:7]
	s_delay_alu instid0(VALU_DEP_1) | instskip(SKIP_1) | instid1(SALU_CYCLE_1)
	v_and_b32_e32 v10, s7, v1
	s_bcnt1_i32_b32 s14, s7
	v_mov_b32_e32 v4, s14
	s_delay_alu instid0(VALU_DEP_2)
	v_bcnt_u32_b32 v10, v10, 0
	ds_store_b64 v14, v[4:5] offset:8192
	s_waitcnt lgkmcnt(0)
	s_barrier
	buffer_gl0_inv
	s_and_saveexec_b32 s14, s0
	s_cbranch_execnz .LBB137_63
; %bb.55:                               ;   in Loop: Header=BB137_54 Depth=1
	s_or_b32 exec_lo, exec_lo, s14
	s_and_saveexec_b32 s14, s1
	s_cbranch_execnz .LBB137_64
.LBB137_56:                             ;   in Loop: Header=BB137_54 Depth=1
	s_or_b32 exec_lo, exec_lo, s14
	s_and_saveexec_b32 s14, s2
	s_cbranch_execnz .LBB137_65
.LBB137_57:                             ;   in Loop: Header=BB137_54 Depth=1
	s_or_b32 exec_lo, exec_lo, s14
	s_and_saveexec_b32 s14, s3
	s_cbranch_execnz .LBB137_66
.LBB137_58:                             ;   in Loop: Header=BB137_54 Depth=1
	s_or_b32 exec_lo, exec_lo, s14
	s_and_saveexec_b32 s14, s4
	s_cbranch_execnz .LBB137_67
.LBB137_59:                             ;   in Loop: Header=BB137_54 Depth=1
	s_or_b32 exec_lo, exec_lo, s14
	s_and_saveexec_b32 s14, s5
	s_cbranch_execnz .LBB137_68
.LBB137_60:                             ;   in Loop: Header=BB137_54 Depth=1
	s_or_b32 exec_lo, exec_lo, s14
	s_and_saveexec_b32 s14, s6
	s_cbranch_execnz .LBB137_69
.LBB137_61:                             ;   in Loop: Header=BB137_54 Depth=1
	s_or_b32 exec_lo, exec_lo, s14
	v_ashrrev_i32_e32 v11, 31, v10
	s_and_saveexec_b32 s14, s7
	s_cbranch_execnz .LBB137_70
.LBB137_62:                             ;   in Loop: Header=BB137_54 Depth=1
	s_or_b32 exec_lo, exec_lo, s14
	s_and_saveexec_b32 s7, vcc_lo
	s_cbranch_execz .LBB137_53
	s_branch .LBB137_71
.LBB137_63:                             ;   in Loop: Header=BB137_54 Depth=1
	ds_load_b32 v4, v5 offset:8192
	s_waitcnt lgkmcnt(0)
	v_add_nc_u32_e32 v10, v4, v10
	s_or_b32 exec_lo, exec_lo, s14
	s_and_saveexec_b32 s14, s1
	s_cbranch_execz .LBB137_56
.LBB137_64:                             ;   in Loop: Header=BB137_54 Depth=1
	ds_load_b32 v4, v5 offset:8200
	s_waitcnt lgkmcnt(0)
	v_add_nc_u32_e32 v10, v10, v4
	s_or_b32 exec_lo, exec_lo, s14
	s_and_saveexec_b32 s14, s2
	s_cbranch_execz .LBB137_57
.LBB137_65:                             ;   in Loop: Header=BB137_54 Depth=1
	ds_load_b32 v4, v5 offset:8208
	s_waitcnt lgkmcnt(0)
	v_add_nc_u32_e32 v10, v10, v4
	s_or_b32 exec_lo, exec_lo, s14
	s_and_saveexec_b32 s14, s3
	s_cbranch_execz .LBB137_58
.LBB137_66:                             ;   in Loop: Header=BB137_54 Depth=1
	ds_load_b32 v4, v5 offset:8216
	s_waitcnt lgkmcnt(0)
	v_add_nc_u32_e32 v10, v10, v4
	s_or_b32 exec_lo, exec_lo, s14
	s_and_saveexec_b32 s14, s4
	s_cbranch_execz .LBB137_59
.LBB137_67:                             ;   in Loop: Header=BB137_54 Depth=1
	ds_load_b32 v4, v5 offset:8224
	s_waitcnt lgkmcnt(0)
	v_add_nc_u32_e32 v10, v10, v4
	s_or_b32 exec_lo, exec_lo, s14
	s_and_saveexec_b32 s14, s5
	s_cbranch_execz .LBB137_60
.LBB137_68:                             ;   in Loop: Header=BB137_54 Depth=1
	ds_load_b32 v4, v5 offset:8232
	s_waitcnt lgkmcnt(0)
	v_add_nc_u32_e32 v10, v10, v4
	s_or_b32 exec_lo, exec_lo, s14
	s_and_saveexec_b32 s14, s6
	s_cbranch_execz .LBB137_61
.LBB137_69:                             ;   in Loop: Header=BB137_54 Depth=1
	ds_load_b32 v4, v5 offset:8240
	s_waitcnt lgkmcnt(0)
	v_add_nc_u32_e32 v10, v10, v4
	s_or_b32 exec_lo, exec_lo, s14
	s_delay_alu instid0(VALU_DEP_1)
	v_ashrrev_i32_e32 v11, 31, v10
	s_and_saveexec_b32 s14, s7
	s_cbranch_execz .LBB137_62
.LBB137_70:                             ;   in Loop: Header=BB137_54 Depth=1
	v_add3_u32 v4, v2, -1, v10
	s_delay_alu instid0(VALU_DEP_1) | instskip(NEXT) | instid1(VALU_DEP_1)
	v_lshl_add_u32 v4, v4, 3, 0
	v_add_nc_u32_e32 v15, 0x1000, v4
	ds_store_b64 v4, v[6:7]
	ds_store_2addr_b32 v15, v8, v9 offset1:1
	s_or_b32 exec_lo, exec_lo, s14
	s_and_saveexec_b32 s7, vcc_lo
	s_cbranch_execz .LBB137_53
.LBB137_71:                             ;   in Loop: Header=BB137_54 Depth=1
	ds_store_b64 v5, v[10:11] offset:8248
	s_branch .LBB137_53
.LBB137_72:
	s_or_b32 exec_lo, exec_lo, s12
	s_lshl_b64 s[0:1], s[36:37], 3
	v_mov_b32_e32 v1, 0
	s_add_u32 s0, s8, s0
	s_addc_u32 s1, s9, s1
	s_mov_b32 s6, exec_lo
	s_load_b128 s[0:3], s[0:1], 0x0
	s_waitcnt lgkmcnt(0)
	s_sub_u32 s4, s2, s0
	s_subb_u32 s5, s3, s1
	s_delay_alu instid0(SALU_CYCLE_1)
	v_cmpx_gt_i64_e64 s[4:5], v[0:1]
	s_cbranch_execz .LBB137_82
; %bb.73:
	s_sub_u32 s8, s0, s30
	s_subb_u32 s9, s1, 0
	s_and_b32 s6, s4, 7
	s_sub_u32 s0, s0, s2
	s_subb_u32 s1, s1, s3
	s_mov_b32 s7, 0
	v_cmp_lt_u64_e64 s14, s[0:1], -7
	s_and_b32 s2, s4, -8
	s_cmp_lg_u64 s[6:7], 0
	s_mov_b32 s3, s5
	s_cselect_b32 s15, -1, 0
	s_mov_b32 s16, s7
	s_branch .LBB137_75
.LBB137_74:                             ;   in Loop: Header=BB137_75 Depth=1
	s_waitcnt lgkmcnt(1)
	v_add_co_u32 v4, vcc_lo, v4, s30
	v_lshlrev_b64 v[6:7], 3, v[6:7]
	v_add_co_ci_u32_e32 v5, vcc_lo, 0, v5, vcc_lo
	v_add_co_u32 v0, vcc_lo, 0x100, v0
	v_add_co_ci_u32_e32 v1, vcc_lo, 0, v1, vcc_lo
	s_delay_alu instid0(VALU_DEP_4) | instskip(SKIP_1) | instid1(VALU_DEP_3)
	v_add_co_u32 v8, vcc_lo, s10, v6
	v_add_co_ci_u32_e32 v9, vcc_lo, s11, v7, vcc_lo
	v_cmp_le_i64_e32 vcc_lo, s[4:5], v[0:1]
	v_add_co_u32 v6, s0, s34, v6
	s_delay_alu instid0(VALU_DEP_1) | instskip(SKIP_4) | instid1(SALU_CYCLE_1)
	v_add_co_ci_u32_e64 v7, s0, s35, v7, s0
	global_store_b64 v[8:9], v[4:5], off
	s_waitcnt lgkmcnt(0)
	global_store_b64 v[6:7], v[2:3], off
	s_or_b32 s16, vcc_lo, s16
	s_and_not1_b32 exec_lo, exec_lo, s16
	s_cbranch_execz .LBB137_82
.LBB137_75:                             ; =>This Loop Header: Depth=1
                                        ;     Child Loop BB137_77 Depth 2
                                        ;     Child Loop BB137_81 Depth 2
	v_lshl_add_u32 v2, v0, 3, 0
	s_and_not1_b32 vcc_lo, exec_lo, s14
	s_mov_b64 s[0:1], 0
	v_dual_mov_b32 v6, s8 :: v_dual_mov_b32 v7, s9
	s_delay_alu instid0(VALU_DEP_2)
	v_add_nc_u32_e32 v3, 0x1000, v2
	ds_load_b64 v[4:5], v2
	ds_load_2addr_b32 v[2:3], v3 offset1:1
	s_cbranch_vccnz .LBB137_79
; %bb.76:                               ;   in Loop: Header=BB137_75 Depth=1
	v_dual_mov_b32 v6, s8 :: v_dual_mov_b32 v7, s9
	s_mov_b64 s[12:13], 0
	s_mov_b32 s1, 0
.LBB137_77:                             ;   Parent Loop BB137_75 Depth=1
                                        ; =>  This Inner Loop Header: Depth=2
	s_delay_alu instid0(SALU_CYCLE_1)
	v_mov_b32_e32 v20, s1
	s_add_u32 s12, s12, 8
	s_addc_u32 s13, s13, 0
	s_add_i32 s1, s1, 64
	s_cmp_eq_u64 s[2:3], s[12:13]
	ds_load_2addr_b64 v[8:11], v20 offset1:1
	ds_load_2addr_b64 v[12:15], v20 offset0:2 offset1:3
	ds_load_2addr_b64 v[16:19], v20 offset0:4 offset1:5
	;; [unrolled: 1-line block ×3, first 2 shown]
	s_waitcnt lgkmcnt(3)
	v_cmp_gt_i64_e32 vcc_lo, v[4:5], v[8:9]
	v_cndmask_b32_e64 v8, 0, 1, vcc_lo
	v_cmp_gt_i64_e32 vcc_lo, v[4:5], v[10:11]
	v_cndmask_b32_e64 v9, 0, 1, vcc_lo
	s_waitcnt lgkmcnt(2)
	v_cmp_gt_i64_e32 vcc_lo, v[4:5], v[12:13]
	v_cndmask_b32_e64 v10, 0, 1, vcc_lo
	v_cmp_gt_i64_e32 vcc_lo, v[4:5], v[14:15]
	v_cndmask_b32_e64 v11, 0, 1, vcc_lo
	s_waitcnt lgkmcnt(1)
	v_cmp_gt_i64_e32 vcc_lo, v[4:5], v[16:17]
	v_cndmask_b32_e64 v12, 0, 1, vcc_lo
	v_add_co_u32 v6, vcc_lo, v6, v8
	v_add_co_ci_u32_e32 v7, vcc_lo, 0, v7, vcc_lo
	v_cmp_gt_i64_e32 vcc_lo, v[4:5], v[18:19]
	s_delay_alu instid0(VALU_DEP_3) | instskip(NEXT) | instid1(VALU_DEP_1)
	v_add_co_u32 v6, s0, v6, v9
	v_add_co_ci_u32_e64 v7, s0, 0, v7, s0
	v_cndmask_b32_e64 v8, 0, 1, vcc_lo
	s_delay_alu instid0(VALU_DEP_3) | instskip(NEXT) | instid1(VALU_DEP_3)
	v_add_co_u32 v6, vcc_lo, v6, v10
	v_add_co_ci_u32_e32 v7, vcc_lo, 0, v7, vcc_lo
	s_waitcnt lgkmcnt(0)
	v_cmp_gt_i64_e32 vcc_lo, v[4:5], v[20:21]
	s_delay_alu instid0(VALU_DEP_3) | instskip(NEXT) | instid1(VALU_DEP_1)
	v_add_co_u32 v6, s0, v6, v11
	v_add_co_ci_u32_e64 v7, s0, 0, v7, s0
	v_cndmask_b32_e64 v9, 0, 1, vcc_lo
	s_delay_alu instid0(VALU_DEP_3) | instskip(NEXT) | instid1(VALU_DEP_3)
	v_add_co_u32 v6, vcc_lo, v6, v12
	v_add_co_ci_u32_e32 v7, vcc_lo, 0, v7, vcc_lo
	v_cmp_gt_i64_e32 vcc_lo, v[4:5], v[22:23]
	s_delay_alu instid0(VALU_DEP_3) | instskip(NEXT) | instid1(VALU_DEP_1)
	v_add_co_u32 v6, s0, v6, v8
	v_add_co_ci_u32_e64 v7, s0, 0, v7, s0
	v_cndmask_b32_e64 v8, 0, 1, vcc_lo
	s_delay_alu instid0(VALU_DEP_3) | instskip(NEXT) | instid1(VALU_DEP_3)
	v_add_co_u32 v6, vcc_lo, v6, v9
	v_add_co_ci_u32_e32 v7, vcc_lo, 0, v7, vcc_lo
	s_delay_alu instid0(VALU_DEP_2) | instskip(NEXT) | instid1(VALU_DEP_2)
	v_add_co_u32 v6, vcc_lo, v6, v8
	v_add_co_ci_u32_e32 v7, vcc_lo, 0, v7, vcc_lo
	s_cbranch_scc0 .LBB137_77
; %bb.78:                               ;   in Loop: Header=BB137_75 Depth=1
	s_mov_b64 s[0:1], s[2:3]
.LBB137_79:                             ;   in Loop: Header=BB137_75 Depth=1
	s_and_not1_b32 vcc_lo, exec_lo, s15
	s_cbranch_vccnz .LBB137_74
; %bb.80:                               ;   in Loop: Header=BB137_75 Depth=1
	s_lshl_b32 s0, s0, 3
	s_delay_alu instid0(SALU_CYCLE_1)
	s_add_i32 s12, s0, 0
	s_mov_b64 s[0:1], s[6:7]
.LBB137_81:                             ;   Parent Loop BB137_75 Depth=1
                                        ; =>  This Inner Loop Header: Depth=2
	v_mov_b32_e32 v8, s12
	s_add_i32 s12, s12, 8
	s_add_u32 s0, s0, -1
	s_addc_u32 s1, s1, -1
	s_delay_alu instid0(SALU_CYCLE_1) | instskip(SKIP_4) | instid1(VALU_DEP_1)
	s_cmp_lg_u64 s[0:1], 0
	ds_load_b64 v[8:9], v8
	s_waitcnt lgkmcnt(0)
	v_cmp_gt_i64_e32 vcc_lo, v[4:5], v[8:9]
	v_cndmask_b32_e64 v8, 0, 1, vcc_lo
	v_add_co_u32 v6, vcc_lo, v6, v8
	v_add_co_ci_u32_e32 v7, vcc_lo, 0, v7, vcc_lo
	s_cbranch_scc1 .LBB137_81
	s_branch .LBB137_74
.LBB137_82:
	s_nop 0
	s_sendmsg sendmsg(MSG_DEALLOC_VGPRS)
	s_endpgm
	.section	.rodata,"a",@progbits
	.p2align	6, 0x0
	.amdhsa_kernel _ZN9rocsparseL26csrgemm_fill_block_per_rowILj256ELj32ELj512ELj137ELj32Ell21rocsparse_complex_numIfEEEvT5_PKS3_S5_NS_24const_host_device_scalarIT6_EEPKT4_S5_PKS7_SB_S5_SD_S8_SB_S5_SD_SB_PS3_PS7_21rocsparse_index_base_SG_SG_SG_bbb
		.amdhsa_group_segment_fixed_size 0
		.amdhsa_private_segment_fixed_size 0
		.amdhsa_kernarg_size 156
		.amdhsa_user_sgpr_count 15
		.amdhsa_user_sgpr_dispatch_ptr 0
		.amdhsa_user_sgpr_queue_ptr 0
		.amdhsa_user_sgpr_kernarg_segment_ptr 1
		.amdhsa_user_sgpr_dispatch_id 0
		.amdhsa_user_sgpr_private_segment_size 0
		.amdhsa_wavefront_size32 1
		.amdhsa_uses_dynamic_stack 0
		.amdhsa_enable_private_segment 0
		.amdhsa_system_sgpr_workgroup_id_x 1
		.amdhsa_system_sgpr_workgroup_id_y 0
		.amdhsa_system_sgpr_workgroup_id_z 0
		.amdhsa_system_sgpr_workgroup_info 0
		.amdhsa_system_vgpr_workitem_id 0
		.amdhsa_next_free_vgpr 24
		.amdhsa_next_free_sgpr 49
		.amdhsa_reserve_vcc 1
		.amdhsa_float_round_mode_32 0
		.amdhsa_float_round_mode_16_64 0
		.amdhsa_float_denorm_mode_32 3
		.amdhsa_float_denorm_mode_16_64 3
		.amdhsa_dx10_clamp 1
		.amdhsa_ieee_mode 1
		.amdhsa_fp16_overflow 0
		.amdhsa_workgroup_processor_mode 1
		.amdhsa_memory_ordered 1
		.amdhsa_forward_progress 0
		.amdhsa_shared_vgpr_count 0
		.amdhsa_exception_fp_ieee_invalid_op 0
		.amdhsa_exception_fp_denorm_src 0
		.amdhsa_exception_fp_ieee_div_zero 0
		.amdhsa_exception_fp_ieee_overflow 0
		.amdhsa_exception_fp_ieee_underflow 0
		.amdhsa_exception_fp_ieee_inexact 0
		.amdhsa_exception_int_div_zero 0
	.end_amdhsa_kernel
	.section	.text._ZN9rocsparseL26csrgemm_fill_block_per_rowILj256ELj32ELj512ELj137ELj32Ell21rocsparse_complex_numIfEEEvT5_PKS3_S5_NS_24const_host_device_scalarIT6_EEPKT4_S5_PKS7_SB_S5_SD_S8_SB_S5_SD_SB_PS3_PS7_21rocsparse_index_base_SG_SG_SG_bbb,"axG",@progbits,_ZN9rocsparseL26csrgemm_fill_block_per_rowILj256ELj32ELj512ELj137ELj32Ell21rocsparse_complex_numIfEEEvT5_PKS3_S5_NS_24const_host_device_scalarIT6_EEPKT4_S5_PKS7_SB_S5_SD_S8_SB_S5_SD_SB_PS3_PS7_21rocsparse_index_base_SG_SG_SG_bbb,comdat
.Lfunc_end137:
	.size	_ZN9rocsparseL26csrgemm_fill_block_per_rowILj256ELj32ELj512ELj137ELj32Ell21rocsparse_complex_numIfEEEvT5_PKS3_S5_NS_24const_host_device_scalarIT6_EEPKT4_S5_PKS7_SB_S5_SD_S8_SB_S5_SD_SB_PS3_PS7_21rocsparse_index_base_SG_SG_SG_bbb, .Lfunc_end137-_ZN9rocsparseL26csrgemm_fill_block_per_rowILj256ELj32ELj512ELj137ELj32Ell21rocsparse_complex_numIfEEEvT5_PKS3_S5_NS_24const_host_device_scalarIT6_EEPKT4_S5_PKS7_SB_S5_SD_S8_SB_S5_SD_SB_PS3_PS7_21rocsparse_index_base_SG_SG_SG_bbb
                                        ; -- End function
	.section	.AMDGPU.csdata,"",@progbits
; Kernel info:
; codeLenInByte = 3216
; NumSgprs: 51
; NumVgprs: 24
; ScratchSize: 0
; MemoryBound: 0
; FloatMode: 240
; IeeeMode: 1
; LDSByteSize: 0 bytes/workgroup (compile time only)
; SGPRBlocks: 6
; VGPRBlocks: 2
; NumSGPRsForWavesPerEU: 51
; NumVGPRsForWavesPerEU: 24
; Occupancy: 16
; WaveLimiterHint : 1
; COMPUTE_PGM_RSRC2:SCRATCH_EN: 0
; COMPUTE_PGM_RSRC2:USER_SGPR: 15
; COMPUTE_PGM_RSRC2:TRAP_HANDLER: 0
; COMPUTE_PGM_RSRC2:TGID_X_EN: 1
; COMPUTE_PGM_RSRC2:TGID_Y_EN: 0
; COMPUTE_PGM_RSRC2:TGID_Z_EN: 0
; COMPUTE_PGM_RSRC2:TIDIG_COMP_CNT: 0
	.section	.text._ZN9rocsparseL26csrgemm_fill_block_per_rowILj256ELj32ELj512ELj137ELj64Ell21rocsparse_complex_numIfEEEvT5_PKS3_S5_NS_24const_host_device_scalarIT6_EEPKT4_S5_PKS7_SB_S5_SD_S8_SB_S5_SD_SB_PS3_PS7_21rocsparse_index_base_SG_SG_SG_bbb,"axG",@progbits,_ZN9rocsparseL26csrgemm_fill_block_per_rowILj256ELj32ELj512ELj137ELj64Ell21rocsparse_complex_numIfEEEvT5_PKS3_S5_NS_24const_host_device_scalarIT6_EEPKT4_S5_PKS7_SB_S5_SD_S8_SB_S5_SD_SB_PS3_PS7_21rocsparse_index_base_SG_SG_SG_bbb,comdat
	.globl	_ZN9rocsparseL26csrgemm_fill_block_per_rowILj256ELj32ELj512ELj137ELj64Ell21rocsparse_complex_numIfEEEvT5_PKS3_S5_NS_24const_host_device_scalarIT6_EEPKT4_S5_PKS7_SB_S5_SD_S8_SB_S5_SD_SB_PS3_PS7_21rocsparse_index_base_SG_SG_SG_bbb ; -- Begin function _ZN9rocsparseL26csrgemm_fill_block_per_rowILj256ELj32ELj512ELj137ELj64Ell21rocsparse_complex_numIfEEEvT5_PKS3_S5_NS_24const_host_device_scalarIT6_EEPKT4_S5_PKS7_SB_S5_SD_S8_SB_S5_SD_SB_PS3_PS7_21rocsparse_index_base_SG_SG_SG_bbb
	.p2align	8
	.type	_ZN9rocsparseL26csrgemm_fill_block_per_rowILj256ELj32ELj512ELj137ELj64Ell21rocsparse_complex_numIfEEEvT5_PKS3_S5_NS_24const_host_device_scalarIT6_EEPKT4_S5_PKS7_SB_S5_SD_S8_SB_S5_SD_SB_PS3_PS7_21rocsparse_index_base_SG_SG_SG_bbb,@function
_ZN9rocsparseL26csrgemm_fill_block_per_rowILj256ELj32ELj512ELj137ELj64Ell21rocsparse_complex_numIfEEEvT5_PKS3_S5_NS_24const_host_device_scalarIT6_EEPKT4_S5_PKS7_SB_S5_SD_S8_SB_S5_SD_SB_PS3_PS7_21rocsparse_index_base_SG_SG_SG_bbb: ; @_ZN9rocsparseL26csrgemm_fill_block_per_rowILj256ELj32ELj512ELj137ELj64Ell21rocsparse_complex_numIfEEEvT5_PKS3_S5_NS_24const_host_device_scalarIT6_EEPKT4_S5_PKS7_SB_S5_SD_S8_SB_S5_SD_SB_PS3_PS7_21rocsparse_index_base_SG_SG_SG_bbb
; %bb.0:
	s_mov_b32 s40, s15
	s_clause 0x6
	s_load_b32 s33, s[0:1], 0x98
	s_load_b256 s[4:11], s[0:1], 0x60
	s_load_b256 s[12:19], s[0:1], 0x40
	s_load_b128 s[36:39], s[0:1], 0x8
	s_load_b256 s[20:27], s[0:1], 0x20
	s_load_b64 s[34:35], s[0:1], 0x80
	s_load_b128 s[28:31], s[0:1], 0x88
	s_mov_b32 s3, 0
	s_mov_b32 s43, 0
	s_waitcnt lgkmcnt(0)
	s_bitcmp1_b32 s33, 0
	s_cselect_b32 s44, -1, 0
	s_bitcmp1_b32 s33, 16
	s_cselect_b32 s2, -1, 0
	s_delay_alu instid0(SALU_CYCLE_1) | instskip(SKIP_2) | instid1(VALU_DEP_1)
	s_xor_b32 s41, s2, -1
	s_bitcmp0_b32 s33, 0
	v_cndmask_b32_e64 v1, 0, 1, s41
	v_cmp_ne_u32_e32 vcc_lo, 1, v1
	s_cbranch_scc1 .LBB138_5
; %bb.1:
	s_load_b64 s[2:3], s[0:1], 0x18
	s_and_b32 vcc_lo, exec_lo, vcc_lo
	s_waitcnt lgkmcnt(0)
	s_mov_b32 s43, s2
	s_cbranch_vccnz .LBB138_3
; %bb.2:
	s_load_b32 s43, s[2:3], 0x0
.LBB138_3:
	s_and_not1_b32 vcc_lo, exec_lo, s41
	s_cbranch_vccnz .LBB138_5
; %bb.4:
	s_load_b32 s3, s[2:3], 0x4
.LBB138_5:
	s_bitcmp1_b32 s33, 8
	s_mov_b32 s42, 0
	s_cselect_b32 s2, -1, 0
	s_bfe_u32 s33, s33, 0x10008
	s_delay_alu instid0(SALU_CYCLE_1)
	s_cmp_eq_u32 s33, 0
	s_mov_b32 s33, 0
	s_cbranch_scc1 .LBB138_11
; %bb.6:
	v_cmp_ne_u32_e32 vcc_lo, 1, v1
	s_mov_b32 s33, s16
	s_cbranch_vccnz .LBB138_8
; %bb.7:
	s_load_b32 s33, s[16:17], 0x0
.LBB138_8:
	v_cmp_ne_u32_e32 vcc_lo, 1, v1
	s_cbranch_vccnz .LBB138_10
; %bb.9:
	s_load_b32 s17, s[16:17], 0x4
.LBB138_10:
	s_waitcnt lgkmcnt(0)
	s_mov_b32 s42, s17
.LBB138_11:
	s_load_b64 s[16:17], s[0:1], 0x0
	v_cmp_gt_u32_e64 s0, 0x200, v0
	v_or_b32_e32 v12, 0xffffff00, v0
	v_lshl_add_u32 v13, v0, 3, 0
	s_delay_alu instid0(VALU_DEP_3)
	s_and_saveexec_b32 s1, s0
	s_cbranch_execz .LBB138_14
; %bb.12:
	v_or_b32_e32 v3, 0xffffff00, v0
	v_lshl_add_u32 v4, v0, 3, 0
	s_waitcnt lgkmcnt(0)
	v_dual_mov_b32 v1, s16 :: v_dual_mov_b32 v2, s17
	v_mov_b32_e32 v5, 0
	s_mov_b32 s41, 0
.LBB138_13:                             ; =>This Inner Loop Header: Depth=1
	v_add_co_u32 v3, s45, 0x100, v3
	s_delay_alu instid0(VALU_DEP_1)
	s_xor_b32 s45, s45, -1
	v_add_nc_u32_e32 v6, 0x1000, v4
	ds_store_b64 v4, v[1:2]
	v_add_nc_u32_e32 v4, 0x800, v4
	s_and_b32 s45, exec_lo, s45
	ds_store_2addr_b32 v6, v5, v5 offset1:1
	s_or_b32 s41, s45, s41
	s_delay_alu instid0(SALU_CYCLE_1)
	s_and_not1_b32 exec_lo, exec_lo, s41
	s_cbranch_execnz .LBB138_13
.LBB138_14:
	s_or_b32 exec_lo, exec_lo, s1
	s_waitcnt lgkmcnt(0)
	s_barrier
	buffer_gl0_inv
	s_load_b64 s[36:37], s[36:37], 0x0
	s_mov_b32 s41, 0
	s_waitcnt lgkmcnt(0)
	s_lshl_b64 s[36:37], s[36:37], 3
	s_delay_alu instid0(SALU_CYCLE_1) | instskip(SKIP_2) | instid1(SALU_CYCLE_1)
	s_add_u32 s1, s38, s36
	s_addc_u32 s38, s39, s37
	s_lshl_b64 s[36:37], s[40:41], 3
	s_add_u32 s36, s1, s36
	s_addc_u32 s37, s38, s37
	s_and_b32 vcc_lo, exec_lo, s44
	s_load_b64 s[36:37], s[36:37], 0x0
	s_cbranch_vccz .LBB138_34
; %bb.15:
	s_waitcnt lgkmcnt(0)
	s_lshl_b64 s[38:39], s[36:37], 3
	v_lshrrev_b32_e32 v1, 5, v0
	s_add_u32 s20, s20, s38
	s_addc_u32 s21, s21, s39
	s_load_b128 s[44:47], s[20:21], 0x0
	s_delay_alu instid0(VALU_DEP_1) | instskip(NEXT) | instid1(VALU_DEP_1)
	v_sub_co_u32 v1, s1, v1, s28
	v_sub_co_ci_u32_e64 v2, null, 0, 0, s1
	s_mov_b32 s1, exec_lo
	s_waitcnt lgkmcnt(0)
	s_delay_alu instid0(VALU_DEP_2) | instskip(NEXT) | instid1(VALU_DEP_2)
	v_add_co_u32 v1, vcc_lo, s44, v1
	v_add_co_ci_u32_e32 v2, vcc_lo, s45, v2, vcc_lo
	s_sub_u32 s20, s46, s28
	s_subb_u32 s21, s47, 0
	s_delay_alu instid0(VALU_DEP_1) | instid1(SALU_CYCLE_1)
	v_cmpx_gt_i64_e64 s[20:21], v[1:2]
	s_cbranch_execz .LBB138_33
; %bb.16:
	v_and_b32_e32 v3, 31, v0
	s_delay_alu instid0(VALU_DEP_1) | instskip(NEXT) | instid1(VALU_DEP_1)
	v_sub_co_u32 v11, s38, v3, s29
	v_sub_co_ci_u32_e64 v14, null, 0, 0, s38
	s_mov_b32 s38, 0
	s_branch .LBB138_18
.LBB138_17:                             ;   in Loop: Header=BB138_18 Depth=1
	s_or_b32 exec_lo, exec_lo, s39
	v_add_co_u32 v1, vcc_lo, v1, 8
	v_add_co_ci_u32_e32 v2, vcc_lo, 0, v2, vcc_lo
	s_delay_alu instid0(VALU_DEP_1) | instskip(SKIP_1) | instid1(SALU_CYCLE_1)
	v_cmp_le_i64_e32 vcc_lo, s[20:21], v[1:2]
	s_or_b32 s38, vcc_lo, s38
	s_and_not1_b32 exec_lo, exec_lo, s38
	s_cbranch_execz .LBB138_33
.LBB138_18:                             ; =>This Loop Header: Depth=1
                                        ;     Child Loop BB138_21 Depth 2
                                        ;       Child Loop BB138_23 Depth 3
	v_lshlrev_b64 v[7:8], 3, v[1:2]
	s_mov_b32 s39, exec_lo
	s_delay_alu instid0(VALU_DEP_1) | instskip(NEXT) | instid1(VALU_DEP_2)
	v_add_co_u32 v3, vcc_lo, s22, v7
	v_add_co_ci_u32_e32 v4, vcc_lo, s23, v8, vcc_lo
	global_load_b64 v[3:4], v[3:4], off
	s_waitcnt vmcnt(0)
	v_sub_co_u32 v3, vcc_lo, v3, s28
	v_subrev_co_ci_u32_e32 v4, vcc_lo, 0, v4, vcc_lo
	s_delay_alu instid0(VALU_DEP_1) | instskip(NEXT) | instid1(VALU_DEP_1)
	v_lshlrev_b64 v[3:4], 3, v[3:4]
	v_add_co_u32 v3, vcc_lo, s26, v3
	s_delay_alu instid0(VALU_DEP_2)
	v_add_co_ci_u32_e32 v4, vcc_lo, s27, v4, vcc_lo
	global_load_b128 v[15:18], v[3:4], off
	s_waitcnt vmcnt(0)
	v_sub_co_u32 v3, vcc_lo, v17, s29
	v_subrev_co_ci_u32_e32 v4, vcc_lo, 0, v18, vcc_lo
	v_add_co_u32 v5, vcc_lo, v15, v11
	v_add_co_ci_u32_e32 v6, vcc_lo, v16, v14, vcc_lo
	s_delay_alu instid0(VALU_DEP_1)
	v_cmpx_lt_i64_e64 v[5:6], v[3:4]
	s_cbranch_execz .LBB138_17
; %bb.19:                               ;   in Loop: Header=BB138_18 Depth=1
	v_add_co_u32 v7, vcc_lo, s24, v7
	v_add_co_ci_u32_e32 v8, vcc_lo, s25, v8, vcc_lo
	s_mov_b32 s40, 0
	global_load_b64 v[7:8], v[7:8], off
	s_waitcnt vmcnt(0)
	v_mul_f32_e64 v15, v8, -s3
	s_delay_alu instid0(VALU_DEP_1) | instskip(NEXT) | instid1(VALU_DEP_1)
	v_dual_mul_f32 v16, s43, v8 :: v_dual_fmac_f32 v15, s43, v7
	v_fmac_f32_e32 v16, s3, v7
	s_branch .LBB138_21
.LBB138_20:                             ;   in Loop: Header=BB138_21 Depth=2
	s_or_b32 exec_lo, exec_lo, s41
	v_add_co_u32 v5, vcc_lo, v5, 32
	v_add_co_ci_u32_e32 v6, vcc_lo, 0, v6, vcc_lo
	s_delay_alu instid0(VALU_DEP_1) | instskip(SKIP_1) | instid1(SALU_CYCLE_1)
	v_cmp_ge_i64_e32 vcc_lo, v[5:6], v[3:4]
	s_or_b32 s40, vcc_lo, s40
	s_and_not1_b32 exec_lo, exec_lo, s40
	s_cbranch_execz .LBB138_17
.LBB138_21:                             ;   Parent Loop BB138_18 Depth=1
                                        ; =>  This Loop Header: Depth=2
                                        ;       Child Loop BB138_23 Depth 3
	v_lshlrev_b64 v[7:8], 3, v[5:6]
	s_mov_b32 s41, 0
	s_delay_alu instid0(VALU_DEP_1) | instskip(NEXT) | instid1(VALU_DEP_2)
	v_add_co_u32 v9, vcc_lo, s12, v7
	v_add_co_ci_u32_e32 v10, vcc_lo, s13, v8, vcc_lo
	v_add_co_u32 v7, vcc_lo, s14, v7
	v_add_co_ci_u32_e32 v8, vcc_lo, s15, v8, vcc_lo
	global_load_b64 v[9:10], v[9:10], off
	global_load_b64 v[19:20], v[7:8], off
	s_waitcnt vmcnt(1)
	v_sub_co_u32 v7, vcc_lo, v9, s29
	v_subrev_co_ci_u32_e32 v8, vcc_lo, 0, v10, vcc_lo
	s_waitcnt vmcnt(0)
	v_mul_f32_e64 v17, v20, -v16
	s_delay_alu instid0(VALU_DEP_3) | instskip(SKIP_1) | instid1(VALU_DEP_3)
	v_mul_lo_u32 v9, 0x89, v7
	v_mul_f32_e32 v18, v15, v20
	v_fmac_f32_e32 v17, v15, v19
	s_delay_alu instid0(VALU_DEP_2)
	v_dual_fmac_f32 v18, v16, v19 :: v_dual_and_b32 v19, 0x1ff, v9
	s_branch .LBB138_23
.LBB138_22:                             ;   in Loop: Header=BB138_23 Depth=3
	s_or_b32 exec_lo, exec_lo, s44
	s_xor_b32 s44, s45, -1
	s_delay_alu instid0(SALU_CYCLE_1) | instskip(NEXT) | instid1(SALU_CYCLE_1)
	s_and_b32 s44, exec_lo, s44
	s_or_b32 s41, s44, s41
	s_delay_alu instid0(SALU_CYCLE_1)
	s_and_not1_b32 exec_lo, exec_lo, s41
	s_cbranch_execz .LBB138_20
.LBB138_23:                             ;   Parent Loop BB138_18 Depth=1
                                        ;     Parent Loop BB138_21 Depth=2
                                        ; =>    This Inner Loop Header: Depth=3
	s_delay_alu instid0(VALU_DEP_1)
	v_lshl_add_u32 v20, v19, 3, 0
	s_mov_b32 s44, exec_lo
                                        ; implicit-def: $sgpr45
	ds_load_b64 v[9:10], v20
	s_waitcnt lgkmcnt(0)
	v_cmpx_ne_u64_e64 v[9:10], v[7:8]
	s_xor_b32 s44, exec_lo, s44
	s_cbranch_execz .LBB138_31
; %bb.24:                               ;   in Loop: Header=BB138_23 Depth=3
	s_mov_b32 s46, exec_lo
                                        ; implicit-def: $sgpr45
	v_cmpx_ne_u64_e64 s[16:17], v[9:10]
	s_xor_b32 s46, exec_lo, s46
; %bb.25:                               ;   in Loop: Header=BB138_23 Depth=3
	v_add_nc_u32_e32 v9, 1, v19
	s_mov_b32 s45, -1
                                        ; implicit-def: $vgpr20
	s_delay_alu instid0(VALU_DEP_1)
	v_and_b32_e32 v19, 0x1ff, v9
; %bb.26:                               ;   in Loop: Header=BB138_23 Depth=3
	s_and_not1_saveexec_b32 s46, s46
	s_cbranch_execz .LBB138_30
; %bb.27:                               ;   in Loop: Header=BB138_23 Depth=3
	v_dual_mov_b32 v9, s16 :: v_dual_mov_b32 v10, s17
	s_mov_b32 s47, -1
	s_mov_b32 s48, exec_lo
	ds_cmpstore_rtn_b64 v[9:10], v20, v[7:8], v[9:10]
	s_waitcnt lgkmcnt(0)
	v_cmpx_eq_u64_e64 s[16:17], v[9:10]
	s_cbranch_execz .LBB138_29
; %bb.28:                               ;   in Loop: Header=BB138_23 Depth=3
	ds_add_f32 v20, v17 offset:4096
	ds_add_f32 v20, v18 offset:4100
	s_xor_b32 s47, exec_lo, -1
.LBB138_29:                             ;   in Loop: Header=BB138_23 Depth=3
	s_or_b32 exec_lo, exec_lo, s48
	s_delay_alu instid0(SALU_CYCLE_1) | instskip(SKIP_1) | instid1(SALU_CYCLE_1)
	s_and_not1_b32 s45, s45, exec_lo
	s_and_b32 s47, s47, exec_lo
	s_or_b32 s45, s45, s47
.LBB138_30:                             ;   in Loop: Header=BB138_23 Depth=3
	s_or_b32 exec_lo, exec_lo, s46
	s_delay_alu instid0(SALU_CYCLE_1)
	s_and_b32 s45, s45, exec_lo
                                        ; implicit-def: $vgpr20
.LBB138_31:                             ;   in Loop: Header=BB138_23 Depth=3
	s_and_not1_saveexec_b32 s44, s44
	s_cbranch_execz .LBB138_22
; %bb.32:                               ;   in Loop: Header=BB138_23 Depth=3
	ds_add_f32 v20, v17 offset:4096
	ds_add_f32 v20, v18 offset:4100
	s_and_not1_b32 s45, s45, exec_lo
	s_branch .LBB138_22
.LBB138_33:
	s_or_b32 exec_lo, exec_lo, s1
.LBB138_34:
	s_delay_alu instid0(SALU_CYCLE_1)
	s_and_not1_b32 vcc_lo, exec_lo, s2
	s_cbranch_vccnz .LBB138_51
; %bb.35:
	s_waitcnt lgkmcnt(0)
	s_lshl_b64 s[2:3], s[36:37], 3
	v_sub_co_u32 v1, s1, v0, s31
	s_add_u32 s2, s18, s2
	s_addc_u32 s3, s19, s3
	v_sub_co_ci_u32_e64 v2, null, 0, 0, s1
	s_load_b128 s[12:15], s[2:3], 0x0
	s_mov_b32 s1, 0
	s_waitcnt lgkmcnt(0)
	v_add_co_u32 v1, vcc_lo, s12, v1
	v_add_co_ci_u32_e32 v2, vcc_lo, s13, v2, vcc_lo
	s_sub_u32 s2, s14, s31
	s_subb_u32 s3, s15, 0
	s_mov_b32 s12, exec_lo
	s_delay_alu instid0(VALU_DEP_1)
	v_cmpx_gt_i64_e64 s[2:3], v[1:2]
	s_cbranch_execz .LBB138_50
; %bb.36:
	s_mov_b32 s13, s31
	s_branch .LBB138_38
.LBB138_37:                             ;   in Loop: Header=BB138_38 Depth=1
	s_or_b32 exec_lo, exec_lo, s14
	v_add_co_u32 v1, vcc_lo, 0x100, v1
	v_add_co_ci_u32_e32 v2, vcc_lo, 0, v2, vcc_lo
	s_delay_alu instid0(VALU_DEP_1) | instskip(SKIP_1) | instid1(SALU_CYCLE_1)
	v_cmp_le_i64_e32 vcc_lo, s[2:3], v[1:2]
	s_or_b32 s1, vcc_lo, s1
	s_and_not1_b32 exec_lo, exec_lo, s1
	s_cbranch_execz .LBB138_50
.LBB138_38:                             ; =>This Loop Header: Depth=1
                                        ;     Child Loop BB138_40 Depth 2
	v_lshlrev_b64 v[3:4], 3, v[1:2]
	s_mov_b32 s14, 0
	s_delay_alu instid0(VALU_DEP_1) | instskip(NEXT) | instid1(VALU_DEP_2)
	v_add_co_u32 v5, vcc_lo, s4, v3
	v_add_co_ci_u32_e32 v6, vcc_lo, s5, v4, vcc_lo
	v_add_co_u32 v3, vcc_lo, s6, v3
	v_add_co_ci_u32_e32 v4, vcc_lo, s7, v4, vcc_lo
	global_load_b64 v[5:6], v[5:6], off
	global_load_b64 v[9:10], v[3:4], off
	s_waitcnt vmcnt(1)
	v_sub_co_u32 v3, vcc_lo, v5, s13
	v_subrev_co_ci_u32_e32 v4, vcc_lo, 0, v6, vcc_lo
	s_waitcnt vmcnt(0)
	v_mul_f32_e64 v7, v10, -s42
	s_delay_alu instid0(VALU_DEP_3) | instskip(NEXT) | instid1(VALU_DEP_2)
	v_mul_lo_u32 v5, 0x89, v3
	v_dual_mul_f32 v8, s33, v10 :: v_dual_fmac_f32 v7, s33, v9
	s_delay_alu instid0(VALU_DEP_1) | instskip(NEXT) | instid1(VALU_DEP_3)
	v_fmac_f32_e32 v8, s42, v9
	v_and_b32_e32 v9, 0x1ff, v5
	s_branch .LBB138_40
.LBB138_39:                             ;   in Loop: Header=BB138_40 Depth=2
	s_or_b32 exec_lo, exec_lo, s15
	s_xor_b32 s15, s18, -1
	s_delay_alu instid0(SALU_CYCLE_1) | instskip(NEXT) | instid1(SALU_CYCLE_1)
	s_and_b32 s15, exec_lo, s15
	s_or_b32 s14, s15, s14
	s_delay_alu instid0(SALU_CYCLE_1)
	s_and_not1_b32 exec_lo, exec_lo, s14
	s_cbranch_execz .LBB138_37
.LBB138_40:                             ;   Parent Loop BB138_38 Depth=1
                                        ; =>  This Inner Loop Header: Depth=2
	s_delay_alu instid0(VALU_DEP_1)
	v_lshl_add_u32 v10, v9, 3, 0
	s_mov_b32 s15, exec_lo
                                        ; implicit-def: $sgpr18
	ds_load_b64 v[5:6], v10
	s_waitcnt lgkmcnt(0)
	v_cmpx_ne_u64_e64 v[5:6], v[3:4]
	s_xor_b32 s15, exec_lo, s15
	s_cbranch_execz .LBB138_48
; %bb.41:                               ;   in Loop: Header=BB138_40 Depth=2
	s_mov_b32 s19, exec_lo
                                        ; implicit-def: $sgpr18
	v_cmpx_ne_u64_e64 s[16:17], v[5:6]
	s_xor_b32 s19, exec_lo, s19
; %bb.42:                               ;   in Loop: Header=BB138_40 Depth=2
	v_add_nc_u32_e32 v5, 1, v9
	s_mov_b32 s18, -1
                                        ; implicit-def: $vgpr10
	s_delay_alu instid0(VALU_DEP_1)
	v_and_b32_e32 v9, 0x1ff, v5
; %bb.43:                               ;   in Loop: Header=BB138_40 Depth=2
	s_and_not1_saveexec_b32 s19, s19
	s_cbranch_execz .LBB138_47
; %bb.44:                               ;   in Loop: Header=BB138_40 Depth=2
	v_dual_mov_b32 v5, s16 :: v_dual_mov_b32 v6, s17
	s_mov_b32 s20, -1
	s_mov_b32 s21, exec_lo
	ds_cmpstore_rtn_b64 v[5:6], v10, v[3:4], v[5:6]
	s_waitcnt lgkmcnt(0)
	v_cmpx_eq_u64_e64 s[16:17], v[5:6]
	s_cbranch_execz .LBB138_46
; %bb.45:                               ;   in Loop: Header=BB138_40 Depth=2
	ds_add_f32 v10, v7 offset:4096
	ds_add_f32 v10, v8 offset:4100
	s_xor_b32 s20, exec_lo, -1
.LBB138_46:                             ;   in Loop: Header=BB138_40 Depth=2
	s_or_b32 exec_lo, exec_lo, s21
	s_delay_alu instid0(SALU_CYCLE_1) | instskip(SKIP_1) | instid1(SALU_CYCLE_1)
	s_and_not1_b32 s18, s18, exec_lo
	s_and_b32 s20, s20, exec_lo
	s_or_b32 s18, s18, s20
.LBB138_47:                             ;   in Loop: Header=BB138_40 Depth=2
	s_or_b32 exec_lo, exec_lo, s19
	s_delay_alu instid0(SALU_CYCLE_1)
	s_and_b32 s18, s18, exec_lo
                                        ; implicit-def: $vgpr10
.LBB138_48:                             ;   in Loop: Header=BB138_40 Depth=2
	s_and_not1_saveexec_b32 s15, s15
	s_cbranch_execz .LBB138_39
; %bb.49:                               ;   in Loop: Header=BB138_40 Depth=2
	ds_add_f32 v10, v7 offset:4096
	ds_add_f32 v10, v8 offset:4100
	s_and_not1_b32 s18, s18, exec_lo
	s_branch .LBB138_39
.LBB138_50:
	s_or_b32 exec_lo, exec_lo, s12
.LBB138_51:
	s_waitcnt lgkmcnt(0)
	s_barrier
	buffer_gl0_inv
	s_and_saveexec_b32 s4, s0
	s_cbranch_execz .LBB138_64
; %bb.52:
	v_mbcnt_lo_u32_b32 v1, -1, 0
	v_lshrrev_b32_e32 v2, 3, v0
	v_cmp_eq_u32_e32 vcc_lo, 0xff, v0
	v_cmp_lt_u32_e64 s0, 63, v0
	v_cmp_lt_u32_e64 s1, 0x7f, v0
	v_xor_b32_e32 v1, 63, v1
	v_and_b32_e32 v3, 24, v2
	v_cmp_lt_u32_e64 s2, 0xbf, v0
	s_mov_b32 s5, 0
	v_mov_b32_e32 v5, 0
	v_lshrrev_b64 v[1:2], v1, -1
	v_add_nc_u32_e32 v14, 0, v3
	v_mov_b32_e32 v2, 0
	v_mov_b32_e32 v3, 0
	s_branch .LBB138_54
.LBB138_53:                             ;   in Loop: Header=BB138_54 Depth=1
	s_or_b32 exec_lo, exec_lo, s3
	s_waitcnt lgkmcnt(0)
	s_barrier
	buffer_gl0_inv
	ds_load_b64 v[6:7], v5 offset:8216
	v_add_co_u32 v12, s3, 0x100, v12
	s_delay_alu instid0(VALU_DEP_1) | instskip(SKIP_3) | instid1(VALU_DEP_1)
	s_xor_b32 s6, s3, -1
	v_add_nc_u32_e32 v13, 0x800, v13
	s_waitcnt lgkmcnt(0)
	v_add_co_u32 v2, s3, v6, v2
	v_add_co_ci_u32_e64 v3, s3, v7, v3, s3
	s_and_b32 s3, exec_lo, s6
	s_delay_alu instid0(SALU_CYCLE_1) | instskip(NEXT) | instid1(SALU_CYCLE_1)
	s_or_b32 s5, s3, s5
	s_and_not1_b32 exec_lo, exec_lo, s5
	s_cbranch_execz .LBB138_64
.LBB138_54:                             ; =>This Inner Loop Header: Depth=1
	ds_load_b64 v[6:7], v13
	v_add_nc_u32_e32 v4, 0x1000, v13
	ds_load_2addr_b32 v[8:9], v4 offset1:1
	s_waitcnt lgkmcnt(0)
	s_barrier
	buffer_gl0_inv
	v_cmp_gt_i64_e64 s3, s[16:17], v[6:7]
	s_delay_alu instid0(VALU_DEP_1) | instskip(SKIP_1) | instid1(SALU_CYCLE_1)
	v_and_b32_e32 v10, s3, v1
	s_bcnt1_i32_b32 s6, s3
	v_mov_b32_e32 v4, s6
	s_delay_alu instid0(VALU_DEP_2)
	v_bcnt_u32_b32 v10, v10, 0
	ds_store_b64 v14, v[4:5] offset:8192
	s_waitcnt lgkmcnt(0)
	s_barrier
	buffer_gl0_inv
	s_and_saveexec_b32 s6, s0
	s_cbranch_execnz .LBB138_59
; %bb.55:                               ;   in Loop: Header=BB138_54 Depth=1
	s_or_b32 exec_lo, exec_lo, s6
	s_and_saveexec_b32 s6, s1
	s_cbranch_execnz .LBB138_60
.LBB138_56:                             ;   in Loop: Header=BB138_54 Depth=1
	s_or_b32 exec_lo, exec_lo, s6
	s_and_saveexec_b32 s6, s2
	s_cbranch_execnz .LBB138_61
.LBB138_57:                             ;   in Loop: Header=BB138_54 Depth=1
	s_or_b32 exec_lo, exec_lo, s6
	v_ashrrev_i32_e32 v11, 31, v10
	s_and_saveexec_b32 s6, s3
	s_cbranch_execnz .LBB138_62
.LBB138_58:                             ;   in Loop: Header=BB138_54 Depth=1
	s_or_b32 exec_lo, exec_lo, s6
	s_and_saveexec_b32 s3, vcc_lo
	s_cbranch_execz .LBB138_53
	s_branch .LBB138_63
.LBB138_59:                             ;   in Loop: Header=BB138_54 Depth=1
	ds_load_b32 v4, v5 offset:8192
	s_waitcnt lgkmcnt(0)
	v_add_nc_u32_e32 v10, v4, v10
	s_or_b32 exec_lo, exec_lo, s6
	s_and_saveexec_b32 s6, s1
	s_cbranch_execz .LBB138_56
.LBB138_60:                             ;   in Loop: Header=BB138_54 Depth=1
	ds_load_b32 v4, v5 offset:8200
	s_waitcnt lgkmcnt(0)
	v_add_nc_u32_e32 v10, v10, v4
	s_or_b32 exec_lo, exec_lo, s6
	s_and_saveexec_b32 s6, s2
	s_cbranch_execz .LBB138_57
.LBB138_61:                             ;   in Loop: Header=BB138_54 Depth=1
	ds_load_b32 v4, v5 offset:8208
	s_waitcnt lgkmcnt(0)
	v_add_nc_u32_e32 v10, v10, v4
	s_or_b32 exec_lo, exec_lo, s6
	s_delay_alu instid0(VALU_DEP_1)
	v_ashrrev_i32_e32 v11, 31, v10
	s_and_saveexec_b32 s6, s3
	s_cbranch_execz .LBB138_58
.LBB138_62:                             ;   in Loop: Header=BB138_54 Depth=1
	v_add3_u32 v4, v2, -1, v10
	s_delay_alu instid0(VALU_DEP_1) | instskip(NEXT) | instid1(VALU_DEP_1)
	v_lshl_add_u32 v4, v4, 3, 0
	v_add_nc_u32_e32 v15, 0x1000, v4
	ds_store_b64 v4, v[6:7]
	ds_store_2addr_b32 v15, v8, v9 offset1:1
	s_or_b32 exec_lo, exec_lo, s6
	s_and_saveexec_b32 s3, vcc_lo
	s_cbranch_execz .LBB138_53
.LBB138_63:                             ;   in Loop: Header=BB138_54 Depth=1
	ds_store_b64 v5, v[10:11] offset:8216
	s_branch .LBB138_53
.LBB138_64:
	s_or_b32 exec_lo, exec_lo, s4
	s_lshl_b64 s[0:1], s[36:37], 3
	v_mov_b32_e32 v1, 0
	s_add_u32 s0, s8, s0
	s_addc_u32 s1, s9, s1
	s_mov_b32 s6, exec_lo
	s_load_b128 s[0:3], s[0:1], 0x0
	s_waitcnt lgkmcnt(0)
	s_sub_u32 s4, s2, s0
	s_subb_u32 s5, s3, s1
	s_delay_alu instid0(SALU_CYCLE_1)
	v_cmpx_gt_i64_e64 s[4:5], v[0:1]
	s_cbranch_execz .LBB138_74
; %bb.65:
	s_sub_u32 s8, s0, s30
	s_subb_u32 s9, s1, 0
	s_and_b32 s6, s4, 7
	s_sub_u32 s0, s0, s2
	s_subb_u32 s1, s1, s3
	s_mov_b32 s7, 0
	v_cmp_lt_u64_e64 s14, s[0:1], -7
	s_and_b32 s2, s4, -8
	s_cmp_lg_u64 s[6:7], 0
	s_mov_b32 s3, s5
	s_cselect_b32 s15, -1, 0
	s_mov_b32 s16, s7
	s_branch .LBB138_67
.LBB138_66:                             ;   in Loop: Header=BB138_67 Depth=1
	s_waitcnt lgkmcnt(1)
	v_add_co_u32 v4, vcc_lo, v4, s30
	v_lshlrev_b64 v[6:7], 3, v[6:7]
	v_add_co_ci_u32_e32 v5, vcc_lo, 0, v5, vcc_lo
	v_add_co_u32 v0, vcc_lo, 0x100, v0
	v_add_co_ci_u32_e32 v1, vcc_lo, 0, v1, vcc_lo
	s_delay_alu instid0(VALU_DEP_4) | instskip(SKIP_1) | instid1(VALU_DEP_3)
	v_add_co_u32 v8, vcc_lo, s10, v6
	v_add_co_ci_u32_e32 v9, vcc_lo, s11, v7, vcc_lo
	v_cmp_le_i64_e32 vcc_lo, s[4:5], v[0:1]
	v_add_co_u32 v6, s0, s34, v6
	s_delay_alu instid0(VALU_DEP_1) | instskip(SKIP_4) | instid1(SALU_CYCLE_1)
	v_add_co_ci_u32_e64 v7, s0, s35, v7, s0
	global_store_b64 v[8:9], v[4:5], off
	s_waitcnt lgkmcnt(0)
	global_store_b64 v[6:7], v[2:3], off
	s_or_b32 s16, vcc_lo, s16
	s_and_not1_b32 exec_lo, exec_lo, s16
	s_cbranch_execz .LBB138_74
.LBB138_67:                             ; =>This Loop Header: Depth=1
                                        ;     Child Loop BB138_69 Depth 2
                                        ;     Child Loop BB138_73 Depth 2
	v_lshl_add_u32 v2, v0, 3, 0
	s_and_not1_b32 vcc_lo, exec_lo, s14
	s_mov_b64 s[0:1], 0
	v_dual_mov_b32 v6, s8 :: v_dual_mov_b32 v7, s9
	s_delay_alu instid0(VALU_DEP_2)
	v_add_nc_u32_e32 v3, 0x1000, v2
	ds_load_b64 v[4:5], v2
	ds_load_2addr_b32 v[2:3], v3 offset1:1
	s_cbranch_vccnz .LBB138_71
; %bb.68:                               ;   in Loop: Header=BB138_67 Depth=1
	v_dual_mov_b32 v6, s8 :: v_dual_mov_b32 v7, s9
	s_mov_b64 s[12:13], 0
	s_mov_b32 s1, 0
.LBB138_69:                             ;   Parent Loop BB138_67 Depth=1
                                        ; =>  This Inner Loop Header: Depth=2
	s_delay_alu instid0(SALU_CYCLE_1)
	v_mov_b32_e32 v20, s1
	s_add_u32 s12, s12, 8
	s_addc_u32 s13, s13, 0
	s_add_i32 s1, s1, 64
	s_cmp_eq_u64 s[2:3], s[12:13]
	ds_load_2addr_b64 v[8:11], v20 offset1:1
	ds_load_2addr_b64 v[12:15], v20 offset0:2 offset1:3
	ds_load_2addr_b64 v[16:19], v20 offset0:4 offset1:5
	;; [unrolled: 1-line block ×3, first 2 shown]
	s_waitcnt lgkmcnt(3)
	v_cmp_gt_i64_e32 vcc_lo, v[4:5], v[8:9]
	v_cndmask_b32_e64 v8, 0, 1, vcc_lo
	v_cmp_gt_i64_e32 vcc_lo, v[4:5], v[10:11]
	v_cndmask_b32_e64 v9, 0, 1, vcc_lo
	s_waitcnt lgkmcnt(2)
	v_cmp_gt_i64_e32 vcc_lo, v[4:5], v[12:13]
	v_cndmask_b32_e64 v10, 0, 1, vcc_lo
	v_cmp_gt_i64_e32 vcc_lo, v[4:5], v[14:15]
	v_cndmask_b32_e64 v11, 0, 1, vcc_lo
	s_waitcnt lgkmcnt(1)
	v_cmp_gt_i64_e32 vcc_lo, v[4:5], v[16:17]
	v_cndmask_b32_e64 v12, 0, 1, vcc_lo
	v_add_co_u32 v6, vcc_lo, v6, v8
	v_add_co_ci_u32_e32 v7, vcc_lo, 0, v7, vcc_lo
	v_cmp_gt_i64_e32 vcc_lo, v[4:5], v[18:19]
	s_delay_alu instid0(VALU_DEP_3) | instskip(NEXT) | instid1(VALU_DEP_1)
	v_add_co_u32 v6, s0, v6, v9
	v_add_co_ci_u32_e64 v7, s0, 0, v7, s0
	v_cndmask_b32_e64 v8, 0, 1, vcc_lo
	s_delay_alu instid0(VALU_DEP_3) | instskip(NEXT) | instid1(VALU_DEP_3)
	v_add_co_u32 v6, vcc_lo, v6, v10
	v_add_co_ci_u32_e32 v7, vcc_lo, 0, v7, vcc_lo
	s_waitcnt lgkmcnt(0)
	v_cmp_gt_i64_e32 vcc_lo, v[4:5], v[20:21]
	s_delay_alu instid0(VALU_DEP_3) | instskip(NEXT) | instid1(VALU_DEP_1)
	v_add_co_u32 v6, s0, v6, v11
	v_add_co_ci_u32_e64 v7, s0, 0, v7, s0
	v_cndmask_b32_e64 v9, 0, 1, vcc_lo
	s_delay_alu instid0(VALU_DEP_3) | instskip(NEXT) | instid1(VALU_DEP_3)
	v_add_co_u32 v6, vcc_lo, v6, v12
	v_add_co_ci_u32_e32 v7, vcc_lo, 0, v7, vcc_lo
	v_cmp_gt_i64_e32 vcc_lo, v[4:5], v[22:23]
	s_delay_alu instid0(VALU_DEP_3) | instskip(NEXT) | instid1(VALU_DEP_1)
	v_add_co_u32 v6, s0, v6, v8
	v_add_co_ci_u32_e64 v7, s0, 0, v7, s0
	v_cndmask_b32_e64 v8, 0, 1, vcc_lo
	s_delay_alu instid0(VALU_DEP_3) | instskip(NEXT) | instid1(VALU_DEP_3)
	v_add_co_u32 v6, vcc_lo, v6, v9
	v_add_co_ci_u32_e32 v7, vcc_lo, 0, v7, vcc_lo
	s_delay_alu instid0(VALU_DEP_2) | instskip(NEXT) | instid1(VALU_DEP_2)
	v_add_co_u32 v6, vcc_lo, v6, v8
	v_add_co_ci_u32_e32 v7, vcc_lo, 0, v7, vcc_lo
	s_cbranch_scc0 .LBB138_69
; %bb.70:                               ;   in Loop: Header=BB138_67 Depth=1
	s_mov_b64 s[0:1], s[2:3]
.LBB138_71:                             ;   in Loop: Header=BB138_67 Depth=1
	s_and_not1_b32 vcc_lo, exec_lo, s15
	s_cbranch_vccnz .LBB138_66
; %bb.72:                               ;   in Loop: Header=BB138_67 Depth=1
	s_lshl_b32 s0, s0, 3
	s_delay_alu instid0(SALU_CYCLE_1)
	s_add_i32 s12, s0, 0
	s_mov_b64 s[0:1], s[6:7]
.LBB138_73:                             ;   Parent Loop BB138_67 Depth=1
                                        ; =>  This Inner Loop Header: Depth=2
	v_mov_b32_e32 v8, s12
	s_add_i32 s12, s12, 8
	s_add_u32 s0, s0, -1
	s_addc_u32 s1, s1, -1
	s_delay_alu instid0(SALU_CYCLE_1) | instskip(SKIP_4) | instid1(VALU_DEP_1)
	s_cmp_lg_u64 s[0:1], 0
	ds_load_b64 v[8:9], v8
	s_waitcnt lgkmcnt(0)
	v_cmp_gt_i64_e32 vcc_lo, v[4:5], v[8:9]
	v_cndmask_b32_e64 v8, 0, 1, vcc_lo
	v_add_co_u32 v6, vcc_lo, v6, v8
	v_add_co_ci_u32_e32 v7, vcc_lo, 0, v7, vcc_lo
	s_cbranch_scc1 .LBB138_73
	s_branch .LBB138_66
.LBB138_74:
	s_nop 0
	s_sendmsg sendmsg(MSG_DEALLOC_VGPRS)
	s_endpgm
	.section	.rodata,"a",@progbits
	.p2align	6, 0x0
	.amdhsa_kernel _ZN9rocsparseL26csrgemm_fill_block_per_rowILj256ELj32ELj512ELj137ELj64Ell21rocsparse_complex_numIfEEEvT5_PKS3_S5_NS_24const_host_device_scalarIT6_EEPKT4_S5_PKS7_SB_S5_SD_S8_SB_S5_SD_SB_PS3_PS7_21rocsparse_index_base_SG_SG_SG_bbb
		.amdhsa_group_segment_fixed_size 0
		.amdhsa_private_segment_fixed_size 0
		.amdhsa_kernarg_size 156
		.amdhsa_user_sgpr_count 15
		.amdhsa_user_sgpr_dispatch_ptr 0
		.amdhsa_user_sgpr_queue_ptr 0
		.amdhsa_user_sgpr_kernarg_segment_ptr 1
		.amdhsa_user_sgpr_dispatch_id 0
		.amdhsa_user_sgpr_private_segment_size 0
		.amdhsa_wavefront_size32 1
		.amdhsa_uses_dynamic_stack 0
		.amdhsa_enable_private_segment 0
		.amdhsa_system_sgpr_workgroup_id_x 1
		.amdhsa_system_sgpr_workgroup_id_y 0
		.amdhsa_system_sgpr_workgroup_id_z 0
		.amdhsa_system_sgpr_workgroup_info 0
		.amdhsa_system_vgpr_workitem_id 0
		.amdhsa_next_free_vgpr 24
		.amdhsa_next_free_sgpr 49
		.amdhsa_reserve_vcc 1
		.amdhsa_float_round_mode_32 0
		.amdhsa_float_round_mode_16_64 0
		.amdhsa_float_denorm_mode_32 3
		.amdhsa_float_denorm_mode_16_64 3
		.amdhsa_dx10_clamp 1
		.amdhsa_ieee_mode 1
		.amdhsa_fp16_overflow 0
		.amdhsa_workgroup_processor_mode 1
		.amdhsa_memory_ordered 1
		.amdhsa_forward_progress 0
		.amdhsa_shared_vgpr_count 0
		.amdhsa_exception_fp_ieee_invalid_op 0
		.amdhsa_exception_fp_denorm_src 0
		.amdhsa_exception_fp_ieee_div_zero 0
		.amdhsa_exception_fp_ieee_overflow 0
		.amdhsa_exception_fp_ieee_underflow 0
		.amdhsa_exception_fp_ieee_inexact 0
		.amdhsa_exception_int_div_zero 0
	.end_amdhsa_kernel
	.section	.text._ZN9rocsparseL26csrgemm_fill_block_per_rowILj256ELj32ELj512ELj137ELj64Ell21rocsparse_complex_numIfEEEvT5_PKS3_S5_NS_24const_host_device_scalarIT6_EEPKT4_S5_PKS7_SB_S5_SD_S8_SB_S5_SD_SB_PS3_PS7_21rocsparse_index_base_SG_SG_SG_bbb,"axG",@progbits,_ZN9rocsparseL26csrgemm_fill_block_per_rowILj256ELj32ELj512ELj137ELj64Ell21rocsparse_complex_numIfEEEvT5_PKS3_S5_NS_24const_host_device_scalarIT6_EEPKT4_S5_PKS7_SB_S5_SD_S8_SB_S5_SD_SB_PS3_PS7_21rocsparse_index_base_SG_SG_SG_bbb,comdat
.Lfunc_end138:
	.size	_ZN9rocsparseL26csrgemm_fill_block_per_rowILj256ELj32ELj512ELj137ELj64Ell21rocsparse_complex_numIfEEEvT5_PKS3_S5_NS_24const_host_device_scalarIT6_EEPKT4_S5_PKS7_SB_S5_SD_S8_SB_S5_SD_SB_PS3_PS7_21rocsparse_index_base_SG_SG_SG_bbb, .Lfunc_end138-_ZN9rocsparseL26csrgemm_fill_block_per_rowILj256ELj32ELj512ELj137ELj64Ell21rocsparse_complex_numIfEEEvT5_PKS3_S5_NS_24const_host_device_scalarIT6_EEPKT4_S5_PKS7_SB_S5_SD_S8_SB_S5_SD_SB_PS3_PS7_21rocsparse_index_base_SG_SG_SG_bbb
                                        ; -- End function
	.section	.AMDGPU.csdata,"",@progbits
; Kernel info:
; codeLenInByte = 3024
; NumSgprs: 51
; NumVgprs: 24
; ScratchSize: 0
; MemoryBound: 0
; FloatMode: 240
; IeeeMode: 1
; LDSByteSize: 0 bytes/workgroup (compile time only)
; SGPRBlocks: 6
; VGPRBlocks: 2
; NumSGPRsForWavesPerEU: 51
; NumVGPRsForWavesPerEU: 24
; Occupancy: 16
; WaveLimiterHint : 1
; COMPUTE_PGM_RSRC2:SCRATCH_EN: 0
; COMPUTE_PGM_RSRC2:USER_SGPR: 15
; COMPUTE_PGM_RSRC2:TRAP_HANDLER: 0
; COMPUTE_PGM_RSRC2:TGID_X_EN: 1
; COMPUTE_PGM_RSRC2:TGID_Y_EN: 0
; COMPUTE_PGM_RSRC2:TGID_Z_EN: 0
; COMPUTE_PGM_RSRC2:TIDIG_COMP_CNT: 0
	.section	.text._ZN9rocsparseL26csrgemm_fill_block_per_rowILj512ELj32ELj1024ELj137ELj32Ell21rocsparse_complex_numIfEEEvT5_PKS3_S5_NS_24const_host_device_scalarIT6_EEPKT4_S5_PKS7_SB_S5_SD_S8_SB_S5_SD_SB_PS3_PS7_21rocsparse_index_base_SG_SG_SG_bbb,"axG",@progbits,_ZN9rocsparseL26csrgemm_fill_block_per_rowILj512ELj32ELj1024ELj137ELj32Ell21rocsparse_complex_numIfEEEvT5_PKS3_S5_NS_24const_host_device_scalarIT6_EEPKT4_S5_PKS7_SB_S5_SD_S8_SB_S5_SD_SB_PS3_PS7_21rocsparse_index_base_SG_SG_SG_bbb,comdat
	.globl	_ZN9rocsparseL26csrgemm_fill_block_per_rowILj512ELj32ELj1024ELj137ELj32Ell21rocsparse_complex_numIfEEEvT5_PKS3_S5_NS_24const_host_device_scalarIT6_EEPKT4_S5_PKS7_SB_S5_SD_S8_SB_S5_SD_SB_PS3_PS7_21rocsparse_index_base_SG_SG_SG_bbb ; -- Begin function _ZN9rocsparseL26csrgemm_fill_block_per_rowILj512ELj32ELj1024ELj137ELj32Ell21rocsparse_complex_numIfEEEvT5_PKS3_S5_NS_24const_host_device_scalarIT6_EEPKT4_S5_PKS7_SB_S5_SD_S8_SB_S5_SD_SB_PS3_PS7_21rocsparse_index_base_SG_SG_SG_bbb
	.p2align	8
	.type	_ZN9rocsparseL26csrgemm_fill_block_per_rowILj512ELj32ELj1024ELj137ELj32Ell21rocsparse_complex_numIfEEEvT5_PKS3_S5_NS_24const_host_device_scalarIT6_EEPKT4_S5_PKS7_SB_S5_SD_S8_SB_S5_SD_SB_PS3_PS7_21rocsparse_index_base_SG_SG_SG_bbb,@function
_ZN9rocsparseL26csrgemm_fill_block_per_rowILj512ELj32ELj1024ELj137ELj32Ell21rocsparse_complex_numIfEEEvT5_PKS3_S5_NS_24const_host_device_scalarIT6_EEPKT4_S5_PKS7_SB_S5_SD_S8_SB_S5_SD_SB_PS3_PS7_21rocsparse_index_base_SG_SG_SG_bbb: ; @_ZN9rocsparseL26csrgemm_fill_block_per_rowILj512ELj32ELj1024ELj137ELj32Ell21rocsparse_complex_numIfEEEvT5_PKS3_S5_NS_24const_host_device_scalarIT6_EEPKT4_S5_PKS7_SB_S5_SD_S8_SB_S5_SD_SB_PS3_PS7_21rocsparse_index_base_SG_SG_SG_bbb
; %bb.0:
	s_mov_b32 s42, s15
	s_clause 0x6
	s_load_b32 s33, s[0:1], 0x98
	s_load_b256 s[12:19], s[0:1], 0x60
	s_load_b256 s[4:11], s[0:1], 0x40
	s_load_b128 s[36:39], s[0:1], 0x8
	s_load_b256 s[20:27], s[0:1], 0x20
	s_load_b64 s[34:35], s[0:1], 0x80
	s_load_b128 s[28:31], s[0:1], 0x88
	s_mov_b32 s3, 0
	s_mov_b32 s44, 0
	s_waitcnt lgkmcnt(0)
	s_bitcmp1_b32 s33, 0
	s_cselect_b32 s46, -1, 0
	s_bitcmp1_b32 s33, 16
	s_cselect_b32 s2, -1, 0
	s_delay_alu instid0(SALU_CYCLE_1) | instskip(SKIP_2) | instid1(VALU_DEP_1)
	s_xor_b32 s40, s2, -1
	s_bitcmp0_b32 s33, 0
	v_cndmask_b32_e64 v1, 0, 1, s40
	v_cmp_ne_u32_e32 vcc_lo, 1, v1
	s_cbranch_scc1 .LBB139_5
; %bb.1:
	s_load_b64 s[2:3], s[0:1], 0x18
	s_and_b32 vcc_lo, exec_lo, vcc_lo
	s_waitcnt lgkmcnt(0)
	s_mov_b32 s44, s2
	s_cbranch_vccnz .LBB139_3
; %bb.2:
	s_load_b32 s44, s[2:3], 0x0
.LBB139_3:
	s_and_not1_b32 vcc_lo, exec_lo, s40
	s_cbranch_vccnz .LBB139_5
; %bb.4:
	s_load_b32 s3, s[2:3], 0x4
.LBB139_5:
	s_bitcmp1_b32 s33, 8
	s_cselect_b32 s45, -1, 0
	s_bfe_u32 s2, s33, 0x10008
	s_mov_b32 s33, 0
	s_cmp_eq_u32 s2, 0
	s_mov_b32 s2, 0
	s_cbranch_scc1 .LBB139_11
; %bb.6:
	v_cmp_ne_u32_e32 vcc_lo, 1, v1
	s_mov_b32 s2, s8
	s_cbranch_vccnz .LBB139_8
; %bb.7:
	s_load_b32 s2, s[8:9], 0x0
.LBB139_8:
	v_cmp_ne_u32_e32 vcc_lo, 1, v1
	s_cbranch_vccnz .LBB139_10
; %bb.9:
	s_load_b32 s9, s[8:9], 0x4
.LBB139_10:
	s_waitcnt lgkmcnt(0)
	s_mov_b32 s33, s9
.LBB139_11:
	s_load_b64 s[40:41], s[0:1], 0x0
	v_lshl_add_u32 v12, v0, 3, 0
	v_or_b32_e32 v13, 0xfffffe00, v0
	v_mov_b32_e32 v3, 0
	s_mov_b32 s0, 0
	s_delay_alu instid0(VALU_DEP_2)
	v_dual_mov_b32 v4, v12 :: v_dual_mov_b32 v5, v13
	s_waitcnt lgkmcnt(0)
	v_dual_mov_b32 v1, s40 :: v_dual_mov_b32 v2, s41
.LBB139_12:                             ; =>This Inner Loop Header: Depth=1
	s_delay_alu instid0(VALU_DEP_2) | instskip(NEXT) | instid1(VALU_DEP_1)
	v_add_co_u32 v5, s1, 0x200, v5
	s_xor_b32 s1, s1, -1
	v_add_nc_u32_e32 v6, 0x2000, v4
	ds_store_b64 v4, v[1:2]
	v_add_nc_u32_e32 v4, 0x1000, v4
	s_and_b32 s1, exec_lo, s1
	ds_store_2addr_b32 v6, v3, v3 offset1:1
	s_or_b32 s0, s1, s0
	s_delay_alu instid0(SALU_CYCLE_1)
	s_and_not1_b32 exec_lo, exec_lo, s0
	s_cbranch_execnz .LBB139_12
; %bb.13:
	s_or_b32 exec_lo, exec_lo, s0
	s_waitcnt lgkmcnt(0)
	s_barrier
	buffer_gl0_inv
	s_load_b64 s[0:1], s[36:37], 0x0
	s_mov_b32 s43, 0
	v_lshrrev_b32_e32 v11, 5, v0
	s_waitcnt lgkmcnt(0)
	s_lshl_b64 s[0:1], s[0:1], 3
	s_delay_alu instid0(SALU_CYCLE_1) | instskip(SKIP_2) | instid1(SALU_CYCLE_1)
	s_add_u32 s8, s38, s0
	s_addc_u32 s9, s39, s1
	s_lshl_b64 s[0:1], s[42:43], 3
	s_add_u32 s0, s8, s0
	s_addc_u32 s1, s9, s1
	s_and_b32 vcc_lo, exec_lo, s46
	s_load_b64 s[36:37], s[0:1], 0x0
	s_cbranch_vccz .LBB139_33
; %bb.14:
	s_waitcnt lgkmcnt(0)
	s_lshl_b64 s[0:1], s[36:37], 3
	s_mov_b32 s8, exec_lo
	s_add_u32 s0, s20, s0
	s_addc_u32 s1, s21, s1
	s_load_b128 s[48:51], s[0:1], 0x0
	v_sub_co_u32 v1, s0, v11, s28
	s_delay_alu instid0(VALU_DEP_1) | instskip(SKIP_1) | instid1(VALU_DEP_2)
	v_sub_co_ci_u32_e64 v2, null, 0, 0, s0
	s_waitcnt lgkmcnt(0)
	v_add_co_u32 v1, vcc_lo, s48, v1
	s_delay_alu instid0(VALU_DEP_2)
	v_add_co_ci_u32_e32 v2, vcc_lo, s49, v2, vcc_lo
	s_sub_u32 s0, s50, s28
	s_subb_u32 s1, s51, 0
	s_delay_alu instid0(VALU_DEP_1) | instid1(SALU_CYCLE_1)
	v_cmpx_gt_i64_e64 s[0:1], v[1:2]
	s_cbranch_execz .LBB139_32
; %bb.15:
	v_and_b32_e32 v3, 31, v0
	s_mov_b32 s20, s29
	s_delay_alu instid0(VALU_DEP_1) | instskip(NEXT) | instid1(VALU_DEP_1)
	v_sub_co_u32 v14, s9, v3, s29
	v_sub_co_ci_u32_e64 v15, null, 0, 0, s9
	s_mov_b32 s9, 0
	s_branch .LBB139_17
.LBB139_16:                             ;   in Loop: Header=BB139_17 Depth=1
	s_or_b32 exec_lo, exec_lo, s21
	v_add_co_u32 v1, vcc_lo, v1, 16
	v_add_co_ci_u32_e32 v2, vcc_lo, 0, v2, vcc_lo
	s_delay_alu instid0(VALU_DEP_1) | instskip(SKIP_1) | instid1(SALU_CYCLE_1)
	v_cmp_le_i64_e32 vcc_lo, s[0:1], v[1:2]
	s_or_b32 s9, vcc_lo, s9
	s_and_not1_b32 exec_lo, exec_lo, s9
	s_cbranch_execz .LBB139_32
.LBB139_17:                             ; =>This Loop Header: Depth=1
                                        ;     Child Loop BB139_20 Depth 2
                                        ;       Child Loop BB139_22 Depth 3
	v_lshlrev_b64 v[7:8], 3, v[1:2]
	s_mov_b32 s21, exec_lo
	s_delay_alu instid0(VALU_DEP_1) | instskip(NEXT) | instid1(VALU_DEP_2)
	v_add_co_u32 v3, vcc_lo, s22, v7
	v_add_co_ci_u32_e32 v4, vcc_lo, s23, v8, vcc_lo
	global_load_b64 v[3:4], v[3:4], off
	s_waitcnt vmcnt(0)
	v_sub_co_u32 v3, vcc_lo, v3, s28
	v_subrev_co_ci_u32_e32 v4, vcc_lo, 0, v4, vcc_lo
	s_delay_alu instid0(VALU_DEP_1) | instskip(NEXT) | instid1(VALU_DEP_1)
	v_lshlrev_b64 v[3:4], 3, v[3:4]
	v_add_co_u32 v3, vcc_lo, s26, v3
	s_delay_alu instid0(VALU_DEP_2)
	v_add_co_ci_u32_e32 v4, vcc_lo, s27, v4, vcc_lo
	global_load_b128 v[16:19], v[3:4], off
	s_waitcnt vmcnt(0)
	v_sub_co_u32 v3, vcc_lo, v18, s20
	v_subrev_co_ci_u32_e32 v4, vcc_lo, 0, v19, vcc_lo
	v_add_co_u32 v5, vcc_lo, v16, v14
	v_add_co_ci_u32_e32 v6, vcc_lo, v17, v15, vcc_lo
	s_delay_alu instid0(VALU_DEP_1)
	v_cmpx_lt_i64_e64 v[5:6], v[3:4]
	s_cbranch_execz .LBB139_16
; %bb.18:                               ;   in Loop: Header=BB139_17 Depth=1
	v_add_co_u32 v7, vcc_lo, s24, v7
	v_add_co_ci_u32_e32 v8, vcc_lo, s25, v8, vcc_lo
	s_mov_b32 s29, 0
	global_load_b64 v[7:8], v[7:8], off
	s_waitcnt vmcnt(0)
	v_mul_f32_e64 v16, v8, -s3
	s_delay_alu instid0(VALU_DEP_1) | instskip(NEXT) | instid1(VALU_DEP_1)
	v_dual_mul_f32 v17, s44, v8 :: v_dual_fmac_f32 v16, s44, v7
	v_fmac_f32_e32 v17, s3, v7
	s_branch .LBB139_20
.LBB139_19:                             ;   in Loop: Header=BB139_20 Depth=2
	s_or_b32 exec_lo, exec_lo, s38
	v_add_co_u32 v5, vcc_lo, v5, 32
	v_add_co_ci_u32_e32 v6, vcc_lo, 0, v6, vcc_lo
	s_delay_alu instid0(VALU_DEP_1) | instskip(SKIP_1) | instid1(SALU_CYCLE_1)
	v_cmp_ge_i64_e32 vcc_lo, v[5:6], v[3:4]
	s_or_b32 s29, vcc_lo, s29
	s_and_not1_b32 exec_lo, exec_lo, s29
	s_cbranch_execz .LBB139_16
.LBB139_20:                             ;   Parent Loop BB139_17 Depth=1
                                        ; =>  This Loop Header: Depth=2
                                        ;       Child Loop BB139_22 Depth 3
	v_lshlrev_b64 v[7:8], 3, v[5:6]
	s_mov_b32 s38, 0
	s_delay_alu instid0(VALU_DEP_1) | instskip(NEXT) | instid1(VALU_DEP_2)
	v_add_co_u32 v9, vcc_lo, s4, v7
	v_add_co_ci_u32_e32 v10, vcc_lo, s5, v8, vcc_lo
	v_add_co_u32 v7, vcc_lo, s6, v7
	v_add_co_ci_u32_e32 v8, vcc_lo, s7, v8, vcc_lo
	global_load_b64 v[9:10], v[9:10], off
	global_load_b64 v[20:21], v[7:8], off
	s_waitcnt vmcnt(1)
	v_sub_co_u32 v7, vcc_lo, v9, s20
	v_subrev_co_ci_u32_e32 v8, vcc_lo, 0, v10, vcc_lo
	s_waitcnt vmcnt(0)
	v_mul_f32_e64 v18, v21, -v17
	s_delay_alu instid0(VALU_DEP_3) | instskip(SKIP_1) | instid1(VALU_DEP_3)
	v_mul_lo_u32 v9, 0x89, v7
	v_mul_f32_e32 v19, v16, v21
	v_fmac_f32_e32 v18, v16, v20
	s_delay_alu instid0(VALU_DEP_2)
	v_dual_fmac_f32 v19, v17, v20 :: v_dual_and_b32 v20, 0x3ff, v9
	s_branch .LBB139_22
.LBB139_21:                             ;   in Loop: Header=BB139_22 Depth=3
	s_or_b32 exec_lo, exec_lo, s39
	s_xor_b32 s39, s42, -1
	s_delay_alu instid0(SALU_CYCLE_1) | instskip(NEXT) | instid1(SALU_CYCLE_1)
	s_and_b32 s39, exec_lo, s39
	s_or_b32 s38, s39, s38
	s_delay_alu instid0(SALU_CYCLE_1)
	s_and_not1_b32 exec_lo, exec_lo, s38
	s_cbranch_execz .LBB139_19
.LBB139_22:                             ;   Parent Loop BB139_17 Depth=1
                                        ;     Parent Loop BB139_20 Depth=2
                                        ; =>    This Inner Loop Header: Depth=3
	s_delay_alu instid0(VALU_DEP_1)
	v_lshl_add_u32 v21, v20, 3, 0
	s_mov_b32 s39, exec_lo
                                        ; implicit-def: $sgpr42
	ds_load_b64 v[9:10], v21
	s_waitcnt lgkmcnt(0)
	v_cmpx_ne_u64_e64 v[9:10], v[7:8]
	s_xor_b32 s39, exec_lo, s39
	s_cbranch_execz .LBB139_30
; %bb.23:                               ;   in Loop: Header=BB139_22 Depth=3
	s_mov_b32 s43, exec_lo
                                        ; implicit-def: $sgpr42
	v_cmpx_ne_u64_e64 s[40:41], v[9:10]
	s_xor_b32 s43, exec_lo, s43
; %bb.24:                               ;   in Loop: Header=BB139_22 Depth=3
	v_add_nc_u32_e32 v9, 1, v20
	s_mov_b32 s42, -1
                                        ; implicit-def: $vgpr21
	s_delay_alu instid0(VALU_DEP_1)
	v_and_b32_e32 v20, 0x3ff, v9
; %bb.25:                               ;   in Loop: Header=BB139_22 Depth=3
	s_and_not1_saveexec_b32 s43, s43
	s_cbranch_execz .LBB139_29
; %bb.26:                               ;   in Loop: Header=BB139_22 Depth=3
	v_dual_mov_b32 v9, s40 :: v_dual_mov_b32 v10, s41
	s_mov_b32 s46, -1
	s_mov_b32 s47, exec_lo
	ds_cmpstore_rtn_b64 v[9:10], v21, v[7:8], v[9:10]
	s_waitcnt lgkmcnt(0)
	v_cmpx_eq_u64_e64 s[40:41], v[9:10]
	s_cbranch_execz .LBB139_28
; %bb.27:                               ;   in Loop: Header=BB139_22 Depth=3
	ds_add_f32 v21, v18 offset:8192
	ds_add_f32 v21, v19 offset:8196
	s_xor_b32 s46, exec_lo, -1
.LBB139_28:                             ;   in Loop: Header=BB139_22 Depth=3
	s_or_b32 exec_lo, exec_lo, s47
	s_delay_alu instid0(SALU_CYCLE_1) | instskip(SKIP_1) | instid1(SALU_CYCLE_1)
	s_and_not1_b32 s42, s42, exec_lo
	s_and_b32 s46, s46, exec_lo
	s_or_b32 s42, s42, s46
.LBB139_29:                             ;   in Loop: Header=BB139_22 Depth=3
	s_or_b32 exec_lo, exec_lo, s43
	s_delay_alu instid0(SALU_CYCLE_1)
	s_and_b32 s42, s42, exec_lo
                                        ; implicit-def: $vgpr21
.LBB139_30:                             ;   in Loop: Header=BB139_22 Depth=3
	s_and_not1_saveexec_b32 s39, s39
	s_cbranch_execz .LBB139_21
; %bb.31:                               ;   in Loop: Header=BB139_22 Depth=3
	ds_add_f32 v21, v18 offset:8192
	ds_add_f32 v21, v19 offset:8196
	s_and_not1_b32 s42, s42, exec_lo
	s_branch .LBB139_21
.LBB139_32:
	s_or_b32 exec_lo, exec_lo, s8
.LBB139_33:
	s_delay_alu instid0(SALU_CYCLE_1)
	s_and_not1_b32 vcc_lo, exec_lo, s45
	s_cbranch_vccnz .LBB139_50
; %bb.34:
	s_waitcnt lgkmcnt(0)
	s_lshl_b64 s[0:1], s[36:37], 3
	s_mov_b32 s3, 0
	s_add_u32 s0, s10, s0
	s_addc_u32 s1, s11, s1
	s_load_b128 s[4:7], s[0:1], 0x0
	v_sub_co_u32 v1, s0, v0, s31
	s_delay_alu instid0(VALU_DEP_1) | instskip(SKIP_1) | instid1(VALU_DEP_2)
	v_sub_co_ci_u32_e64 v2, null, 0, 0, s0
	s_waitcnt lgkmcnt(0)
	v_add_co_u32 v1, vcc_lo, s4, v1
	s_delay_alu instid0(VALU_DEP_2) | instskip(SKIP_3) | instid1(VALU_DEP_1)
	v_add_co_ci_u32_e32 v2, vcc_lo, s5, v2, vcc_lo
	s_sub_u32 s0, s6, s31
	s_subb_u32 s1, s7, 0
	s_mov_b32 s4, exec_lo
	v_cmpx_gt_i64_e64 s[0:1], v[1:2]
	s_cbranch_execz .LBB139_49
; %bb.35:
	s_mov_b32 s5, s31
	s_branch .LBB139_37
.LBB139_36:                             ;   in Loop: Header=BB139_37 Depth=1
	s_or_b32 exec_lo, exec_lo, s6
	v_add_co_u32 v1, vcc_lo, 0x200, v1
	v_add_co_ci_u32_e32 v2, vcc_lo, 0, v2, vcc_lo
	s_delay_alu instid0(VALU_DEP_1) | instskip(SKIP_1) | instid1(SALU_CYCLE_1)
	v_cmp_le_i64_e32 vcc_lo, s[0:1], v[1:2]
	s_or_b32 s3, vcc_lo, s3
	s_and_not1_b32 exec_lo, exec_lo, s3
	s_cbranch_execz .LBB139_49
.LBB139_37:                             ; =>This Loop Header: Depth=1
                                        ;     Child Loop BB139_39 Depth 2
	v_lshlrev_b64 v[3:4], 3, v[1:2]
	s_mov_b32 s6, 0
	s_delay_alu instid0(VALU_DEP_1) | instskip(NEXT) | instid1(VALU_DEP_2)
	v_add_co_u32 v5, vcc_lo, s12, v3
	v_add_co_ci_u32_e32 v6, vcc_lo, s13, v4, vcc_lo
	v_add_co_u32 v3, vcc_lo, s14, v3
	v_add_co_ci_u32_e32 v4, vcc_lo, s15, v4, vcc_lo
	global_load_b64 v[5:6], v[5:6], off
	global_load_b64 v[9:10], v[3:4], off
	s_waitcnt vmcnt(1)
	v_sub_co_u32 v3, vcc_lo, v5, s5
	v_subrev_co_ci_u32_e32 v4, vcc_lo, 0, v6, vcc_lo
	s_waitcnt vmcnt(0)
	v_mul_f32_e64 v7, v10, -s33
	s_delay_alu instid0(VALU_DEP_3) | instskip(NEXT) | instid1(VALU_DEP_2)
	v_mul_lo_u32 v5, 0x89, v3
	v_dual_mul_f32 v8, s2, v10 :: v_dual_fmac_f32 v7, s2, v9
	s_delay_alu instid0(VALU_DEP_1) | instskip(NEXT) | instid1(VALU_DEP_3)
	v_fmac_f32_e32 v8, s33, v9
	v_and_b32_e32 v9, 0x3ff, v5
	s_branch .LBB139_39
.LBB139_38:                             ;   in Loop: Header=BB139_39 Depth=2
	s_or_b32 exec_lo, exec_lo, s7
	s_xor_b32 s7, s8, -1
	s_delay_alu instid0(SALU_CYCLE_1) | instskip(NEXT) | instid1(SALU_CYCLE_1)
	s_and_b32 s7, exec_lo, s7
	s_or_b32 s6, s7, s6
	s_delay_alu instid0(SALU_CYCLE_1)
	s_and_not1_b32 exec_lo, exec_lo, s6
	s_cbranch_execz .LBB139_36
.LBB139_39:                             ;   Parent Loop BB139_37 Depth=1
                                        ; =>  This Inner Loop Header: Depth=2
	s_delay_alu instid0(VALU_DEP_1)
	v_lshl_add_u32 v10, v9, 3, 0
	s_mov_b32 s7, exec_lo
                                        ; implicit-def: $sgpr8
	ds_load_b64 v[5:6], v10
	s_waitcnt lgkmcnt(0)
	v_cmpx_ne_u64_e64 v[5:6], v[3:4]
	s_xor_b32 s7, exec_lo, s7
	s_cbranch_execz .LBB139_47
; %bb.40:                               ;   in Loop: Header=BB139_39 Depth=2
	s_mov_b32 s9, exec_lo
                                        ; implicit-def: $sgpr8
	v_cmpx_ne_u64_e64 s[40:41], v[5:6]
	s_xor_b32 s9, exec_lo, s9
; %bb.41:                               ;   in Loop: Header=BB139_39 Depth=2
	v_add_nc_u32_e32 v5, 1, v9
	s_mov_b32 s8, -1
                                        ; implicit-def: $vgpr10
	s_delay_alu instid0(VALU_DEP_1)
	v_and_b32_e32 v9, 0x3ff, v5
; %bb.42:                               ;   in Loop: Header=BB139_39 Depth=2
	s_and_not1_saveexec_b32 s9, s9
	s_cbranch_execz .LBB139_46
; %bb.43:                               ;   in Loop: Header=BB139_39 Depth=2
	v_dual_mov_b32 v5, s40 :: v_dual_mov_b32 v6, s41
	s_mov_b32 s10, -1
	s_mov_b32 s11, exec_lo
	ds_cmpstore_rtn_b64 v[5:6], v10, v[3:4], v[5:6]
	s_waitcnt lgkmcnt(0)
	v_cmpx_eq_u64_e64 s[40:41], v[5:6]
	s_cbranch_execz .LBB139_45
; %bb.44:                               ;   in Loop: Header=BB139_39 Depth=2
	ds_add_f32 v10, v7 offset:8192
	ds_add_f32 v10, v8 offset:8196
	s_xor_b32 s10, exec_lo, -1
.LBB139_45:                             ;   in Loop: Header=BB139_39 Depth=2
	s_or_b32 exec_lo, exec_lo, s11
	s_delay_alu instid0(SALU_CYCLE_1) | instskip(SKIP_1) | instid1(SALU_CYCLE_1)
	s_and_not1_b32 s8, s8, exec_lo
	s_and_b32 s10, s10, exec_lo
	s_or_b32 s8, s8, s10
.LBB139_46:                             ;   in Loop: Header=BB139_39 Depth=2
	s_or_b32 exec_lo, exec_lo, s9
	s_delay_alu instid0(SALU_CYCLE_1)
	s_and_b32 s8, s8, exec_lo
                                        ; implicit-def: $vgpr10
.LBB139_47:                             ;   in Loop: Header=BB139_39 Depth=2
	s_and_not1_saveexec_b32 s7, s7
	s_cbranch_execz .LBB139_38
; %bb.48:                               ;   in Loop: Header=BB139_39 Depth=2
	ds_add_f32 v10, v7 offset:8192
	ds_add_f32 v10, v8 offset:8196
	s_and_not1_b32 s8, s8, exec_lo
	s_branch .LBB139_38
.LBB139_49:
	s_or_b32 exec_lo, exec_lo, s4
.LBB139_50:
	v_mbcnt_lo_u32_b32 v1, -1, 0
	v_lshl_add_u32 v14, v11, 3, 0
	v_cmp_eq_u32_e32 vcc_lo, 0x1ff, v0
	v_cmp_lt_u32_e64 s0, 31, v0
	v_cmp_lt_u32_e64 s1, 63, v0
	v_xor_b32_e32 v1, 63, v1
	v_cmp_lt_u32_e64 s2, 0x5f, v0
	v_cmp_lt_u32_e64 s3, 0x7f, v0
	;; [unrolled: 1-line block ×4, first 2 shown]
	v_lshrrev_b64 v[1:2], v1, -1
	v_dual_mov_b32 v2, 0 :: v_dual_mov_b32 v5, 0
	v_cmp_lt_u32_e64 s6, 0xdf, v0
	v_cmp_lt_u32_e64 s7, 0xff, v0
	;; [unrolled: 1-line block ×9, first 2 shown]
	v_mov_b32_e32 v3, 0
	s_mov_b32 s20, 0
	s_waitcnt lgkmcnt(0)
	s_barrier
	buffer_gl0_inv
	s_branch .LBB139_52
.LBB139_51:                             ;   in Loop: Header=BB139_52 Depth=1
	s_or_b32 exec_lo, exec_lo, s15
	s_waitcnt lgkmcnt(0)
	s_barrier
	buffer_gl0_inv
	ds_load_b64 v[6:7], v5 offset:16504
	v_add_co_u32 v13, s15, 0x200, v13
	s_delay_alu instid0(VALU_DEP_1) | instskip(SKIP_3) | instid1(VALU_DEP_1)
	s_xor_b32 s21, s15, -1
	v_add_nc_u32_e32 v12, 0x1000, v12
	s_waitcnt lgkmcnt(0)
	v_add_co_u32 v2, s15, v6, v2
	v_add_co_ci_u32_e64 v3, s15, v7, v3, s15
	s_and_b32 s15, exec_lo, s21
	s_delay_alu instid0(SALU_CYCLE_1) | instskip(NEXT) | instid1(SALU_CYCLE_1)
	s_or_b32 s20, s15, s20
	s_and_not1_b32 exec_lo, exec_lo, s20
	s_cbranch_execz .LBB139_86
.LBB139_52:                             ; =>This Inner Loop Header: Depth=1
	ds_load_b64 v[6:7], v12
	v_add_nc_u32_e32 v4, 0x2000, v12
	ds_load_2addr_b32 v[8:9], v4 offset1:1
	s_waitcnt lgkmcnt(0)
	s_barrier
	buffer_gl0_inv
	v_cmp_gt_i64_e64 s15, s[40:41], v[6:7]
	s_delay_alu instid0(VALU_DEP_1) | instskip(SKIP_1) | instid1(SALU_CYCLE_1)
	v_and_b32_e32 v10, s15, v1
	s_bcnt1_i32_b32 s21, s15
	v_mov_b32_e32 v4, s21
	s_delay_alu instid0(VALU_DEP_2)
	v_bcnt_u32_b32 v10, v10, 0
	ds_store_b64 v14, v[4:5] offset:16384
	s_waitcnt lgkmcnt(0)
	s_barrier
	buffer_gl0_inv
	s_and_saveexec_b32 s21, s0
	s_cbranch_execnz .LBB139_69
; %bb.53:                               ;   in Loop: Header=BB139_52 Depth=1
	s_or_b32 exec_lo, exec_lo, s21
	s_and_saveexec_b32 s21, s1
	s_cbranch_execnz .LBB139_70
.LBB139_54:                             ;   in Loop: Header=BB139_52 Depth=1
	s_or_b32 exec_lo, exec_lo, s21
	s_and_saveexec_b32 s21, s2
	s_cbranch_execnz .LBB139_71
.LBB139_55:                             ;   in Loop: Header=BB139_52 Depth=1
	s_or_b32 exec_lo, exec_lo, s21
	s_and_saveexec_b32 s21, s3
	s_cbranch_execnz .LBB139_72
.LBB139_56:                             ;   in Loop: Header=BB139_52 Depth=1
	s_or_b32 exec_lo, exec_lo, s21
	s_and_saveexec_b32 s21, s4
	s_cbranch_execnz .LBB139_73
.LBB139_57:                             ;   in Loop: Header=BB139_52 Depth=1
	s_or_b32 exec_lo, exec_lo, s21
	s_and_saveexec_b32 s21, s5
	s_cbranch_execnz .LBB139_74
.LBB139_58:                             ;   in Loop: Header=BB139_52 Depth=1
	s_or_b32 exec_lo, exec_lo, s21
	s_and_saveexec_b32 s21, s6
	s_cbranch_execnz .LBB139_75
.LBB139_59:                             ;   in Loop: Header=BB139_52 Depth=1
	s_or_b32 exec_lo, exec_lo, s21
	s_and_saveexec_b32 s21, s7
	s_cbranch_execnz .LBB139_76
.LBB139_60:                             ;   in Loop: Header=BB139_52 Depth=1
	s_or_b32 exec_lo, exec_lo, s21
	s_and_saveexec_b32 s21, s8
	s_cbranch_execnz .LBB139_77
.LBB139_61:                             ;   in Loop: Header=BB139_52 Depth=1
	s_or_b32 exec_lo, exec_lo, s21
	s_and_saveexec_b32 s21, s9
	s_cbranch_execnz .LBB139_78
.LBB139_62:                             ;   in Loop: Header=BB139_52 Depth=1
	s_or_b32 exec_lo, exec_lo, s21
	s_and_saveexec_b32 s21, s10
	s_cbranch_execnz .LBB139_79
.LBB139_63:                             ;   in Loop: Header=BB139_52 Depth=1
	s_or_b32 exec_lo, exec_lo, s21
	s_and_saveexec_b32 s21, s11
	s_cbranch_execnz .LBB139_80
.LBB139_64:                             ;   in Loop: Header=BB139_52 Depth=1
	s_or_b32 exec_lo, exec_lo, s21
	s_and_saveexec_b32 s21, s12
	s_cbranch_execnz .LBB139_81
.LBB139_65:                             ;   in Loop: Header=BB139_52 Depth=1
	s_or_b32 exec_lo, exec_lo, s21
	s_and_saveexec_b32 s21, s13
	s_cbranch_execnz .LBB139_82
.LBB139_66:                             ;   in Loop: Header=BB139_52 Depth=1
	s_or_b32 exec_lo, exec_lo, s21
	s_and_saveexec_b32 s21, s14
	s_cbranch_execnz .LBB139_83
.LBB139_67:                             ;   in Loop: Header=BB139_52 Depth=1
	s_or_b32 exec_lo, exec_lo, s21
	v_ashrrev_i32_e32 v11, 31, v10
	s_and_saveexec_b32 s21, s15
	s_cbranch_execnz .LBB139_84
.LBB139_68:                             ;   in Loop: Header=BB139_52 Depth=1
	s_or_b32 exec_lo, exec_lo, s21
	s_and_saveexec_b32 s15, vcc_lo
	s_cbranch_execz .LBB139_51
	s_branch .LBB139_85
.LBB139_69:                             ;   in Loop: Header=BB139_52 Depth=1
	ds_load_b32 v4, v5 offset:16384
	s_waitcnt lgkmcnt(0)
	v_add_nc_u32_e32 v10, v4, v10
	s_or_b32 exec_lo, exec_lo, s21
	s_and_saveexec_b32 s21, s1
	s_cbranch_execz .LBB139_54
.LBB139_70:                             ;   in Loop: Header=BB139_52 Depth=1
	ds_load_b32 v4, v5 offset:16392
	s_waitcnt lgkmcnt(0)
	v_add_nc_u32_e32 v10, v10, v4
	s_or_b32 exec_lo, exec_lo, s21
	s_and_saveexec_b32 s21, s2
	s_cbranch_execz .LBB139_55
.LBB139_71:                             ;   in Loop: Header=BB139_52 Depth=1
	ds_load_b32 v4, v5 offset:16400
	s_waitcnt lgkmcnt(0)
	v_add_nc_u32_e32 v10, v10, v4
	s_or_b32 exec_lo, exec_lo, s21
	s_and_saveexec_b32 s21, s3
	s_cbranch_execz .LBB139_56
.LBB139_72:                             ;   in Loop: Header=BB139_52 Depth=1
	ds_load_b32 v4, v5 offset:16408
	s_waitcnt lgkmcnt(0)
	v_add_nc_u32_e32 v10, v10, v4
	s_or_b32 exec_lo, exec_lo, s21
	s_and_saveexec_b32 s21, s4
	s_cbranch_execz .LBB139_57
.LBB139_73:                             ;   in Loop: Header=BB139_52 Depth=1
	ds_load_b32 v4, v5 offset:16416
	s_waitcnt lgkmcnt(0)
	v_add_nc_u32_e32 v10, v10, v4
	s_or_b32 exec_lo, exec_lo, s21
	s_and_saveexec_b32 s21, s5
	s_cbranch_execz .LBB139_58
.LBB139_74:                             ;   in Loop: Header=BB139_52 Depth=1
	ds_load_b32 v4, v5 offset:16424
	s_waitcnt lgkmcnt(0)
	v_add_nc_u32_e32 v10, v10, v4
	s_or_b32 exec_lo, exec_lo, s21
	s_and_saveexec_b32 s21, s6
	s_cbranch_execz .LBB139_59
.LBB139_75:                             ;   in Loop: Header=BB139_52 Depth=1
	ds_load_b32 v4, v5 offset:16432
	s_waitcnt lgkmcnt(0)
	v_add_nc_u32_e32 v10, v10, v4
	s_or_b32 exec_lo, exec_lo, s21
	s_and_saveexec_b32 s21, s7
	s_cbranch_execz .LBB139_60
.LBB139_76:                             ;   in Loop: Header=BB139_52 Depth=1
	ds_load_b32 v4, v5 offset:16440
	s_waitcnt lgkmcnt(0)
	v_add_nc_u32_e32 v10, v10, v4
	s_or_b32 exec_lo, exec_lo, s21
	s_and_saveexec_b32 s21, s8
	s_cbranch_execz .LBB139_61
.LBB139_77:                             ;   in Loop: Header=BB139_52 Depth=1
	ds_load_b32 v4, v5 offset:16448
	s_waitcnt lgkmcnt(0)
	v_add_nc_u32_e32 v10, v10, v4
	s_or_b32 exec_lo, exec_lo, s21
	s_and_saveexec_b32 s21, s9
	s_cbranch_execz .LBB139_62
.LBB139_78:                             ;   in Loop: Header=BB139_52 Depth=1
	ds_load_b32 v4, v5 offset:16456
	s_waitcnt lgkmcnt(0)
	v_add_nc_u32_e32 v10, v10, v4
	s_or_b32 exec_lo, exec_lo, s21
	s_and_saveexec_b32 s21, s10
	s_cbranch_execz .LBB139_63
.LBB139_79:                             ;   in Loop: Header=BB139_52 Depth=1
	ds_load_b32 v4, v5 offset:16464
	s_waitcnt lgkmcnt(0)
	v_add_nc_u32_e32 v10, v10, v4
	s_or_b32 exec_lo, exec_lo, s21
	s_and_saveexec_b32 s21, s11
	s_cbranch_execz .LBB139_64
.LBB139_80:                             ;   in Loop: Header=BB139_52 Depth=1
	ds_load_b32 v4, v5 offset:16472
	s_waitcnt lgkmcnt(0)
	v_add_nc_u32_e32 v10, v10, v4
	s_or_b32 exec_lo, exec_lo, s21
	s_and_saveexec_b32 s21, s12
	s_cbranch_execz .LBB139_65
.LBB139_81:                             ;   in Loop: Header=BB139_52 Depth=1
	ds_load_b32 v4, v5 offset:16480
	s_waitcnt lgkmcnt(0)
	v_add_nc_u32_e32 v10, v10, v4
	s_or_b32 exec_lo, exec_lo, s21
	s_and_saveexec_b32 s21, s13
	s_cbranch_execz .LBB139_66
.LBB139_82:                             ;   in Loop: Header=BB139_52 Depth=1
	ds_load_b32 v4, v5 offset:16488
	s_waitcnt lgkmcnt(0)
	v_add_nc_u32_e32 v10, v10, v4
	s_or_b32 exec_lo, exec_lo, s21
	s_and_saveexec_b32 s21, s14
	s_cbranch_execz .LBB139_67
.LBB139_83:                             ;   in Loop: Header=BB139_52 Depth=1
	ds_load_b32 v4, v5 offset:16496
	s_waitcnt lgkmcnt(0)
	v_add_nc_u32_e32 v10, v10, v4
	s_or_b32 exec_lo, exec_lo, s21
	s_delay_alu instid0(VALU_DEP_1)
	v_ashrrev_i32_e32 v11, 31, v10
	s_and_saveexec_b32 s21, s15
	s_cbranch_execz .LBB139_68
.LBB139_84:                             ;   in Loop: Header=BB139_52 Depth=1
	v_add3_u32 v4, v2, -1, v10
	s_delay_alu instid0(VALU_DEP_1) | instskip(NEXT) | instid1(VALU_DEP_1)
	v_lshl_add_u32 v4, v4, 3, 0
	v_add_nc_u32_e32 v15, 0x2000, v4
	ds_store_b64 v4, v[6:7]
	ds_store_2addr_b32 v15, v8, v9 offset1:1
	s_or_b32 exec_lo, exec_lo, s21
	s_and_saveexec_b32 s15, vcc_lo
	s_cbranch_execz .LBB139_51
.LBB139_85:                             ;   in Loop: Header=BB139_52 Depth=1
	ds_store_b64 v5, v[10:11] offset:16504
	s_branch .LBB139_51
.LBB139_86:
	s_or_b32 exec_lo, exec_lo, s20
	s_lshl_b64 s[0:1], s[36:37], 3
	v_mov_b32_e32 v1, 0
	s_add_u32 s0, s16, s0
	s_addc_u32 s1, s17, s1
	s_mov_b32 s6, exec_lo
	s_load_b128 s[0:3], s[0:1], 0x0
	s_waitcnt lgkmcnt(0)
	s_sub_u32 s4, s2, s0
	s_subb_u32 s5, s3, s1
	s_delay_alu instid0(SALU_CYCLE_1)
	v_cmpx_gt_i64_e64 s[4:5], v[0:1]
	s_cbranch_execz .LBB139_96
; %bb.87:
	s_sub_u32 s8, s0, s30
	s_subb_u32 s9, s1, 0
	s_and_b32 s6, s4, 7
	s_sub_u32 s0, s0, s2
	s_subb_u32 s1, s1, s3
	s_mov_b32 s7, 0
	v_cmp_lt_u64_e64 s12, s[0:1], -7
	s_and_b32 s2, s4, -8
	s_cmp_lg_u64 s[6:7], 0
	s_mov_b32 s3, s5
	s_cselect_b32 s13, -1, 0
	s_mov_b32 s14, s7
	s_branch .LBB139_89
.LBB139_88:                             ;   in Loop: Header=BB139_89 Depth=1
	s_waitcnt lgkmcnt(1)
	v_add_co_u32 v4, vcc_lo, v4, s30
	v_lshlrev_b64 v[6:7], 3, v[6:7]
	v_add_co_ci_u32_e32 v5, vcc_lo, 0, v5, vcc_lo
	v_add_co_u32 v0, vcc_lo, 0x200, v0
	v_add_co_ci_u32_e32 v1, vcc_lo, 0, v1, vcc_lo
	s_delay_alu instid0(VALU_DEP_4) | instskip(SKIP_1) | instid1(VALU_DEP_3)
	v_add_co_u32 v8, vcc_lo, s18, v6
	v_add_co_ci_u32_e32 v9, vcc_lo, s19, v7, vcc_lo
	v_cmp_le_i64_e32 vcc_lo, s[4:5], v[0:1]
	v_add_co_u32 v6, s0, s34, v6
	s_delay_alu instid0(VALU_DEP_1) | instskip(SKIP_4) | instid1(SALU_CYCLE_1)
	v_add_co_ci_u32_e64 v7, s0, s35, v7, s0
	global_store_b64 v[8:9], v[4:5], off
	s_waitcnt lgkmcnt(0)
	global_store_b64 v[6:7], v[2:3], off
	s_or_b32 s14, vcc_lo, s14
	s_and_not1_b32 exec_lo, exec_lo, s14
	s_cbranch_execz .LBB139_96
.LBB139_89:                             ; =>This Loop Header: Depth=1
                                        ;     Child Loop BB139_91 Depth 2
                                        ;     Child Loop BB139_95 Depth 2
	v_lshl_add_u32 v2, v0, 3, 0
	s_and_not1_b32 vcc_lo, exec_lo, s12
	s_mov_b64 s[0:1], 0
	v_dual_mov_b32 v6, s8 :: v_dual_mov_b32 v7, s9
	s_delay_alu instid0(VALU_DEP_2)
	v_add_nc_u32_e32 v3, 0x2000, v2
	ds_load_b64 v[4:5], v2
	ds_load_2addr_b32 v[2:3], v3 offset1:1
	s_cbranch_vccnz .LBB139_93
; %bb.90:                               ;   in Loop: Header=BB139_89 Depth=1
	v_dual_mov_b32 v6, s8 :: v_dual_mov_b32 v7, s9
	s_mov_b64 s[10:11], 0
	s_mov_b32 s1, 0
.LBB139_91:                             ;   Parent Loop BB139_89 Depth=1
                                        ; =>  This Inner Loop Header: Depth=2
	s_delay_alu instid0(SALU_CYCLE_1)
	v_mov_b32_e32 v20, s1
	s_add_u32 s10, s10, 8
	s_addc_u32 s11, s11, 0
	s_add_i32 s1, s1, 64
	s_cmp_eq_u64 s[2:3], s[10:11]
	ds_load_2addr_b64 v[8:11], v20 offset1:1
	ds_load_2addr_b64 v[12:15], v20 offset0:2 offset1:3
	ds_load_2addr_b64 v[16:19], v20 offset0:4 offset1:5
	;; [unrolled: 1-line block ×3, first 2 shown]
	s_waitcnt lgkmcnt(3)
	v_cmp_gt_i64_e32 vcc_lo, v[4:5], v[8:9]
	v_cndmask_b32_e64 v8, 0, 1, vcc_lo
	v_cmp_gt_i64_e32 vcc_lo, v[4:5], v[10:11]
	v_cndmask_b32_e64 v9, 0, 1, vcc_lo
	s_waitcnt lgkmcnt(2)
	v_cmp_gt_i64_e32 vcc_lo, v[4:5], v[12:13]
	v_cndmask_b32_e64 v10, 0, 1, vcc_lo
	v_cmp_gt_i64_e32 vcc_lo, v[4:5], v[14:15]
	v_cndmask_b32_e64 v11, 0, 1, vcc_lo
	s_waitcnt lgkmcnt(1)
	v_cmp_gt_i64_e32 vcc_lo, v[4:5], v[16:17]
	v_cndmask_b32_e64 v12, 0, 1, vcc_lo
	v_add_co_u32 v6, vcc_lo, v6, v8
	v_add_co_ci_u32_e32 v7, vcc_lo, 0, v7, vcc_lo
	v_cmp_gt_i64_e32 vcc_lo, v[4:5], v[18:19]
	s_delay_alu instid0(VALU_DEP_3) | instskip(NEXT) | instid1(VALU_DEP_1)
	v_add_co_u32 v6, s0, v6, v9
	v_add_co_ci_u32_e64 v7, s0, 0, v7, s0
	v_cndmask_b32_e64 v8, 0, 1, vcc_lo
	s_delay_alu instid0(VALU_DEP_3) | instskip(NEXT) | instid1(VALU_DEP_3)
	v_add_co_u32 v6, vcc_lo, v6, v10
	v_add_co_ci_u32_e32 v7, vcc_lo, 0, v7, vcc_lo
	s_waitcnt lgkmcnt(0)
	v_cmp_gt_i64_e32 vcc_lo, v[4:5], v[20:21]
	s_delay_alu instid0(VALU_DEP_3) | instskip(NEXT) | instid1(VALU_DEP_1)
	v_add_co_u32 v6, s0, v6, v11
	v_add_co_ci_u32_e64 v7, s0, 0, v7, s0
	v_cndmask_b32_e64 v9, 0, 1, vcc_lo
	s_delay_alu instid0(VALU_DEP_3) | instskip(NEXT) | instid1(VALU_DEP_3)
	v_add_co_u32 v6, vcc_lo, v6, v12
	v_add_co_ci_u32_e32 v7, vcc_lo, 0, v7, vcc_lo
	v_cmp_gt_i64_e32 vcc_lo, v[4:5], v[22:23]
	s_delay_alu instid0(VALU_DEP_3) | instskip(NEXT) | instid1(VALU_DEP_1)
	v_add_co_u32 v6, s0, v6, v8
	v_add_co_ci_u32_e64 v7, s0, 0, v7, s0
	v_cndmask_b32_e64 v8, 0, 1, vcc_lo
	s_delay_alu instid0(VALU_DEP_3) | instskip(NEXT) | instid1(VALU_DEP_3)
	v_add_co_u32 v6, vcc_lo, v6, v9
	v_add_co_ci_u32_e32 v7, vcc_lo, 0, v7, vcc_lo
	s_delay_alu instid0(VALU_DEP_2) | instskip(NEXT) | instid1(VALU_DEP_2)
	v_add_co_u32 v6, vcc_lo, v6, v8
	v_add_co_ci_u32_e32 v7, vcc_lo, 0, v7, vcc_lo
	s_cbranch_scc0 .LBB139_91
; %bb.92:                               ;   in Loop: Header=BB139_89 Depth=1
	s_mov_b64 s[0:1], s[2:3]
.LBB139_93:                             ;   in Loop: Header=BB139_89 Depth=1
	s_and_not1_b32 vcc_lo, exec_lo, s13
	s_cbranch_vccnz .LBB139_88
; %bb.94:                               ;   in Loop: Header=BB139_89 Depth=1
	s_lshl_b32 s0, s0, 3
	s_delay_alu instid0(SALU_CYCLE_1)
	s_add_i32 s10, s0, 0
	s_mov_b64 s[0:1], s[6:7]
.LBB139_95:                             ;   Parent Loop BB139_89 Depth=1
                                        ; =>  This Inner Loop Header: Depth=2
	v_mov_b32_e32 v8, s10
	s_add_i32 s10, s10, 8
	s_add_u32 s0, s0, -1
	s_addc_u32 s1, s1, -1
	s_delay_alu instid0(SALU_CYCLE_1) | instskip(SKIP_4) | instid1(VALU_DEP_1)
	s_cmp_lg_u64 s[0:1], 0
	ds_load_b64 v[8:9], v8
	s_waitcnt lgkmcnt(0)
	v_cmp_gt_i64_e32 vcc_lo, v[4:5], v[8:9]
	v_cndmask_b32_e64 v8, 0, 1, vcc_lo
	v_add_co_u32 v6, vcc_lo, v6, v8
	v_add_co_ci_u32_e32 v7, vcc_lo, 0, v7, vcc_lo
	s_cbranch_scc1 .LBB139_95
	s_branch .LBB139_88
.LBB139_96:
	s_nop 0
	s_sendmsg sendmsg(MSG_DEALLOC_VGPRS)
	s_endpgm
	.section	.rodata,"a",@progbits
	.p2align	6, 0x0
	.amdhsa_kernel _ZN9rocsparseL26csrgemm_fill_block_per_rowILj512ELj32ELj1024ELj137ELj32Ell21rocsparse_complex_numIfEEEvT5_PKS3_S5_NS_24const_host_device_scalarIT6_EEPKT4_S5_PKS7_SB_S5_SD_S8_SB_S5_SD_SB_PS3_PS7_21rocsparse_index_base_SG_SG_SG_bbb
		.amdhsa_group_segment_fixed_size 0
		.amdhsa_private_segment_fixed_size 0
		.amdhsa_kernarg_size 156
		.amdhsa_user_sgpr_count 15
		.amdhsa_user_sgpr_dispatch_ptr 0
		.amdhsa_user_sgpr_queue_ptr 0
		.amdhsa_user_sgpr_kernarg_segment_ptr 1
		.amdhsa_user_sgpr_dispatch_id 0
		.amdhsa_user_sgpr_private_segment_size 0
		.amdhsa_wavefront_size32 1
		.amdhsa_uses_dynamic_stack 0
		.amdhsa_enable_private_segment 0
		.amdhsa_system_sgpr_workgroup_id_x 1
		.amdhsa_system_sgpr_workgroup_id_y 0
		.amdhsa_system_sgpr_workgroup_id_z 0
		.amdhsa_system_sgpr_workgroup_info 0
		.amdhsa_system_vgpr_workitem_id 0
		.amdhsa_next_free_vgpr 24
		.amdhsa_next_free_sgpr 52
		.amdhsa_reserve_vcc 1
		.amdhsa_float_round_mode_32 0
		.amdhsa_float_round_mode_16_64 0
		.amdhsa_float_denorm_mode_32 3
		.amdhsa_float_denorm_mode_16_64 3
		.amdhsa_dx10_clamp 1
		.amdhsa_ieee_mode 1
		.amdhsa_fp16_overflow 0
		.amdhsa_workgroup_processor_mode 1
		.amdhsa_memory_ordered 1
		.amdhsa_forward_progress 0
		.amdhsa_shared_vgpr_count 0
		.amdhsa_exception_fp_ieee_invalid_op 0
		.amdhsa_exception_fp_denorm_src 0
		.amdhsa_exception_fp_ieee_div_zero 0
		.amdhsa_exception_fp_ieee_overflow 0
		.amdhsa_exception_fp_ieee_underflow 0
		.amdhsa_exception_fp_ieee_inexact 0
		.amdhsa_exception_int_div_zero 0
	.end_amdhsa_kernel
	.section	.text._ZN9rocsparseL26csrgemm_fill_block_per_rowILj512ELj32ELj1024ELj137ELj32Ell21rocsparse_complex_numIfEEEvT5_PKS3_S5_NS_24const_host_device_scalarIT6_EEPKT4_S5_PKS7_SB_S5_SD_S8_SB_S5_SD_SB_PS3_PS7_21rocsparse_index_base_SG_SG_SG_bbb,"axG",@progbits,_ZN9rocsparseL26csrgemm_fill_block_per_rowILj512ELj32ELj1024ELj137ELj32Ell21rocsparse_complex_numIfEEEvT5_PKS3_S5_NS_24const_host_device_scalarIT6_EEPKT4_S5_PKS7_SB_S5_SD_S8_SB_S5_SD_SB_PS3_PS7_21rocsparse_index_base_SG_SG_SG_bbb,comdat
.Lfunc_end139:
	.size	_ZN9rocsparseL26csrgemm_fill_block_per_rowILj512ELj32ELj1024ELj137ELj32Ell21rocsparse_complex_numIfEEEvT5_PKS3_S5_NS_24const_host_device_scalarIT6_EEPKT4_S5_PKS7_SB_S5_SD_S8_SB_S5_SD_SB_PS3_PS7_21rocsparse_index_base_SG_SG_SG_bbb, .Lfunc_end139-_ZN9rocsparseL26csrgemm_fill_block_per_rowILj512ELj32ELj1024ELj137ELj32Ell21rocsparse_complex_numIfEEEvT5_PKS3_S5_NS_24const_host_device_scalarIT6_EEPKT4_S5_PKS7_SB_S5_SD_S8_SB_S5_SD_SB_PS3_PS7_21rocsparse_index_base_SG_SG_SG_bbb
                                        ; -- End function
	.section	.AMDGPU.csdata,"",@progbits
; Kernel info:
; codeLenInByte = 3608
; NumSgprs: 54
; NumVgprs: 24
; ScratchSize: 0
; MemoryBound: 0
; FloatMode: 240
; IeeeMode: 1
; LDSByteSize: 0 bytes/workgroup (compile time only)
; SGPRBlocks: 6
; VGPRBlocks: 2
; NumSGPRsForWavesPerEU: 54
; NumVGPRsForWavesPerEU: 24
; Occupancy: 16
; WaveLimiterHint : 1
; COMPUTE_PGM_RSRC2:SCRATCH_EN: 0
; COMPUTE_PGM_RSRC2:USER_SGPR: 15
; COMPUTE_PGM_RSRC2:TRAP_HANDLER: 0
; COMPUTE_PGM_RSRC2:TGID_X_EN: 1
; COMPUTE_PGM_RSRC2:TGID_Y_EN: 0
; COMPUTE_PGM_RSRC2:TGID_Z_EN: 0
; COMPUTE_PGM_RSRC2:TIDIG_COMP_CNT: 0
	.section	.text._ZN9rocsparseL26csrgemm_fill_block_per_rowILj512ELj32ELj1024ELj137ELj64Ell21rocsparse_complex_numIfEEEvT5_PKS3_S5_NS_24const_host_device_scalarIT6_EEPKT4_S5_PKS7_SB_S5_SD_S8_SB_S5_SD_SB_PS3_PS7_21rocsparse_index_base_SG_SG_SG_bbb,"axG",@progbits,_ZN9rocsparseL26csrgemm_fill_block_per_rowILj512ELj32ELj1024ELj137ELj64Ell21rocsparse_complex_numIfEEEvT5_PKS3_S5_NS_24const_host_device_scalarIT6_EEPKT4_S5_PKS7_SB_S5_SD_S8_SB_S5_SD_SB_PS3_PS7_21rocsparse_index_base_SG_SG_SG_bbb,comdat
	.globl	_ZN9rocsparseL26csrgemm_fill_block_per_rowILj512ELj32ELj1024ELj137ELj64Ell21rocsparse_complex_numIfEEEvT5_PKS3_S5_NS_24const_host_device_scalarIT6_EEPKT4_S5_PKS7_SB_S5_SD_S8_SB_S5_SD_SB_PS3_PS7_21rocsparse_index_base_SG_SG_SG_bbb ; -- Begin function _ZN9rocsparseL26csrgemm_fill_block_per_rowILj512ELj32ELj1024ELj137ELj64Ell21rocsparse_complex_numIfEEEvT5_PKS3_S5_NS_24const_host_device_scalarIT6_EEPKT4_S5_PKS7_SB_S5_SD_S8_SB_S5_SD_SB_PS3_PS7_21rocsparse_index_base_SG_SG_SG_bbb
	.p2align	8
	.type	_ZN9rocsparseL26csrgemm_fill_block_per_rowILj512ELj32ELj1024ELj137ELj64Ell21rocsparse_complex_numIfEEEvT5_PKS3_S5_NS_24const_host_device_scalarIT6_EEPKT4_S5_PKS7_SB_S5_SD_S8_SB_S5_SD_SB_PS3_PS7_21rocsparse_index_base_SG_SG_SG_bbb,@function
_ZN9rocsparseL26csrgemm_fill_block_per_rowILj512ELj32ELj1024ELj137ELj64Ell21rocsparse_complex_numIfEEEvT5_PKS3_S5_NS_24const_host_device_scalarIT6_EEPKT4_S5_PKS7_SB_S5_SD_S8_SB_S5_SD_SB_PS3_PS7_21rocsparse_index_base_SG_SG_SG_bbb: ; @_ZN9rocsparseL26csrgemm_fill_block_per_rowILj512ELj32ELj1024ELj137ELj64Ell21rocsparse_complex_numIfEEEvT5_PKS3_S5_NS_24const_host_device_scalarIT6_EEPKT4_S5_PKS7_SB_S5_SD_S8_SB_S5_SD_SB_PS3_PS7_21rocsparse_index_base_SG_SG_SG_bbb
; %bb.0:
	s_mov_b32 s40, s15
	s_clause 0x6
	s_load_b32 s33, s[0:1], 0x98
	s_load_b256 s[4:11], s[0:1], 0x60
	s_load_b256 s[12:19], s[0:1], 0x40
	s_load_b128 s[36:39], s[0:1], 0x8
	s_load_b256 s[20:27], s[0:1], 0x20
	s_load_b64 s[34:35], s[0:1], 0x80
	s_load_b128 s[28:31], s[0:1], 0x88
	s_mov_b32 s3, 0
	s_mov_b32 s42, 0
	s_waitcnt lgkmcnt(0)
	s_bitcmp1_b32 s33, 0
	s_cselect_b32 s44, -1, 0
	s_bitcmp1_b32 s33, 16
	s_cselect_b32 s2, -1, 0
	s_delay_alu instid0(SALU_CYCLE_1) | instskip(SKIP_2) | instid1(VALU_DEP_1)
	s_xor_b32 s41, s2, -1
	s_bitcmp0_b32 s33, 0
	v_cndmask_b32_e64 v1, 0, 1, s41
	v_cmp_ne_u32_e32 vcc_lo, 1, v1
	s_cbranch_scc1 .LBB140_5
; %bb.1:
	s_load_b64 s[2:3], s[0:1], 0x18
	s_and_b32 vcc_lo, exec_lo, vcc_lo
	s_waitcnt lgkmcnt(0)
	s_mov_b32 s42, s2
	s_cbranch_vccnz .LBB140_3
; %bb.2:
	s_load_b32 s42, s[2:3], 0x0
.LBB140_3:
	s_and_not1_b32 vcc_lo, exec_lo, s41
	s_cbranch_vccnz .LBB140_5
; %bb.4:
	s_load_b32 s3, s[2:3], 0x4
.LBB140_5:
	s_bitcmp1_b32 s33, 8
	s_cselect_b32 s43, -1, 0
	s_bfe_u32 s2, s33, 0x10008
	s_mov_b32 s33, 0
	s_cmp_eq_u32 s2, 0
	s_mov_b32 s2, 0
	s_cbranch_scc1 .LBB140_11
; %bb.6:
	v_cmp_ne_u32_e32 vcc_lo, 1, v1
	s_mov_b32 s2, s16
	s_cbranch_vccnz .LBB140_8
; %bb.7:
	s_load_b32 s2, s[16:17], 0x0
.LBB140_8:
	v_cmp_ne_u32_e32 vcc_lo, 1, v1
	s_cbranch_vccnz .LBB140_10
; %bb.9:
	s_load_b32 s17, s[16:17], 0x4
.LBB140_10:
	s_waitcnt lgkmcnt(0)
	s_mov_b32 s33, s17
.LBB140_11:
	s_load_b64 s[16:17], s[0:1], 0x0
	v_lshl_add_u32 v12, v0, 3, 0
	v_or_b32_e32 v13, 0xfffffe00, v0
	v_mov_b32_e32 v3, 0
	s_mov_b32 s0, 0
	s_delay_alu instid0(VALU_DEP_2)
	v_dual_mov_b32 v4, v12 :: v_dual_mov_b32 v5, v13
	s_waitcnt lgkmcnt(0)
	v_dual_mov_b32 v1, s16 :: v_dual_mov_b32 v2, s17
.LBB140_12:                             ; =>This Inner Loop Header: Depth=1
	s_delay_alu instid0(VALU_DEP_2) | instskip(NEXT) | instid1(VALU_DEP_1)
	v_add_co_u32 v5, s1, 0x200, v5
	s_xor_b32 s1, s1, -1
	v_add_nc_u32_e32 v6, 0x2000, v4
	ds_store_b64 v4, v[1:2]
	v_add_nc_u32_e32 v4, 0x1000, v4
	s_and_b32 s1, exec_lo, s1
	ds_store_2addr_b32 v6, v3, v3 offset1:1
	s_or_b32 s0, s1, s0
	s_delay_alu instid0(SALU_CYCLE_1)
	s_and_not1_b32 exec_lo, exec_lo, s0
	s_cbranch_execnz .LBB140_12
; %bb.13:
	s_or_b32 exec_lo, exec_lo, s0
	s_waitcnt lgkmcnt(0)
	s_barrier
	buffer_gl0_inv
	s_load_b64 s[0:1], s[36:37], 0x0
	s_mov_b32 s41, 0
	s_waitcnt lgkmcnt(0)
	s_lshl_b64 s[0:1], s[0:1], 3
	s_delay_alu instid0(SALU_CYCLE_1) | instskip(SKIP_2) | instid1(SALU_CYCLE_1)
	s_add_u32 s36, s38, s0
	s_addc_u32 s37, s39, s1
	s_lshl_b64 s[0:1], s[40:41], 3
	s_add_u32 s0, s36, s0
	s_addc_u32 s1, s37, s1
	s_and_b32 vcc_lo, exec_lo, s44
	s_load_b64 s[36:37], s[0:1], 0x0
	s_cbranch_vccz .LBB140_33
; %bb.14:
	s_waitcnt lgkmcnt(0)
	s_lshl_b64 s[0:1], s[36:37], 3
	v_lshrrev_b32_e32 v1, 5, v0
	s_add_u32 s0, s20, s0
	s_addc_u32 s1, s21, s1
	s_mov_b32 s20, exec_lo
	s_load_b128 s[44:47], s[0:1], 0x0
	v_sub_co_u32 v1, s0, v1, s28
	s_delay_alu instid0(VALU_DEP_1) | instskip(SKIP_1) | instid1(VALU_DEP_2)
	v_sub_co_ci_u32_e64 v2, null, 0, 0, s0
	s_waitcnt lgkmcnt(0)
	v_add_co_u32 v1, vcc_lo, s44, v1
	s_delay_alu instid0(VALU_DEP_2)
	v_add_co_ci_u32_e32 v2, vcc_lo, s45, v2, vcc_lo
	s_sub_u32 s0, s46, s28
	s_subb_u32 s1, s47, 0
	s_delay_alu instid0(VALU_DEP_1) | instid1(SALU_CYCLE_1)
	v_cmpx_gt_i64_e64 s[0:1], v[1:2]
	s_cbranch_execz .LBB140_32
; %bb.15:
	v_and_b32_e32 v3, 31, v0
	s_delay_alu instid0(VALU_DEP_1) | instskip(NEXT) | instid1(VALU_DEP_1)
	v_sub_co_u32 v11, s21, v3, s29
	v_sub_co_ci_u32_e64 v14, null, 0, 0, s21
	s_mov_b32 s21, 0
	s_branch .LBB140_17
.LBB140_16:                             ;   in Loop: Header=BB140_17 Depth=1
	s_or_b32 exec_lo, exec_lo, s38
	v_add_co_u32 v1, vcc_lo, v1, 16
	v_add_co_ci_u32_e32 v2, vcc_lo, 0, v2, vcc_lo
	s_delay_alu instid0(VALU_DEP_1) | instskip(SKIP_1) | instid1(SALU_CYCLE_1)
	v_cmp_le_i64_e32 vcc_lo, s[0:1], v[1:2]
	s_or_b32 s21, vcc_lo, s21
	s_and_not1_b32 exec_lo, exec_lo, s21
	s_cbranch_execz .LBB140_32
.LBB140_17:                             ; =>This Loop Header: Depth=1
                                        ;     Child Loop BB140_20 Depth 2
                                        ;       Child Loop BB140_22 Depth 3
	v_lshlrev_b64 v[7:8], 3, v[1:2]
	s_mov_b32 s38, exec_lo
	s_delay_alu instid0(VALU_DEP_1) | instskip(NEXT) | instid1(VALU_DEP_2)
	v_add_co_u32 v3, vcc_lo, s22, v7
	v_add_co_ci_u32_e32 v4, vcc_lo, s23, v8, vcc_lo
	global_load_b64 v[3:4], v[3:4], off
	s_waitcnt vmcnt(0)
	v_sub_co_u32 v3, vcc_lo, v3, s28
	v_subrev_co_ci_u32_e32 v4, vcc_lo, 0, v4, vcc_lo
	s_delay_alu instid0(VALU_DEP_1) | instskip(NEXT) | instid1(VALU_DEP_1)
	v_lshlrev_b64 v[3:4], 3, v[3:4]
	v_add_co_u32 v3, vcc_lo, s26, v3
	s_delay_alu instid0(VALU_DEP_2)
	v_add_co_ci_u32_e32 v4, vcc_lo, s27, v4, vcc_lo
	global_load_b128 v[15:18], v[3:4], off
	s_waitcnt vmcnt(0)
	v_sub_co_u32 v3, vcc_lo, v17, s29
	v_subrev_co_ci_u32_e32 v4, vcc_lo, 0, v18, vcc_lo
	v_add_co_u32 v5, vcc_lo, v15, v11
	v_add_co_ci_u32_e32 v6, vcc_lo, v16, v14, vcc_lo
	s_delay_alu instid0(VALU_DEP_1)
	v_cmpx_lt_i64_e64 v[5:6], v[3:4]
	s_cbranch_execz .LBB140_16
; %bb.18:                               ;   in Loop: Header=BB140_17 Depth=1
	v_add_co_u32 v7, vcc_lo, s24, v7
	v_add_co_ci_u32_e32 v8, vcc_lo, s25, v8, vcc_lo
	s_mov_b32 s39, 0
	global_load_b64 v[7:8], v[7:8], off
	s_waitcnt vmcnt(0)
	v_mul_f32_e64 v15, v8, -s3
	s_delay_alu instid0(VALU_DEP_1) | instskip(NEXT) | instid1(VALU_DEP_1)
	v_dual_mul_f32 v16, s42, v8 :: v_dual_fmac_f32 v15, s42, v7
	v_fmac_f32_e32 v16, s3, v7
	s_branch .LBB140_20
.LBB140_19:                             ;   in Loop: Header=BB140_20 Depth=2
	s_or_b32 exec_lo, exec_lo, s40
	v_add_co_u32 v5, vcc_lo, v5, 32
	v_add_co_ci_u32_e32 v6, vcc_lo, 0, v6, vcc_lo
	s_delay_alu instid0(VALU_DEP_1) | instskip(SKIP_1) | instid1(SALU_CYCLE_1)
	v_cmp_ge_i64_e32 vcc_lo, v[5:6], v[3:4]
	s_or_b32 s39, vcc_lo, s39
	s_and_not1_b32 exec_lo, exec_lo, s39
	s_cbranch_execz .LBB140_16
.LBB140_20:                             ;   Parent Loop BB140_17 Depth=1
                                        ; =>  This Loop Header: Depth=2
                                        ;       Child Loop BB140_22 Depth 3
	v_lshlrev_b64 v[7:8], 3, v[5:6]
	s_mov_b32 s40, 0
	s_delay_alu instid0(VALU_DEP_1) | instskip(NEXT) | instid1(VALU_DEP_2)
	v_add_co_u32 v9, vcc_lo, s12, v7
	v_add_co_ci_u32_e32 v10, vcc_lo, s13, v8, vcc_lo
	v_add_co_u32 v7, vcc_lo, s14, v7
	v_add_co_ci_u32_e32 v8, vcc_lo, s15, v8, vcc_lo
	global_load_b64 v[9:10], v[9:10], off
	global_load_b64 v[19:20], v[7:8], off
	s_waitcnt vmcnt(1)
	v_sub_co_u32 v7, vcc_lo, v9, s29
	v_subrev_co_ci_u32_e32 v8, vcc_lo, 0, v10, vcc_lo
	s_waitcnt vmcnt(0)
	v_mul_f32_e64 v17, v20, -v16
	s_delay_alu instid0(VALU_DEP_3) | instskip(SKIP_1) | instid1(VALU_DEP_3)
	v_mul_lo_u32 v9, 0x89, v7
	v_mul_f32_e32 v18, v15, v20
	v_fmac_f32_e32 v17, v15, v19
	s_delay_alu instid0(VALU_DEP_2)
	v_dual_fmac_f32 v18, v16, v19 :: v_dual_and_b32 v19, 0x3ff, v9
	s_branch .LBB140_22
.LBB140_21:                             ;   in Loop: Header=BB140_22 Depth=3
	s_or_b32 exec_lo, exec_lo, s41
	s_xor_b32 s41, s44, -1
	s_delay_alu instid0(SALU_CYCLE_1) | instskip(NEXT) | instid1(SALU_CYCLE_1)
	s_and_b32 s41, exec_lo, s41
	s_or_b32 s40, s41, s40
	s_delay_alu instid0(SALU_CYCLE_1)
	s_and_not1_b32 exec_lo, exec_lo, s40
	s_cbranch_execz .LBB140_19
.LBB140_22:                             ;   Parent Loop BB140_17 Depth=1
                                        ;     Parent Loop BB140_20 Depth=2
                                        ; =>    This Inner Loop Header: Depth=3
	s_delay_alu instid0(VALU_DEP_1)
	v_lshl_add_u32 v20, v19, 3, 0
	s_mov_b32 s41, exec_lo
                                        ; implicit-def: $sgpr44
	ds_load_b64 v[9:10], v20
	s_waitcnt lgkmcnt(0)
	v_cmpx_ne_u64_e64 v[9:10], v[7:8]
	s_xor_b32 s41, exec_lo, s41
	s_cbranch_execz .LBB140_30
; %bb.23:                               ;   in Loop: Header=BB140_22 Depth=3
	s_mov_b32 s45, exec_lo
                                        ; implicit-def: $sgpr44
	v_cmpx_ne_u64_e64 s[16:17], v[9:10]
	s_xor_b32 s45, exec_lo, s45
; %bb.24:                               ;   in Loop: Header=BB140_22 Depth=3
	v_add_nc_u32_e32 v9, 1, v19
	s_mov_b32 s44, -1
                                        ; implicit-def: $vgpr20
	s_delay_alu instid0(VALU_DEP_1)
	v_and_b32_e32 v19, 0x3ff, v9
; %bb.25:                               ;   in Loop: Header=BB140_22 Depth=3
	s_and_not1_saveexec_b32 s45, s45
	s_cbranch_execz .LBB140_29
; %bb.26:                               ;   in Loop: Header=BB140_22 Depth=3
	v_dual_mov_b32 v9, s16 :: v_dual_mov_b32 v10, s17
	s_mov_b32 s46, -1
	s_mov_b32 s47, exec_lo
	ds_cmpstore_rtn_b64 v[9:10], v20, v[7:8], v[9:10]
	s_waitcnt lgkmcnt(0)
	v_cmpx_eq_u64_e64 s[16:17], v[9:10]
	s_cbranch_execz .LBB140_28
; %bb.27:                               ;   in Loop: Header=BB140_22 Depth=3
	ds_add_f32 v20, v17 offset:8192
	ds_add_f32 v20, v18 offset:8196
	s_xor_b32 s46, exec_lo, -1
.LBB140_28:                             ;   in Loop: Header=BB140_22 Depth=3
	s_or_b32 exec_lo, exec_lo, s47
	s_delay_alu instid0(SALU_CYCLE_1) | instskip(SKIP_1) | instid1(SALU_CYCLE_1)
	s_and_not1_b32 s44, s44, exec_lo
	s_and_b32 s46, s46, exec_lo
	s_or_b32 s44, s44, s46
.LBB140_29:                             ;   in Loop: Header=BB140_22 Depth=3
	s_or_b32 exec_lo, exec_lo, s45
	s_delay_alu instid0(SALU_CYCLE_1)
	s_and_b32 s44, s44, exec_lo
                                        ; implicit-def: $vgpr20
.LBB140_30:                             ;   in Loop: Header=BB140_22 Depth=3
	s_and_not1_saveexec_b32 s41, s41
	s_cbranch_execz .LBB140_21
; %bb.31:                               ;   in Loop: Header=BB140_22 Depth=3
	ds_add_f32 v20, v17 offset:8192
	ds_add_f32 v20, v18 offset:8196
	s_and_not1_b32 s44, s44, exec_lo
	s_branch .LBB140_21
.LBB140_32:
	s_or_b32 exec_lo, exec_lo, s20
.LBB140_33:
	s_delay_alu instid0(SALU_CYCLE_1)
	s_and_not1_b32 vcc_lo, exec_lo, s43
	s_cbranch_vccnz .LBB140_50
; %bb.34:
	s_waitcnt lgkmcnt(0)
	s_lshl_b64 s[0:1], s[36:37], 3
	s_mov_b32 s3, 0
	s_add_u32 s0, s18, s0
	s_addc_u32 s1, s19, s1
	s_load_b128 s[12:15], s[0:1], 0x0
	v_sub_co_u32 v1, s0, v0, s31
	s_delay_alu instid0(VALU_DEP_1) | instskip(SKIP_1) | instid1(VALU_DEP_2)
	v_sub_co_ci_u32_e64 v2, null, 0, 0, s0
	s_waitcnt lgkmcnt(0)
	v_add_co_u32 v1, vcc_lo, s12, v1
	s_delay_alu instid0(VALU_DEP_2) | instskip(SKIP_3) | instid1(VALU_DEP_1)
	v_add_co_ci_u32_e32 v2, vcc_lo, s13, v2, vcc_lo
	s_sub_u32 s0, s14, s31
	s_subb_u32 s1, s15, 0
	s_mov_b32 s12, exec_lo
	v_cmpx_gt_i64_e64 s[0:1], v[1:2]
	s_cbranch_execz .LBB140_49
; %bb.35:
	s_mov_b32 s13, s31
	s_branch .LBB140_37
.LBB140_36:                             ;   in Loop: Header=BB140_37 Depth=1
	s_or_b32 exec_lo, exec_lo, s14
	v_add_co_u32 v1, vcc_lo, 0x200, v1
	v_add_co_ci_u32_e32 v2, vcc_lo, 0, v2, vcc_lo
	s_delay_alu instid0(VALU_DEP_1) | instskip(SKIP_1) | instid1(SALU_CYCLE_1)
	v_cmp_le_i64_e32 vcc_lo, s[0:1], v[1:2]
	s_or_b32 s3, vcc_lo, s3
	s_and_not1_b32 exec_lo, exec_lo, s3
	s_cbranch_execz .LBB140_49
.LBB140_37:                             ; =>This Loop Header: Depth=1
                                        ;     Child Loop BB140_39 Depth 2
	v_lshlrev_b64 v[3:4], 3, v[1:2]
	s_mov_b32 s14, 0
	s_delay_alu instid0(VALU_DEP_1) | instskip(NEXT) | instid1(VALU_DEP_2)
	v_add_co_u32 v5, vcc_lo, s4, v3
	v_add_co_ci_u32_e32 v6, vcc_lo, s5, v4, vcc_lo
	v_add_co_u32 v3, vcc_lo, s6, v3
	v_add_co_ci_u32_e32 v4, vcc_lo, s7, v4, vcc_lo
	global_load_b64 v[5:6], v[5:6], off
	global_load_b64 v[9:10], v[3:4], off
	s_waitcnt vmcnt(1)
	v_sub_co_u32 v3, vcc_lo, v5, s13
	v_subrev_co_ci_u32_e32 v4, vcc_lo, 0, v6, vcc_lo
	s_waitcnt vmcnt(0)
	v_mul_f32_e64 v7, v10, -s33
	s_delay_alu instid0(VALU_DEP_3) | instskip(NEXT) | instid1(VALU_DEP_2)
	v_mul_lo_u32 v5, 0x89, v3
	v_dual_mul_f32 v8, s2, v10 :: v_dual_fmac_f32 v7, s2, v9
	s_delay_alu instid0(VALU_DEP_1) | instskip(NEXT) | instid1(VALU_DEP_3)
	v_fmac_f32_e32 v8, s33, v9
	v_and_b32_e32 v9, 0x3ff, v5
	s_branch .LBB140_39
.LBB140_38:                             ;   in Loop: Header=BB140_39 Depth=2
	s_or_b32 exec_lo, exec_lo, s15
	s_xor_b32 s15, s18, -1
	s_delay_alu instid0(SALU_CYCLE_1) | instskip(NEXT) | instid1(SALU_CYCLE_1)
	s_and_b32 s15, exec_lo, s15
	s_or_b32 s14, s15, s14
	s_delay_alu instid0(SALU_CYCLE_1)
	s_and_not1_b32 exec_lo, exec_lo, s14
	s_cbranch_execz .LBB140_36
.LBB140_39:                             ;   Parent Loop BB140_37 Depth=1
                                        ; =>  This Inner Loop Header: Depth=2
	s_delay_alu instid0(VALU_DEP_1)
	v_lshl_add_u32 v10, v9, 3, 0
	s_mov_b32 s15, exec_lo
                                        ; implicit-def: $sgpr18
	ds_load_b64 v[5:6], v10
	s_waitcnt lgkmcnt(0)
	v_cmpx_ne_u64_e64 v[5:6], v[3:4]
	s_xor_b32 s15, exec_lo, s15
	s_cbranch_execz .LBB140_47
; %bb.40:                               ;   in Loop: Header=BB140_39 Depth=2
	s_mov_b32 s19, exec_lo
                                        ; implicit-def: $sgpr18
	v_cmpx_ne_u64_e64 s[16:17], v[5:6]
	s_xor_b32 s19, exec_lo, s19
; %bb.41:                               ;   in Loop: Header=BB140_39 Depth=2
	v_add_nc_u32_e32 v5, 1, v9
	s_mov_b32 s18, -1
                                        ; implicit-def: $vgpr10
	s_delay_alu instid0(VALU_DEP_1)
	v_and_b32_e32 v9, 0x3ff, v5
; %bb.42:                               ;   in Loop: Header=BB140_39 Depth=2
	s_and_not1_saveexec_b32 s19, s19
	s_cbranch_execz .LBB140_46
; %bb.43:                               ;   in Loop: Header=BB140_39 Depth=2
	v_dual_mov_b32 v5, s16 :: v_dual_mov_b32 v6, s17
	s_mov_b32 s20, -1
	s_mov_b32 s21, exec_lo
	ds_cmpstore_rtn_b64 v[5:6], v10, v[3:4], v[5:6]
	s_waitcnt lgkmcnt(0)
	v_cmpx_eq_u64_e64 s[16:17], v[5:6]
	s_cbranch_execz .LBB140_45
; %bb.44:                               ;   in Loop: Header=BB140_39 Depth=2
	ds_add_f32 v10, v7 offset:8192
	ds_add_f32 v10, v8 offset:8196
	s_xor_b32 s20, exec_lo, -1
.LBB140_45:                             ;   in Loop: Header=BB140_39 Depth=2
	s_or_b32 exec_lo, exec_lo, s21
	s_delay_alu instid0(SALU_CYCLE_1) | instskip(SKIP_1) | instid1(SALU_CYCLE_1)
	s_and_not1_b32 s18, s18, exec_lo
	s_and_b32 s20, s20, exec_lo
	s_or_b32 s18, s18, s20
.LBB140_46:                             ;   in Loop: Header=BB140_39 Depth=2
	s_or_b32 exec_lo, exec_lo, s19
	s_delay_alu instid0(SALU_CYCLE_1)
	s_and_b32 s18, s18, exec_lo
                                        ; implicit-def: $vgpr10
.LBB140_47:                             ;   in Loop: Header=BB140_39 Depth=2
	s_and_not1_saveexec_b32 s15, s15
	s_cbranch_execz .LBB140_38
; %bb.48:                               ;   in Loop: Header=BB140_39 Depth=2
	ds_add_f32 v10, v7 offset:8192
	ds_add_f32 v10, v8 offset:8196
	s_and_not1_b32 s18, s18, exec_lo
	s_branch .LBB140_38
.LBB140_49:
	s_or_b32 exec_lo, exec_lo, s12
.LBB140_50:
	v_mbcnt_lo_u32_b32 v1, -1, 0
	v_lshrrev_b32_e32 v2, 3, v0
	v_cmp_eq_u32_e32 vcc_lo, 0x1ff, v0
	v_cmp_lt_u32_e64 s0, 63, v0
	v_cmp_lt_u32_e64 s1, 0x7f, v0
	v_xor_b32_e32 v1, 63, v1
	v_and_b32_e32 v3, 56, v2
	v_cmp_lt_u32_e64 s2, 0xbf, v0
	v_cmp_lt_u32_e64 s3, 0xff, v0
	;; [unrolled: 1-line block ×3, first 2 shown]
	v_lshrrev_b64 v[1:2], v1, -1
	v_add_nc_u32_e32 v14, 0, v3
	v_dual_mov_b32 v2, 0 :: v_dual_mov_b32 v5, 0
	v_cmp_lt_u32_e64 s5, 0x17f, v0
	v_cmp_lt_u32_e64 s6, 0x1bf, v0
	v_mov_b32_e32 v3, 0
	s_mov_b32 s12, 0
	s_waitcnt lgkmcnt(0)
	s_barrier
	buffer_gl0_inv
	s_branch .LBB140_52
.LBB140_51:                             ;   in Loop: Header=BB140_52 Depth=1
	s_or_b32 exec_lo, exec_lo, s7
	s_waitcnt lgkmcnt(0)
	s_barrier
	buffer_gl0_inv
	ds_load_b64 v[6:7], v5 offset:16440
	v_add_co_u32 v13, s7, 0x200, v13
	s_delay_alu instid0(VALU_DEP_1) | instskip(SKIP_3) | instid1(VALU_DEP_1)
	s_xor_b32 s13, s7, -1
	v_add_nc_u32_e32 v12, 0x1000, v12
	s_waitcnt lgkmcnt(0)
	v_add_co_u32 v2, s7, v6, v2
	v_add_co_ci_u32_e64 v3, s7, v7, v3, s7
	s_and_b32 s7, exec_lo, s13
	s_delay_alu instid0(SALU_CYCLE_1) | instskip(NEXT) | instid1(SALU_CYCLE_1)
	s_or_b32 s12, s7, s12
	s_and_not1_b32 exec_lo, exec_lo, s12
	s_cbranch_execz .LBB140_70
.LBB140_52:                             ; =>This Inner Loop Header: Depth=1
	ds_load_b64 v[6:7], v12
	v_add_nc_u32_e32 v4, 0x2000, v12
	ds_load_2addr_b32 v[8:9], v4 offset1:1
	s_waitcnt lgkmcnt(0)
	s_barrier
	buffer_gl0_inv
	v_cmp_gt_i64_e64 s7, s[16:17], v[6:7]
	s_delay_alu instid0(VALU_DEP_1) | instskip(SKIP_1) | instid1(SALU_CYCLE_1)
	v_and_b32_e32 v10, s7, v1
	s_bcnt1_i32_b32 s13, s7
	v_mov_b32_e32 v4, s13
	s_delay_alu instid0(VALU_DEP_2)
	v_bcnt_u32_b32 v10, v10, 0
	ds_store_b64 v14, v[4:5] offset:16384
	s_waitcnt lgkmcnt(0)
	s_barrier
	buffer_gl0_inv
	s_and_saveexec_b32 s13, s0
	s_cbranch_execnz .LBB140_61
; %bb.53:                               ;   in Loop: Header=BB140_52 Depth=1
	s_or_b32 exec_lo, exec_lo, s13
	s_and_saveexec_b32 s13, s1
	s_cbranch_execnz .LBB140_62
.LBB140_54:                             ;   in Loop: Header=BB140_52 Depth=1
	s_or_b32 exec_lo, exec_lo, s13
	s_and_saveexec_b32 s13, s2
	s_cbranch_execnz .LBB140_63
.LBB140_55:                             ;   in Loop: Header=BB140_52 Depth=1
	s_or_b32 exec_lo, exec_lo, s13
	s_and_saveexec_b32 s13, s3
	s_cbranch_execnz .LBB140_64
.LBB140_56:                             ;   in Loop: Header=BB140_52 Depth=1
	s_or_b32 exec_lo, exec_lo, s13
	s_and_saveexec_b32 s13, s4
	s_cbranch_execnz .LBB140_65
.LBB140_57:                             ;   in Loop: Header=BB140_52 Depth=1
	s_or_b32 exec_lo, exec_lo, s13
	s_and_saveexec_b32 s13, s5
	s_cbranch_execnz .LBB140_66
.LBB140_58:                             ;   in Loop: Header=BB140_52 Depth=1
	s_or_b32 exec_lo, exec_lo, s13
	s_and_saveexec_b32 s13, s6
	s_cbranch_execnz .LBB140_67
.LBB140_59:                             ;   in Loop: Header=BB140_52 Depth=1
	s_or_b32 exec_lo, exec_lo, s13
	v_ashrrev_i32_e32 v11, 31, v10
	s_and_saveexec_b32 s13, s7
	s_cbranch_execnz .LBB140_68
.LBB140_60:                             ;   in Loop: Header=BB140_52 Depth=1
	s_or_b32 exec_lo, exec_lo, s13
	s_and_saveexec_b32 s7, vcc_lo
	s_cbranch_execz .LBB140_51
	s_branch .LBB140_69
.LBB140_61:                             ;   in Loop: Header=BB140_52 Depth=1
	ds_load_b32 v4, v5 offset:16384
	s_waitcnt lgkmcnt(0)
	v_add_nc_u32_e32 v10, v4, v10
	s_or_b32 exec_lo, exec_lo, s13
	s_and_saveexec_b32 s13, s1
	s_cbranch_execz .LBB140_54
.LBB140_62:                             ;   in Loop: Header=BB140_52 Depth=1
	ds_load_b32 v4, v5 offset:16392
	s_waitcnt lgkmcnt(0)
	v_add_nc_u32_e32 v10, v10, v4
	s_or_b32 exec_lo, exec_lo, s13
	s_and_saveexec_b32 s13, s2
	s_cbranch_execz .LBB140_55
.LBB140_63:                             ;   in Loop: Header=BB140_52 Depth=1
	ds_load_b32 v4, v5 offset:16400
	s_waitcnt lgkmcnt(0)
	v_add_nc_u32_e32 v10, v10, v4
	s_or_b32 exec_lo, exec_lo, s13
	s_and_saveexec_b32 s13, s3
	s_cbranch_execz .LBB140_56
.LBB140_64:                             ;   in Loop: Header=BB140_52 Depth=1
	ds_load_b32 v4, v5 offset:16408
	s_waitcnt lgkmcnt(0)
	v_add_nc_u32_e32 v10, v10, v4
	s_or_b32 exec_lo, exec_lo, s13
	s_and_saveexec_b32 s13, s4
	s_cbranch_execz .LBB140_57
.LBB140_65:                             ;   in Loop: Header=BB140_52 Depth=1
	ds_load_b32 v4, v5 offset:16416
	s_waitcnt lgkmcnt(0)
	v_add_nc_u32_e32 v10, v10, v4
	s_or_b32 exec_lo, exec_lo, s13
	s_and_saveexec_b32 s13, s5
	s_cbranch_execz .LBB140_58
.LBB140_66:                             ;   in Loop: Header=BB140_52 Depth=1
	ds_load_b32 v4, v5 offset:16424
	s_waitcnt lgkmcnt(0)
	v_add_nc_u32_e32 v10, v10, v4
	s_or_b32 exec_lo, exec_lo, s13
	s_and_saveexec_b32 s13, s6
	s_cbranch_execz .LBB140_59
.LBB140_67:                             ;   in Loop: Header=BB140_52 Depth=1
	ds_load_b32 v4, v5 offset:16432
	s_waitcnt lgkmcnt(0)
	v_add_nc_u32_e32 v10, v10, v4
	s_or_b32 exec_lo, exec_lo, s13
	s_delay_alu instid0(VALU_DEP_1)
	v_ashrrev_i32_e32 v11, 31, v10
	s_and_saveexec_b32 s13, s7
	s_cbranch_execz .LBB140_60
.LBB140_68:                             ;   in Loop: Header=BB140_52 Depth=1
	v_add3_u32 v4, v2, -1, v10
	s_delay_alu instid0(VALU_DEP_1) | instskip(NEXT) | instid1(VALU_DEP_1)
	v_lshl_add_u32 v4, v4, 3, 0
	v_add_nc_u32_e32 v15, 0x2000, v4
	ds_store_b64 v4, v[6:7]
	ds_store_2addr_b32 v15, v8, v9 offset1:1
	s_or_b32 exec_lo, exec_lo, s13
	s_and_saveexec_b32 s7, vcc_lo
	s_cbranch_execz .LBB140_51
.LBB140_69:                             ;   in Loop: Header=BB140_52 Depth=1
	ds_store_b64 v5, v[10:11] offset:16440
	s_branch .LBB140_51
.LBB140_70:
	s_or_b32 exec_lo, exec_lo, s12
	s_lshl_b64 s[0:1], s[36:37], 3
	v_mov_b32_e32 v1, 0
	s_add_u32 s0, s8, s0
	s_addc_u32 s1, s9, s1
	s_mov_b32 s6, exec_lo
	s_load_b128 s[0:3], s[0:1], 0x0
	s_waitcnt lgkmcnt(0)
	s_sub_u32 s4, s2, s0
	s_subb_u32 s5, s3, s1
	s_delay_alu instid0(SALU_CYCLE_1)
	v_cmpx_gt_i64_e64 s[4:5], v[0:1]
	s_cbranch_execz .LBB140_80
; %bb.71:
	s_sub_u32 s8, s0, s30
	s_subb_u32 s9, s1, 0
	s_and_b32 s6, s4, 7
	s_sub_u32 s0, s0, s2
	s_subb_u32 s1, s1, s3
	s_mov_b32 s7, 0
	v_cmp_lt_u64_e64 s14, s[0:1], -7
	s_and_b32 s2, s4, -8
	s_cmp_lg_u64 s[6:7], 0
	s_mov_b32 s3, s5
	s_cselect_b32 s15, -1, 0
	s_mov_b32 s16, s7
	s_branch .LBB140_73
.LBB140_72:                             ;   in Loop: Header=BB140_73 Depth=1
	s_waitcnt lgkmcnt(1)
	v_add_co_u32 v4, vcc_lo, v4, s30
	v_lshlrev_b64 v[6:7], 3, v[6:7]
	v_add_co_ci_u32_e32 v5, vcc_lo, 0, v5, vcc_lo
	v_add_co_u32 v0, vcc_lo, 0x200, v0
	v_add_co_ci_u32_e32 v1, vcc_lo, 0, v1, vcc_lo
	s_delay_alu instid0(VALU_DEP_4) | instskip(SKIP_1) | instid1(VALU_DEP_3)
	v_add_co_u32 v8, vcc_lo, s10, v6
	v_add_co_ci_u32_e32 v9, vcc_lo, s11, v7, vcc_lo
	v_cmp_le_i64_e32 vcc_lo, s[4:5], v[0:1]
	v_add_co_u32 v6, s0, s34, v6
	s_delay_alu instid0(VALU_DEP_1) | instskip(SKIP_4) | instid1(SALU_CYCLE_1)
	v_add_co_ci_u32_e64 v7, s0, s35, v7, s0
	global_store_b64 v[8:9], v[4:5], off
	s_waitcnt lgkmcnt(0)
	global_store_b64 v[6:7], v[2:3], off
	s_or_b32 s16, vcc_lo, s16
	s_and_not1_b32 exec_lo, exec_lo, s16
	s_cbranch_execz .LBB140_80
.LBB140_73:                             ; =>This Loop Header: Depth=1
                                        ;     Child Loop BB140_75 Depth 2
                                        ;     Child Loop BB140_79 Depth 2
	v_lshl_add_u32 v2, v0, 3, 0
	s_and_not1_b32 vcc_lo, exec_lo, s14
	s_mov_b64 s[0:1], 0
	v_dual_mov_b32 v6, s8 :: v_dual_mov_b32 v7, s9
	s_delay_alu instid0(VALU_DEP_2)
	v_add_nc_u32_e32 v3, 0x2000, v2
	ds_load_b64 v[4:5], v2
	ds_load_2addr_b32 v[2:3], v3 offset1:1
	s_cbranch_vccnz .LBB140_77
; %bb.74:                               ;   in Loop: Header=BB140_73 Depth=1
	v_dual_mov_b32 v6, s8 :: v_dual_mov_b32 v7, s9
	s_mov_b64 s[12:13], 0
	s_mov_b32 s1, 0
.LBB140_75:                             ;   Parent Loop BB140_73 Depth=1
                                        ; =>  This Inner Loop Header: Depth=2
	s_delay_alu instid0(SALU_CYCLE_1)
	v_mov_b32_e32 v20, s1
	s_add_u32 s12, s12, 8
	s_addc_u32 s13, s13, 0
	s_add_i32 s1, s1, 64
	s_cmp_eq_u64 s[2:3], s[12:13]
	ds_load_2addr_b64 v[8:11], v20 offset1:1
	ds_load_2addr_b64 v[12:15], v20 offset0:2 offset1:3
	ds_load_2addr_b64 v[16:19], v20 offset0:4 offset1:5
	;; [unrolled: 1-line block ×3, first 2 shown]
	s_waitcnt lgkmcnt(3)
	v_cmp_gt_i64_e32 vcc_lo, v[4:5], v[8:9]
	v_cndmask_b32_e64 v8, 0, 1, vcc_lo
	v_cmp_gt_i64_e32 vcc_lo, v[4:5], v[10:11]
	v_cndmask_b32_e64 v9, 0, 1, vcc_lo
	s_waitcnt lgkmcnt(2)
	v_cmp_gt_i64_e32 vcc_lo, v[4:5], v[12:13]
	v_cndmask_b32_e64 v10, 0, 1, vcc_lo
	v_cmp_gt_i64_e32 vcc_lo, v[4:5], v[14:15]
	v_cndmask_b32_e64 v11, 0, 1, vcc_lo
	s_waitcnt lgkmcnt(1)
	v_cmp_gt_i64_e32 vcc_lo, v[4:5], v[16:17]
	v_cndmask_b32_e64 v12, 0, 1, vcc_lo
	v_add_co_u32 v6, vcc_lo, v6, v8
	v_add_co_ci_u32_e32 v7, vcc_lo, 0, v7, vcc_lo
	v_cmp_gt_i64_e32 vcc_lo, v[4:5], v[18:19]
	s_delay_alu instid0(VALU_DEP_3) | instskip(NEXT) | instid1(VALU_DEP_1)
	v_add_co_u32 v6, s0, v6, v9
	v_add_co_ci_u32_e64 v7, s0, 0, v7, s0
	v_cndmask_b32_e64 v8, 0, 1, vcc_lo
	s_delay_alu instid0(VALU_DEP_3) | instskip(NEXT) | instid1(VALU_DEP_3)
	v_add_co_u32 v6, vcc_lo, v6, v10
	v_add_co_ci_u32_e32 v7, vcc_lo, 0, v7, vcc_lo
	s_waitcnt lgkmcnt(0)
	v_cmp_gt_i64_e32 vcc_lo, v[4:5], v[20:21]
	s_delay_alu instid0(VALU_DEP_3) | instskip(NEXT) | instid1(VALU_DEP_1)
	v_add_co_u32 v6, s0, v6, v11
	v_add_co_ci_u32_e64 v7, s0, 0, v7, s0
	v_cndmask_b32_e64 v9, 0, 1, vcc_lo
	s_delay_alu instid0(VALU_DEP_3) | instskip(NEXT) | instid1(VALU_DEP_3)
	v_add_co_u32 v6, vcc_lo, v6, v12
	v_add_co_ci_u32_e32 v7, vcc_lo, 0, v7, vcc_lo
	v_cmp_gt_i64_e32 vcc_lo, v[4:5], v[22:23]
	s_delay_alu instid0(VALU_DEP_3) | instskip(NEXT) | instid1(VALU_DEP_1)
	v_add_co_u32 v6, s0, v6, v8
	v_add_co_ci_u32_e64 v7, s0, 0, v7, s0
	v_cndmask_b32_e64 v8, 0, 1, vcc_lo
	s_delay_alu instid0(VALU_DEP_3) | instskip(NEXT) | instid1(VALU_DEP_3)
	v_add_co_u32 v6, vcc_lo, v6, v9
	v_add_co_ci_u32_e32 v7, vcc_lo, 0, v7, vcc_lo
	s_delay_alu instid0(VALU_DEP_2) | instskip(NEXT) | instid1(VALU_DEP_2)
	v_add_co_u32 v6, vcc_lo, v6, v8
	v_add_co_ci_u32_e32 v7, vcc_lo, 0, v7, vcc_lo
	s_cbranch_scc0 .LBB140_75
; %bb.76:                               ;   in Loop: Header=BB140_73 Depth=1
	s_mov_b64 s[0:1], s[2:3]
.LBB140_77:                             ;   in Loop: Header=BB140_73 Depth=1
	s_and_not1_b32 vcc_lo, exec_lo, s15
	s_cbranch_vccnz .LBB140_72
; %bb.78:                               ;   in Loop: Header=BB140_73 Depth=1
	s_lshl_b32 s0, s0, 3
	s_delay_alu instid0(SALU_CYCLE_1)
	s_add_i32 s12, s0, 0
	s_mov_b64 s[0:1], s[6:7]
.LBB140_79:                             ;   Parent Loop BB140_73 Depth=1
                                        ; =>  This Inner Loop Header: Depth=2
	v_mov_b32_e32 v8, s12
	s_add_i32 s12, s12, 8
	s_add_u32 s0, s0, -1
	s_addc_u32 s1, s1, -1
	s_delay_alu instid0(SALU_CYCLE_1) | instskip(SKIP_4) | instid1(VALU_DEP_1)
	s_cmp_lg_u64 s[0:1], 0
	ds_load_b64 v[8:9], v8
	s_waitcnt lgkmcnt(0)
	v_cmp_gt_i64_e32 vcc_lo, v[4:5], v[8:9]
	v_cndmask_b32_e64 v8, 0, 1, vcc_lo
	v_add_co_u32 v6, vcc_lo, v6, v8
	v_add_co_ci_u32_e32 v7, vcc_lo, 0, v7, vcc_lo
	s_cbranch_scc1 .LBB140_79
	s_branch .LBB140_72
.LBB140_80:
	s_nop 0
	s_sendmsg sendmsg(MSG_DEALLOC_VGPRS)
	s_endpgm
	.section	.rodata,"a",@progbits
	.p2align	6, 0x0
	.amdhsa_kernel _ZN9rocsparseL26csrgemm_fill_block_per_rowILj512ELj32ELj1024ELj137ELj64Ell21rocsparse_complex_numIfEEEvT5_PKS3_S5_NS_24const_host_device_scalarIT6_EEPKT4_S5_PKS7_SB_S5_SD_S8_SB_S5_SD_SB_PS3_PS7_21rocsparse_index_base_SG_SG_SG_bbb
		.amdhsa_group_segment_fixed_size 0
		.amdhsa_private_segment_fixed_size 0
		.amdhsa_kernarg_size 156
		.amdhsa_user_sgpr_count 15
		.amdhsa_user_sgpr_dispatch_ptr 0
		.amdhsa_user_sgpr_queue_ptr 0
		.amdhsa_user_sgpr_kernarg_segment_ptr 1
		.amdhsa_user_sgpr_dispatch_id 0
		.amdhsa_user_sgpr_private_segment_size 0
		.amdhsa_wavefront_size32 1
		.amdhsa_uses_dynamic_stack 0
		.amdhsa_enable_private_segment 0
		.amdhsa_system_sgpr_workgroup_id_x 1
		.amdhsa_system_sgpr_workgroup_id_y 0
		.amdhsa_system_sgpr_workgroup_id_z 0
		.amdhsa_system_sgpr_workgroup_info 0
		.amdhsa_system_vgpr_workitem_id 0
		.amdhsa_next_free_vgpr 24
		.amdhsa_next_free_sgpr 48
		.amdhsa_reserve_vcc 1
		.amdhsa_float_round_mode_32 0
		.amdhsa_float_round_mode_16_64 0
		.amdhsa_float_denorm_mode_32 3
		.amdhsa_float_denorm_mode_16_64 3
		.amdhsa_dx10_clamp 1
		.amdhsa_ieee_mode 1
		.amdhsa_fp16_overflow 0
		.amdhsa_workgroup_processor_mode 1
		.amdhsa_memory_ordered 1
		.amdhsa_forward_progress 0
		.amdhsa_shared_vgpr_count 0
		.amdhsa_exception_fp_ieee_invalid_op 0
		.amdhsa_exception_fp_denorm_src 0
		.amdhsa_exception_fp_ieee_div_zero 0
		.amdhsa_exception_fp_ieee_overflow 0
		.amdhsa_exception_fp_ieee_underflow 0
		.amdhsa_exception_fp_ieee_inexact 0
		.amdhsa_exception_int_div_zero 0
	.end_amdhsa_kernel
	.section	.text._ZN9rocsparseL26csrgemm_fill_block_per_rowILj512ELj32ELj1024ELj137ELj64Ell21rocsparse_complex_numIfEEEvT5_PKS3_S5_NS_24const_host_device_scalarIT6_EEPKT4_S5_PKS7_SB_S5_SD_S8_SB_S5_SD_SB_PS3_PS7_21rocsparse_index_base_SG_SG_SG_bbb,"axG",@progbits,_ZN9rocsparseL26csrgemm_fill_block_per_rowILj512ELj32ELj1024ELj137ELj64Ell21rocsparse_complex_numIfEEEvT5_PKS3_S5_NS_24const_host_device_scalarIT6_EEPKT4_S5_PKS7_SB_S5_SD_S8_SB_S5_SD_SB_PS3_PS7_21rocsparse_index_base_SG_SG_SG_bbb,comdat
.Lfunc_end140:
	.size	_ZN9rocsparseL26csrgemm_fill_block_per_rowILj512ELj32ELj1024ELj137ELj64Ell21rocsparse_complex_numIfEEEvT5_PKS3_S5_NS_24const_host_device_scalarIT6_EEPKT4_S5_PKS7_SB_S5_SD_S8_SB_S5_SD_SB_PS3_PS7_21rocsparse_index_base_SG_SG_SG_bbb, .Lfunc_end140-_ZN9rocsparseL26csrgemm_fill_block_per_rowILj512ELj32ELj1024ELj137ELj64Ell21rocsparse_complex_numIfEEEvT5_PKS3_S5_NS_24const_host_device_scalarIT6_EEPKT4_S5_PKS7_SB_S5_SD_S8_SB_S5_SD_SB_PS3_PS7_21rocsparse_index_base_SG_SG_SG_bbb
                                        ; -- End function
	.section	.AMDGPU.csdata,"",@progbits
; Kernel info:
; codeLenInByte = 3196
; NumSgprs: 50
; NumVgprs: 24
; ScratchSize: 0
; MemoryBound: 0
; FloatMode: 240
; IeeeMode: 1
; LDSByteSize: 0 bytes/workgroup (compile time only)
; SGPRBlocks: 6
; VGPRBlocks: 2
; NumSGPRsForWavesPerEU: 50
; NumVGPRsForWavesPerEU: 24
; Occupancy: 16
; WaveLimiterHint : 1
; COMPUTE_PGM_RSRC2:SCRATCH_EN: 0
; COMPUTE_PGM_RSRC2:USER_SGPR: 15
; COMPUTE_PGM_RSRC2:TRAP_HANDLER: 0
; COMPUTE_PGM_RSRC2:TGID_X_EN: 1
; COMPUTE_PGM_RSRC2:TGID_Y_EN: 0
; COMPUTE_PGM_RSRC2:TGID_Z_EN: 0
; COMPUTE_PGM_RSRC2:TIDIG_COMP_CNT: 0
	.section	.text._ZN9rocsparseL26csrgemm_fill_block_per_rowILj1024ELj32ELj2048ELj137ELj32Ell21rocsparse_complex_numIfEEEvT5_PKS3_S5_NS_24const_host_device_scalarIT6_EEPKT4_S5_PKS7_SB_S5_SD_S8_SB_S5_SD_SB_PS3_PS7_21rocsparse_index_base_SG_SG_SG_bbb,"axG",@progbits,_ZN9rocsparseL26csrgemm_fill_block_per_rowILj1024ELj32ELj2048ELj137ELj32Ell21rocsparse_complex_numIfEEEvT5_PKS3_S5_NS_24const_host_device_scalarIT6_EEPKT4_S5_PKS7_SB_S5_SD_S8_SB_S5_SD_SB_PS3_PS7_21rocsparse_index_base_SG_SG_SG_bbb,comdat
	.globl	_ZN9rocsparseL26csrgemm_fill_block_per_rowILj1024ELj32ELj2048ELj137ELj32Ell21rocsparse_complex_numIfEEEvT5_PKS3_S5_NS_24const_host_device_scalarIT6_EEPKT4_S5_PKS7_SB_S5_SD_S8_SB_S5_SD_SB_PS3_PS7_21rocsparse_index_base_SG_SG_SG_bbb ; -- Begin function _ZN9rocsparseL26csrgemm_fill_block_per_rowILj1024ELj32ELj2048ELj137ELj32Ell21rocsparse_complex_numIfEEEvT5_PKS3_S5_NS_24const_host_device_scalarIT6_EEPKT4_S5_PKS7_SB_S5_SD_S8_SB_S5_SD_SB_PS3_PS7_21rocsparse_index_base_SG_SG_SG_bbb
	.p2align	8
	.type	_ZN9rocsparseL26csrgemm_fill_block_per_rowILj1024ELj32ELj2048ELj137ELj32Ell21rocsparse_complex_numIfEEEvT5_PKS3_S5_NS_24const_host_device_scalarIT6_EEPKT4_S5_PKS7_SB_S5_SD_S8_SB_S5_SD_SB_PS3_PS7_21rocsparse_index_base_SG_SG_SG_bbb,@function
_ZN9rocsparseL26csrgemm_fill_block_per_rowILj1024ELj32ELj2048ELj137ELj32Ell21rocsparse_complex_numIfEEEvT5_PKS3_S5_NS_24const_host_device_scalarIT6_EEPKT4_S5_PKS7_SB_S5_SD_S8_SB_S5_SD_SB_PS3_PS7_21rocsparse_index_base_SG_SG_SG_bbb: ; @_ZN9rocsparseL26csrgemm_fill_block_per_rowILj1024ELj32ELj2048ELj137ELj32Ell21rocsparse_complex_numIfEEEvT5_PKS3_S5_NS_24const_host_device_scalarIT6_EEPKT4_S5_PKS7_SB_S5_SD_S8_SB_S5_SD_SB_PS3_PS7_21rocsparse_index_base_SG_SG_SG_bbb
; %bb.0:
	s_mov_b32 s24, s15
	s_clause 0x6
	s_load_b32 s25, s[0:1], 0x98
	s_load_b256 s[36:43], s[0:1], 0x60
	s_load_b256 s[4:11], s[0:1], 0x40
	s_load_b128 s[20:23], s[0:1], 0x8
	s_load_b256 s[12:19], s[0:1], 0x20
	s_load_b64 s[34:35], s[0:1], 0x80
	s_load_b128 s[44:47], s[0:1], 0x88
	s_mov_b32 s3, 0
	s_mov_b32 s27, 0
	s_waitcnt lgkmcnt(0)
	s_bitcmp1_b32 s25, 0
	s_cselect_b32 s29, -1, 0
	s_bitcmp1_b32 s25, 16
	s_cselect_b32 s2, -1, 0
	s_delay_alu instid0(SALU_CYCLE_1) | instskip(SKIP_2) | instid1(VALU_DEP_1)
	s_xor_b32 s26, s2, -1
	s_bitcmp0_b32 s25, 0
	v_cndmask_b32_e64 v1, 0, 1, s26
	v_cmp_ne_u32_e32 vcc_lo, 1, v1
	s_cbranch_scc1 .LBB141_5
; %bb.1:
	s_load_b64 s[2:3], s[0:1], 0x18
	s_and_b32 vcc_lo, exec_lo, vcc_lo
	s_waitcnt lgkmcnt(0)
	s_mov_b32 s27, s2
	s_cbranch_vccnz .LBB141_3
; %bb.2:
	s_load_b32 s27, s[2:3], 0x0
.LBB141_3:
	s_and_not1_b32 vcc_lo, exec_lo, s26
	s_cbranch_vccnz .LBB141_5
; %bb.4:
	s_load_b32 s3, s[2:3], 0x4
.LBB141_5:
	s_bitcmp1_b32 s25, 8
	s_mov_b32 s26, 0
	s_cselect_b32 s28, -1, 0
	s_bfe_u32 s2, s25, 0x10008
	s_delay_alu instid0(SALU_CYCLE_1)
	s_cmp_eq_u32 s2, 0
	s_mov_b32 s2, 0
	s_cbranch_scc1 .LBB141_11
; %bb.6:
	v_cmp_ne_u32_e32 vcc_lo, 1, v1
	s_mov_b32 s2, s8
	s_cbranch_vccnz .LBB141_8
; %bb.7:
	s_load_b32 s2, s[8:9], 0x0
.LBB141_8:
	v_cmp_ne_u32_e32 vcc_lo, 1, v1
	s_cbranch_vccnz .LBB141_10
; %bb.9:
	s_load_b32 s9, s[8:9], 0x4
.LBB141_10:
	s_waitcnt lgkmcnt(0)
	s_mov_b32 s26, s9
.LBB141_11:
	s_load_b64 s[48:49], s[0:1], 0x0
	v_lshl_add_u32 v12, v0, 3, 0
	v_or_b32_e32 v13, 0xfffffc00, v0
	v_mov_b32_e32 v3, 0
	s_mov_b32 s0, 0
	s_delay_alu instid0(VALU_DEP_2)
	v_dual_mov_b32 v4, v12 :: v_dual_mov_b32 v5, v13
	s_waitcnt lgkmcnt(0)
	v_dual_mov_b32 v1, s48 :: v_dual_mov_b32 v2, s49
.LBB141_12:                             ; =>This Inner Loop Header: Depth=1
	s_delay_alu instid0(VALU_DEP_2) | instskip(NEXT) | instid1(VALU_DEP_1)
	v_add_co_u32 v5, s1, 0x400, v5
	s_xor_b32 s1, s1, -1
	v_add_nc_u32_e32 v6, 0x4000, v4
	ds_store_b64 v4, v[1:2]
	v_add_nc_u32_e32 v4, 0x2000, v4
	s_and_b32 s1, exec_lo, s1
	ds_store_2addr_b32 v6, v3, v3 offset1:1
	s_or_b32 s0, s1, s0
	s_delay_alu instid0(SALU_CYCLE_1)
	s_and_not1_b32 exec_lo, exec_lo, s0
	s_cbranch_execnz .LBB141_12
; %bb.13:
	s_or_b32 exec_lo, exec_lo, s0
	s_waitcnt lgkmcnt(0)
	s_barrier
	buffer_gl0_inv
	s_load_b64 s[0:1], s[20:21], 0x0
	s_mov_b32 s25, 0
	v_lshrrev_b32_e32 v11, 5, v0
	s_waitcnt lgkmcnt(0)
	s_lshl_b64 s[0:1], s[0:1], 3
	s_delay_alu instid0(SALU_CYCLE_1) | instskip(SKIP_2) | instid1(SALU_CYCLE_1)
	s_add_u32 s8, s22, s0
	s_addc_u32 s9, s23, s1
	s_lshl_b64 s[0:1], s[24:25], 3
	s_add_u32 s0, s8, s0
	s_addc_u32 s1, s9, s1
	s_and_b32 vcc_lo, exec_lo, s29
	s_load_b64 s[50:51], s[0:1], 0x0
	s_cbranch_vccz .LBB141_33
; %bb.14:
	s_waitcnt lgkmcnt(0)
	s_lshl_b64 s[0:1], s[50:51], 3
	s_mov_b32 s8, exec_lo
	s_add_u32 s0, s12, s0
	s_addc_u32 s1, s13, s1
	s_load_b128 s[20:23], s[0:1], 0x0
	v_sub_co_u32 v1, s0, v11, s44
	s_delay_alu instid0(VALU_DEP_1) | instskip(SKIP_1) | instid1(VALU_DEP_2)
	v_sub_co_ci_u32_e64 v2, null, 0, 0, s0
	s_waitcnt lgkmcnt(0)
	v_add_co_u32 v1, vcc_lo, s20, v1
	s_delay_alu instid0(VALU_DEP_2)
	v_add_co_ci_u32_e32 v2, vcc_lo, s21, v2, vcc_lo
	s_sub_u32 s0, s22, s44
	s_subb_u32 s1, s23, 0
	s_delay_alu instid0(VALU_DEP_1) | instid1(SALU_CYCLE_1)
	v_cmpx_gt_i64_e64 s[0:1], v[1:2]
	s_cbranch_execz .LBB141_32
; %bb.15:
	v_and_b32_e32 v3, 31, v0
	s_mov_b32 s12, s45
	s_delay_alu instid0(VALU_DEP_1) | instskip(NEXT) | instid1(VALU_DEP_1)
	v_sub_co_u32 v14, s9, v3, s45
	v_sub_co_ci_u32_e64 v15, null, 0, 0, s9
	s_mov_b32 s9, 0
	s_branch .LBB141_17
.LBB141_16:                             ;   in Loop: Header=BB141_17 Depth=1
	s_or_b32 exec_lo, exec_lo, s13
	v_add_co_u32 v1, vcc_lo, v1, 32
	v_add_co_ci_u32_e32 v2, vcc_lo, 0, v2, vcc_lo
	s_delay_alu instid0(VALU_DEP_1) | instskip(SKIP_1) | instid1(SALU_CYCLE_1)
	v_cmp_le_i64_e32 vcc_lo, s[0:1], v[1:2]
	s_or_b32 s9, vcc_lo, s9
	s_and_not1_b32 exec_lo, exec_lo, s9
	s_cbranch_execz .LBB141_32
.LBB141_17:                             ; =>This Loop Header: Depth=1
                                        ;     Child Loop BB141_20 Depth 2
                                        ;       Child Loop BB141_22 Depth 3
	v_lshlrev_b64 v[7:8], 3, v[1:2]
	s_mov_b32 s13, exec_lo
	s_delay_alu instid0(VALU_DEP_1) | instskip(NEXT) | instid1(VALU_DEP_2)
	v_add_co_u32 v3, vcc_lo, s14, v7
	v_add_co_ci_u32_e32 v4, vcc_lo, s15, v8, vcc_lo
	global_load_b64 v[3:4], v[3:4], off
	s_waitcnt vmcnt(0)
	v_sub_co_u32 v3, vcc_lo, v3, s44
	v_subrev_co_ci_u32_e32 v4, vcc_lo, 0, v4, vcc_lo
	s_delay_alu instid0(VALU_DEP_1) | instskip(NEXT) | instid1(VALU_DEP_1)
	v_lshlrev_b64 v[3:4], 3, v[3:4]
	v_add_co_u32 v3, vcc_lo, s18, v3
	s_delay_alu instid0(VALU_DEP_2)
	v_add_co_ci_u32_e32 v4, vcc_lo, s19, v4, vcc_lo
	global_load_b128 v[16:19], v[3:4], off
	s_waitcnt vmcnt(0)
	v_sub_co_u32 v3, vcc_lo, v18, s12
	v_subrev_co_ci_u32_e32 v4, vcc_lo, 0, v19, vcc_lo
	v_add_co_u32 v5, vcc_lo, v16, v14
	v_add_co_ci_u32_e32 v6, vcc_lo, v17, v15, vcc_lo
	s_delay_alu instid0(VALU_DEP_1)
	v_cmpx_lt_i64_e64 v[5:6], v[3:4]
	s_cbranch_execz .LBB141_16
; %bb.18:                               ;   in Loop: Header=BB141_17 Depth=1
	v_add_co_u32 v7, vcc_lo, s16, v7
	v_add_co_ci_u32_e32 v8, vcc_lo, s17, v8, vcc_lo
	s_mov_b32 s20, 0
	global_load_b64 v[7:8], v[7:8], off
	s_waitcnt vmcnt(0)
	v_mul_f32_e64 v16, v8, -s3
	s_delay_alu instid0(VALU_DEP_1) | instskip(NEXT) | instid1(VALU_DEP_1)
	v_dual_mul_f32 v17, s27, v8 :: v_dual_fmac_f32 v16, s27, v7
	v_fmac_f32_e32 v17, s3, v7
	s_branch .LBB141_20
.LBB141_19:                             ;   in Loop: Header=BB141_20 Depth=2
	s_or_b32 exec_lo, exec_lo, s21
	v_add_co_u32 v5, vcc_lo, v5, 32
	v_add_co_ci_u32_e32 v6, vcc_lo, 0, v6, vcc_lo
	s_delay_alu instid0(VALU_DEP_1) | instskip(SKIP_1) | instid1(SALU_CYCLE_1)
	v_cmp_ge_i64_e32 vcc_lo, v[5:6], v[3:4]
	s_or_b32 s20, vcc_lo, s20
	s_and_not1_b32 exec_lo, exec_lo, s20
	s_cbranch_execz .LBB141_16
.LBB141_20:                             ;   Parent Loop BB141_17 Depth=1
                                        ; =>  This Loop Header: Depth=2
                                        ;       Child Loop BB141_22 Depth 3
	v_lshlrev_b64 v[7:8], 3, v[5:6]
	s_mov_b32 s21, 0
	s_delay_alu instid0(VALU_DEP_1) | instskip(NEXT) | instid1(VALU_DEP_2)
	v_add_co_u32 v9, vcc_lo, s4, v7
	v_add_co_ci_u32_e32 v10, vcc_lo, s5, v8, vcc_lo
	v_add_co_u32 v7, vcc_lo, s6, v7
	v_add_co_ci_u32_e32 v8, vcc_lo, s7, v8, vcc_lo
	global_load_b64 v[9:10], v[9:10], off
	global_load_b64 v[20:21], v[7:8], off
	s_waitcnt vmcnt(1)
	v_sub_co_u32 v7, vcc_lo, v9, s12
	v_subrev_co_ci_u32_e32 v8, vcc_lo, 0, v10, vcc_lo
	s_waitcnt vmcnt(0)
	v_mul_f32_e64 v18, v21, -v17
	s_delay_alu instid0(VALU_DEP_3) | instskip(SKIP_1) | instid1(VALU_DEP_3)
	v_mul_lo_u32 v9, 0x89, v7
	v_mul_f32_e32 v19, v16, v21
	v_fmac_f32_e32 v18, v16, v20
	s_delay_alu instid0(VALU_DEP_2)
	v_dual_fmac_f32 v19, v17, v20 :: v_dual_and_b32 v20, 0x7ff, v9
	s_branch .LBB141_22
.LBB141_21:                             ;   in Loop: Header=BB141_22 Depth=3
	s_or_b32 exec_lo, exec_lo, s22
	s_xor_b32 s22, s23, -1
	s_delay_alu instid0(SALU_CYCLE_1) | instskip(NEXT) | instid1(SALU_CYCLE_1)
	s_and_b32 s22, exec_lo, s22
	s_or_b32 s21, s22, s21
	s_delay_alu instid0(SALU_CYCLE_1)
	s_and_not1_b32 exec_lo, exec_lo, s21
	s_cbranch_execz .LBB141_19
.LBB141_22:                             ;   Parent Loop BB141_17 Depth=1
                                        ;     Parent Loop BB141_20 Depth=2
                                        ; =>    This Inner Loop Header: Depth=3
	s_delay_alu instid0(VALU_DEP_1)
	v_lshl_add_u32 v21, v20, 3, 0
	s_mov_b32 s22, exec_lo
                                        ; implicit-def: $sgpr23
	ds_load_b64 v[9:10], v21
	s_waitcnt lgkmcnt(0)
	v_cmpx_ne_u64_e64 v[9:10], v[7:8]
	s_xor_b32 s22, exec_lo, s22
	s_cbranch_execz .LBB141_30
; %bb.23:                               ;   in Loop: Header=BB141_22 Depth=3
	s_mov_b32 s24, exec_lo
                                        ; implicit-def: $sgpr23
	v_cmpx_ne_u64_e64 s[48:49], v[9:10]
	s_xor_b32 s24, exec_lo, s24
; %bb.24:                               ;   in Loop: Header=BB141_22 Depth=3
	v_add_nc_u32_e32 v9, 1, v20
	s_mov_b32 s23, -1
                                        ; implicit-def: $vgpr21
	s_delay_alu instid0(VALU_DEP_1)
	v_and_b32_e32 v20, 0x7ff, v9
; %bb.25:                               ;   in Loop: Header=BB141_22 Depth=3
	s_and_not1_saveexec_b32 s24, s24
	s_cbranch_execz .LBB141_29
; %bb.26:                               ;   in Loop: Header=BB141_22 Depth=3
	v_dual_mov_b32 v9, s48 :: v_dual_mov_b32 v10, s49
	s_mov_b32 s25, -1
	s_mov_b32 s29, exec_lo
	ds_cmpstore_rtn_b64 v[9:10], v21, v[7:8], v[9:10]
	s_waitcnt lgkmcnt(0)
	v_cmpx_eq_u64_e64 s[48:49], v[9:10]
	s_cbranch_execz .LBB141_28
; %bb.27:                               ;   in Loop: Header=BB141_22 Depth=3
	ds_add_f32 v21, v18 offset:16384
	ds_add_f32 v21, v19 offset:16388
	s_xor_b32 s25, exec_lo, -1
.LBB141_28:                             ;   in Loop: Header=BB141_22 Depth=3
	s_or_b32 exec_lo, exec_lo, s29
	s_delay_alu instid0(SALU_CYCLE_1) | instskip(SKIP_1) | instid1(SALU_CYCLE_1)
	s_and_not1_b32 s23, s23, exec_lo
	s_and_b32 s25, s25, exec_lo
	s_or_b32 s23, s23, s25
.LBB141_29:                             ;   in Loop: Header=BB141_22 Depth=3
	s_or_b32 exec_lo, exec_lo, s24
	s_delay_alu instid0(SALU_CYCLE_1)
	s_and_b32 s23, s23, exec_lo
                                        ; implicit-def: $vgpr21
.LBB141_30:                             ;   in Loop: Header=BB141_22 Depth=3
	s_and_not1_saveexec_b32 s22, s22
	s_cbranch_execz .LBB141_21
; %bb.31:                               ;   in Loop: Header=BB141_22 Depth=3
	ds_add_f32 v21, v18 offset:16384
	ds_add_f32 v21, v19 offset:16388
	s_and_not1_b32 s23, s23, exec_lo
	s_branch .LBB141_21
.LBB141_32:
	s_or_b32 exec_lo, exec_lo, s8
.LBB141_33:
	s_delay_alu instid0(SALU_CYCLE_1)
	s_and_not1_b32 vcc_lo, exec_lo, s28
	s_cbranch_vccnz .LBB141_50
; %bb.34:
	s_waitcnt lgkmcnt(0)
	s_lshl_b64 s[0:1], s[50:51], 3
	s_mov_b32 s3, 0
	s_add_u32 s0, s10, s0
	s_addc_u32 s1, s11, s1
	s_load_b128 s[4:7], s[0:1], 0x0
	v_sub_co_u32 v1, s0, v0, s47
	s_delay_alu instid0(VALU_DEP_1) | instskip(SKIP_1) | instid1(VALU_DEP_2)
	v_sub_co_ci_u32_e64 v2, null, 0, 0, s0
	s_waitcnt lgkmcnt(0)
	v_add_co_u32 v1, vcc_lo, s4, v1
	s_delay_alu instid0(VALU_DEP_2) | instskip(SKIP_3) | instid1(VALU_DEP_1)
	v_add_co_ci_u32_e32 v2, vcc_lo, s5, v2, vcc_lo
	s_sub_u32 s0, s6, s47
	s_subb_u32 s1, s7, 0
	s_mov_b32 s4, exec_lo
	v_cmpx_gt_i64_e64 s[0:1], v[1:2]
	s_cbranch_execz .LBB141_49
; %bb.35:
	s_mov_b32 s5, s47
	s_branch .LBB141_37
.LBB141_36:                             ;   in Loop: Header=BB141_37 Depth=1
	s_or_b32 exec_lo, exec_lo, s6
	v_add_co_u32 v1, vcc_lo, 0x400, v1
	v_add_co_ci_u32_e32 v2, vcc_lo, 0, v2, vcc_lo
	s_delay_alu instid0(VALU_DEP_1) | instskip(SKIP_1) | instid1(SALU_CYCLE_1)
	v_cmp_le_i64_e32 vcc_lo, s[0:1], v[1:2]
	s_or_b32 s3, vcc_lo, s3
	s_and_not1_b32 exec_lo, exec_lo, s3
	s_cbranch_execz .LBB141_49
.LBB141_37:                             ; =>This Loop Header: Depth=1
                                        ;     Child Loop BB141_39 Depth 2
	v_lshlrev_b64 v[3:4], 3, v[1:2]
	s_mov_b32 s6, 0
	s_delay_alu instid0(VALU_DEP_1) | instskip(NEXT) | instid1(VALU_DEP_2)
	v_add_co_u32 v5, vcc_lo, s36, v3
	v_add_co_ci_u32_e32 v6, vcc_lo, s37, v4, vcc_lo
	v_add_co_u32 v3, vcc_lo, s38, v3
	v_add_co_ci_u32_e32 v4, vcc_lo, s39, v4, vcc_lo
	global_load_b64 v[5:6], v[5:6], off
	global_load_b64 v[9:10], v[3:4], off
	s_waitcnt vmcnt(1)
	v_sub_co_u32 v3, vcc_lo, v5, s5
	v_subrev_co_ci_u32_e32 v4, vcc_lo, 0, v6, vcc_lo
	s_waitcnt vmcnt(0)
	v_mul_f32_e64 v7, v10, -s26
	s_delay_alu instid0(VALU_DEP_3) | instskip(NEXT) | instid1(VALU_DEP_2)
	v_mul_lo_u32 v5, 0x89, v3
	v_dual_mul_f32 v8, s2, v10 :: v_dual_fmac_f32 v7, s2, v9
	s_delay_alu instid0(VALU_DEP_1) | instskip(NEXT) | instid1(VALU_DEP_3)
	v_fmac_f32_e32 v8, s26, v9
	v_and_b32_e32 v9, 0x7ff, v5
	s_branch .LBB141_39
.LBB141_38:                             ;   in Loop: Header=BB141_39 Depth=2
	s_or_b32 exec_lo, exec_lo, s7
	s_xor_b32 s7, s8, -1
	s_delay_alu instid0(SALU_CYCLE_1) | instskip(NEXT) | instid1(SALU_CYCLE_1)
	s_and_b32 s7, exec_lo, s7
	s_or_b32 s6, s7, s6
	s_delay_alu instid0(SALU_CYCLE_1)
	s_and_not1_b32 exec_lo, exec_lo, s6
	s_cbranch_execz .LBB141_36
.LBB141_39:                             ;   Parent Loop BB141_37 Depth=1
                                        ; =>  This Inner Loop Header: Depth=2
	s_delay_alu instid0(VALU_DEP_1)
	v_lshl_add_u32 v10, v9, 3, 0
	s_mov_b32 s7, exec_lo
                                        ; implicit-def: $sgpr8
	ds_load_b64 v[5:6], v10
	s_waitcnt lgkmcnt(0)
	v_cmpx_ne_u64_e64 v[5:6], v[3:4]
	s_xor_b32 s7, exec_lo, s7
	s_cbranch_execz .LBB141_47
; %bb.40:                               ;   in Loop: Header=BB141_39 Depth=2
	s_mov_b32 s9, exec_lo
                                        ; implicit-def: $sgpr8
	v_cmpx_ne_u64_e64 s[48:49], v[5:6]
	s_xor_b32 s9, exec_lo, s9
; %bb.41:                               ;   in Loop: Header=BB141_39 Depth=2
	v_add_nc_u32_e32 v5, 1, v9
	s_mov_b32 s8, -1
                                        ; implicit-def: $vgpr10
	s_delay_alu instid0(VALU_DEP_1)
	v_and_b32_e32 v9, 0x7ff, v5
; %bb.42:                               ;   in Loop: Header=BB141_39 Depth=2
	s_and_not1_saveexec_b32 s9, s9
	s_cbranch_execz .LBB141_46
; %bb.43:                               ;   in Loop: Header=BB141_39 Depth=2
	v_dual_mov_b32 v5, s48 :: v_dual_mov_b32 v6, s49
	s_mov_b32 s10, -1
	s_mov_b32 s11, exec_lo
	ds_cmpstore_rtn_b64 v[5:6], v10, v[3:4], v[5:6]
	s_waitcnt lgkmcnt(0)
	v_cmpx_eq_u64_e64 s[48:49], v[5:6]
	s_cbranch_execz .LBB141_45
; %bb.44:                               ;   in Loop: Header=BB141_39 Depth=2
	ds_add_f32 v10, v7 offset:16384
	ds_add_f32 v10, v8 offset:16388
	s_xor_b32 s10, exec_lo, -1
.LBB141_45:                             ;   in Loop: Header=BB141_39 Depth=2
	s_or_b32 exec_lo, exec_lo, s11
	s_delay_alu instid0(SALU_CYCLE_1) | instskip(SKIP_1) | instid1(SALU_CYCLE_1)
	s_and_not1_b32 s8, s8, exec_lo
	s_and_b32 s10, s10, exec_lo
	s_or_b32 s8, s8, s10
.LBB141_46:                             ;   in Loop: Header=BB141_39 Depth=2
	s_or_b32 exec_lo, exec_lo, s9
	s_delay_alu instid0(SALU_CYCLE_1)
	s_and_b32 s8, s8, exec_lo
                                        ; implicit-def: $vgpr10
.LBB141_47:                             ;   in Loop: Header=BB141_39 Depth=2
	s_and_not1_saveexec_b32 s7, s7
	s_cbranch_execz .LBB141_38
; %bb.48:                               ;   in Loop: Header=BB141_39 Depth=2
	ds_add_f32 v10, v7 offset:16384
	ds_add_f32 v10, v8 offset:16388
	s_and_not1_b32 s8, s8, exec_lo
	s_branch .LBB141_38
.LBB141_49:
	s_or_b32 exec_lo, exec_lo, s4
.LBB141_50:
	v_mbcnt_lo_u32_b32 v1, -1, 0
	v_lshl_add_u32 v14, v11, 3, 0
	v_cmp_eq_u32_e32 vcc_lo, 0x3ff, v0
	v_cmp_lt_u32_e64 s0, 31, v0
	v_cmp_lt_u32_e64 s1, 63, v0
	v_xor_b32_e32 v1, 63, v1
	v_cmp_lt_u32_e64 s2, 0x5f, v0
	v_cmp_lt_u32_e64 s3, 0x7f, v0
	;; [unrolled: 1-line block ×4, first 2 shown]
	v_lshrrev_b64 v[1:2], v1, -1
	v_dual_mov_b32 v2, 0 :: v_dual_mov_b32 v5, 0
	v_cmp_lt_u32_e64 s6, 0xdf, v0
	v_cmp_lt_u32_e64 s7, 0xff, v0
	v_cmp_lt_u32_e64 s8, 0x11f, v0
	v_cmp_lt_u32_e64 s9, 0x13f, v0
	v_cmp_lt_u32_e64 s10, 0x15f, v0
	v_cmp_lt_u32_e64 s11, 0x17f, v0
	v_cmp_lt_u32_e64 s12, 0x19f, v0
	v_cmp_lt_u32_e64 s13, 0x1bf, v0
	v_cmp_lt_u32_e64 s14, 0x1df, v0
	v_cmp_lt_u32_e64 s15, 0x1ff, v0
	v_cmp_lt_u32_e64 s16, 0x21f, v0
	v_cmp_lt_u32_e64 s17, 0x23f, v0
	v_cmp_lt_u32_e64 s18, 0x25f, v0
	v_cmp_lt_u32_e64 s19, 0x27f, v0
	v_cmp_lt_u32_e64 s20, 0x29f, v0
	v_cmp_lt_u32_e64 s21, 0x2bf, v0
	v_cmp_lt_u32_e64 s22, 0x2df, v0
	v_cmp_lt_u32_e64 s23, 0x2ff, v0
	v_cmp_lt_u32_e64 s24, 0x31f, v0
	v_cmp_lt_u32_e64 s25, 0x33f, v0
	v_cmp_lt_u32_e64 s26, 0x35f, v0
	v_cmp_lt_u32_e64 s27, 0x37f, v0
	v_cmp_lt_u32_e64 s28, 0x39f, v0
	v_cmp_lt_u32_e64 s29, 0x3bf, v0
	v_cmp_lt_u32_e64 s30, 0x3df, v0
	v_mov_b32_e32 v3, 0
	s_mov_b32 s33, 0
	s_waitcnt lgkmcnt(0)
	s_barrier
	buffer_gl0_inv
	s_branch .LBB141_52
.LBB141_51:                             ;   in Loop: Header=BB141_52 Depth=1
	s_or_b32 exec_lo, exec_lo, s31
	s_waitcnt lgkmcnt(0)
	s_barrier
	buffer_gl0_inv
	ds_load_b64 v[6:7], v5 offset:33016
	v_add_co_u32 v13, s31, 0x400, v13
	s_delay_alu instid0(VALU_DEP_1) | instskip(SKIP_3) | instid1(VALU_DEP_1)
	s_xor_b32 s36, s31, -1
	v_add_nc_u32_e32 v12, 0x2000, v12
	s_waitcnt lgkmcnt(0)
	v_add_co_u32 v2, s31, v6, v2
	v_add_co_ci_u32_e64 v3, s31, v7, v3, s31
	s_and_b32 s31, exec_lo, s36
	s_delay_alu instid0(SALU_CYCLE_1) | instskip(NEXT) | instid1(SALU_CYCLE_1)
	s_or_b32 s33, s31, s33
	s_and_not1_b32 exec_lo, exec_lo, s33
	s_cbranch_execz .LBB141_118
.LBB141_52:                             ; =>This Inner Loop Header: Depth=1
	ds_load_b64 v[6:7], v12
	v_add_nc_u32_e32 v4, 0x4000, v12
	ds_load_2addr_b32 v[8:9], v4 offset1:1
	s_waitcnt lgkmcnt(0)
	s_barrier
	buffer_gl0_inv
	v_cmp_gt_i64_e64 s31, s[48:49], v[6:7]
	s_delay_alu instid0(VALU_DEP_1) | instskip(SKIP_1) | instid1(SALU_CYCLE_1)
	v_and_b32_e32 v10, s31, v1
	s_bcnt1_i32_b32 s36, s31
	v_mov_b32_e32 v4, s36
	s_delay_alu instid0(VALU_DEP_2)
	v_bcnt_u32_b32 v10, v10, 0
	ds_store_b64 v14, v[4:5] offset:32768
	s_waitcnt lgkmcnt(0)
	s_barrier
	buffer_gl0_inv
	s_and_saveexec_b32 s36, s0
	s_cbranch_execnz .LBB141_85
; %bb.53:                               ;   in Loop: Header=BB141_52 Depth=1
	s_or_b32 exec_lo, exec_lo, s36
	s_and_saveexec_b32 s36, s1
	s_cbranch_execnz .LBB141_86
.LBB141_54:                             ;   in Loop: Header=BB141_52 Depth=1
	s_or_b32 exec_lo, exec_lo, s36
	s_and_saveexec_b32 s36, s2
	s_cbranch_execnz .LBB141_87
.LBB141_55:                             ;   in Loop: Header=BB141_52 Depth=1
	s_or_b32 exec_lo, exec_lo, s36
	s_and_saveexec_b32 s36, s3
	s_cbranch_execnz .LBB141_88
.LBB141_56:                             ;   in Loop: Header=BB141_52 Depth=1
	s_or_b32 exec_lo, exec_lo, s36
	s_and_saveexec_b32 s36, s4
	s_cbranch_execnz .LBB141_89
.LBB141_57:                             ;   in Loop: Header=BB141_52 Depth=1
	s_or_b32 exec_lo, exec_lo, s36
	s_and_saveexec_b32 s36, s5
	s_cbranch_execnz .LBB141_90
.LBB141_58:                             ;   in Loop: Header=BB141_52 Depth=1
	s_or_b32 exec_lo, exec_lo, s36
	s_and_saveexec_b32 s36, s6
	s_cbranch_execnz .LBB141_91
.LBB141_59:                             ;   in Loop: Header=BB141_52 Depth=1
	s_or_b32 exec_lo, exec_lo, s36
	s_and_saveexec_b32 s36, s7
	s_cbranch_execnz .LBB141_92
.LBB141_60:                             ;   in Loop: Header=BB141_52 Depth=1
	s_or_b32 exec_lo, exec_lo, s36
	s_and_saveexec_b32 s36, s8
	s_cbranch_execnz .LBB141_93
.LBB141_61:                             ;   in Loop: Header=BB141_52 Depth=1
	s_or_b32 exec_lo, exec_lo, s36
	s_and_saveexec_b32 s36, s9
	s_cbranch_execnz .LBB141_94
.LBB141_62:                             ;   in Loop: Header=BB141_52 Depth=1
	s_or_b32 exec_lo, exec_lo, s36
	s_and_saveexec_b32 s36, s10
	s_cbranch_execnz .LBB141_95
.LBB141_63:                             ;   in Loop: Header=BB141_52 Depth=1
	s_or_b32 exec_lo, exec_lo, s36
	s_and_saveexec_b32 s36, s11
	s_cbranch_execnz .LBB141_96
.LBB141_64:                             ;   in Loop: Header=BB141_52 Depth=1
	s_or_b32 exec_lo, exec_lo, s36
	s_and_saveexec_b32 s36, s12
	s_cbranch_execnz .LBB141_97
.LBB141_65:                             ;   in Loop: Header=BB141_52 Depth=1
	s_or_b32 exec_lo, exec_lo, s36
	s_and_saveexec_b32 s36, s13
	s_cbranch_execnz .LBB141_98
.LBB141_66:                             ;   in Loop: Header=BB141_52 Depth=1
	s_or_b32 exec_lo, exec_lo, s36
	s_and_saveexec_b32 s36, s14
	s_cbranch_execnz .LBB141_99
.LBB141_67:                             ;   in Loop: Header=BB141_52 Depth=1
	s_or_b32 exec_lo, exec_lo, s36
	s_and_saveexec_b32 s36, s15
	s_cbranch_execnz .LBB141_100
.LBB141_68:                             ;   in Loop: Header=BB141_52 Depth=1
	s_or_b32 exec_lo, exec_lo, s36
	s_and_saveexec_b32 s36, s16
	s_cbranch_execnz .LBB141_101
.LBB141_69:                             ;   in Loop: Header=BB141_52 Depth=1
	s_or_b32 exec_lo, exec_lo, s36
	s_and_saveexec_b32 s36, s17
	s_cbranch_execnz .LBB141_102
.LBB141_70:                             ;   in Loop: Header=BB141_52 Depth=1
	s_or_b32 exec_lo, exec_lo, s36
	s_and_saveexec_b32 s36, s18
	s_cbranch_execnz .LBB141_103
.LBB141_71:                             ;   in Loop: Header=BB141_52 Depth=1
	s_or_b32 exec_lo, exec_lo, s36
	s_and_saveexec_b32 s36, s19
	s_cbranch_execnz .LBB141_104
.LBB141_72:                             ;   in Loop: Header=BB141_52 Depth=1
	s_or_b32 exec_lo, exec_lo, s36
	s_and_saveexec_b32 s36, s20
	s_cbranch_execnz .LBB141_105
.LBB141_73:                             ;   in Loop: Header=BB141_52 Depth=1
	s_or_b32 exec_lo, exec_lo, s36
	s_and_saveexec_b32 s36, s21
	s_cbranch_execnz .LBB141_106
.LBB141_74:                             ;   in Loop: Header=BB141_52 Depth=1
	s_or_b32 exec_lo, exec_lo, s36
	s_and_saveexec_b32 s36, s22
	s_cbranch_execnz .LBB141_107
.LBB141_75:                             ;   in Loop: Header=BB141_52 Depth=1
	s_or_b32 exec_lo, exec_lo, s36
	s_and_saveexec_b32 s36, s23
	s_cbranch_execnz .LBB141_108
.LBB141_76:                             ;   in Loop: Header=BB141_52 Depth=1
	s_or_b32 exec_lo, exec_lo, s36
	s_and_saveexec_b32 s36, s24
	s_cbranch_execnz .LBB141_109
.LBB141_77:                             ;   in Loop: Header=BB141_52 Depth=1
	s_or_b32 exec_lo, exec_lo, s36
	s_and_saveexec_b32 s36, s25
	s_cbranch_execnz .LBB141_110
.LBB141_78:                             ;   in Loop: Header=BB141_52 Depth=1
	s_or_b32 exec_lo, exec_lo, s36
	s_and_saveexec_b32 s36, s26
	s_cbranch_execnz .LBB141_111
.LBB141_79:                             ;   in Loop: Header=BB141_52 Depth=1
	s_or_b32 exec_lo, exec_lo, s36
	s_and_saveexec_b32 s36, s27
	s_cbranch_execnz .LBB141_112
.LBB141_80:                             ;   in Loop: Header=BB141_52 Depth=1
	s_or_b32 exec_lo, exec_lo, s36
	s_and_saveexec_b32 s36, s28
	s_cbranch_execnz .LBB141_113
.LBB141_81:                             ;   in Loop: Header=BB141_52 Depth=1
	s_or_b32 exec_lo, exec_lo, s36
	s_and_saveexec_b32 s36, s29
	s_cbranch_execnz .LBB141_114
.LBB141_82:                             ;   in Loop: Header=BB141_52 Depth=1
	s_or_b32 exec_lo, exec_lo, s36
	s_and_saveexec_b32 s36, s30
	s_cbranch_execnz .LBB141_115
.LBB141_83:                             ;   in Loop: Header=BB141_52 Depth=1
	s_or_b32 exec_lo, exec_lo, s36
	v_ashrrev_i32_e32 v11, 31, v10
	s_and_saveexec_b32 s36, s31
	s_cbranch_execnz .LBB141_116
.LBB141_84:                             ;   in Loop: Header=BB141_52 Depth=1
	s_or_b32 exec_lo, exec_lo, s36
	s_and_saveexec_b32 s31, vcc_lo
	s_cbranch_execz .LBB141_51
	s_branch .LBB141_117
.LBB141_85:                             ;   in Loop: Header=BB141_52 Depth=1
	ds_load_b32 v4, v5 offset:32768
	s_waitcnt lgkmcnt(0)
	v_add_nc_u32_e32 v10, v4, v10
	s_or_b32 exec_lo, exec_lo, s36
	s_and_saveexec_b32 s36, s1
	s_cbranch_execz .LBB141_54
.LBB141_86:                             ;   in Loop: Header=BB141_52 Depth=1
	ds_load_b32 v4, v5 offset:32776
	s_waitcnt lgkmcnt(0)
	v_add_nc_u32_e32 v10, v10, v4
	s_or_b32 exec_lo, exec_lo, s36
	s_and_saveexec_b32 s36, s2
	s_cbranch_execz .LBB141_55
.LBB141_87:                             ;   in Loop: Header=BB141_52 Depth=1
	ds_load_b32 v4, v5 offset:32784
	s_waitcnt lgkmcnt(0)
	v_add_nc_u32_e32 v10, v10, v4
	s_or_b32 exec_lo, exec_lo, s36
	s_and_saveexec_b32 s36, s3
	s_cbranch_execz .LBB141_56
.LBB141_88:                             ;   in Loop: Header=BB141_52 Depth=1
	ds_load_b32 v4, v5 offset:32792
	s_waitcnt lgkmcnt(0)
	v_add_nc_u32_e32 v10, v10, v4
	s_or_b32 exec_lo, exec_lo, s36
	s_and_saveexec_b32 s36, s4
	s_cbranch_execz .LBB141_57
.LBB141_89:                             ;   in Loop: Header=BB141_52 Depth=1
	ds_load_b32 v4, v5 offset:32800
	s_waitcnt lgkmcnt(0)
	v_add_nc_u32_e32 v10, v10, v4
	s_or_b32 exec_lo, exec_lo, s36
	s_and_saveexec_b32 s36, s5
	s_cbranch_execz .LBB141_58
.LBB141_90:                             ;   in Loop: Header=BB141_52 Depth=1
	ds_load_b32 v4, v5 offset:32808
	s_waitcnt lgkmcnt(0)
	v_add_nc_u32_e32 v10, v10, v4
	s_or_b32 exec_lo, exec_lo, s36
	s_and_saveexec_b32 s36, s6
	s_cbranch_execz .LBB141_59
.LBB141_91:                             ;   in Loop: Header=BB141_52 Depth=1
	ds_load_b32 v4, v5 offset:32816
	s_waitcnt lgkmcnt(0)
	v_add_nc_u32_e32 v10, v10, v4
	s_or_b32 exec_lo, exec_lo, s36
	s_and_saveexec_b32 s36, s7
	s_cbranch_execz .LBB141_60
.LBB141_92:                             ;   in Loop: Header=BB141_52 Depth=1
	ds_load_b32 v4, v5 offset:32824
	s_waitcnt lgkmcnt(0)
	v_add_nc_u32_e32 v10, v10, v4
	s_or_b32 exec_lo, exec_lo, s36
	s_and_saveexec_b32 s36, s8
	s_cbranch_execz .LBB141_61
.LBB141_93:                             ;   in Loop: Header=BB141_52 Depth=1
	ds_load_b32 v4, v5 offset:32832
	s_waitcnt lgkmcnt(0)
	v_add_nc_u32_e32 v10, v10, v4
	s_or_b32 exec_lo, exec_lo, s36
	s_and_saveexec_b32 s36, s9
	s_cbranch_execz .LBB141_62
.LBB141_94:                             ;   in Loop: Header=BB141_52 Depth=1
	ds_load_b32 v4, v5 offset:32840
	s_waitcnt lgkmcnt(0)
	v_add_nc_u32_e32 v10, v10, v4
	s_or_b32 exec_lo, exec_lo, s36
	s_and_saveexec_b32 s36, s10
	s_cbranch_execz .LBB141_63
.LBB141_95:                             ;   in Loop: Header=BB141_52 Depth=1
	ds_load_b32 v4, v5 offset:32848
	s_waitcnt lgkmcnt(0)
	v_add_nc_u32_e32 v10, v10, v4
	s_or_b32 exec_lo, exec_lo, s36
	s_and_saveexec_b32 s36, s11
	s_cbranch_execz .LBB141_64
.LBB141_96:                             ;   in Loop: Header=BB141_52 Depth=1
	ds_load_b32 v4, v5 offset:32856
	s_waitcnt lgkmcnt(0)
	v_add_nc_u32_e32 v10, v10, v4
	s_or_b32 exec_lo, exec_lo, s36
	s_and_saveexec_b32 s36, s12
	s_cbranch_execz .LBB141_65
.LBB141_97:                             ;   in Loop: Header=BB141_52 Depth=1
	ds_load_b32 v4, v5 offset:32864
	s_waitcnt lgkmcnt(0)
	v_add_nc_u32_e32 v10, v10, v4
	s_or_b32 exec_lo, exec_lo, s36
	s_and_saveexec_b32 s36, s13
	s_cbranch_execz .LBB141_66
.LBB141_98:                             ;   in Loop: Header=BB141_52 Depth=1
	ds_load_b32 v4, v5 offset:32872
	s_waitcnt lgkmcnt(0)
	v_add_nc_u32_e32 v10, v10, v4
	s_or_b32 exec_lo, exec_lo, s36
	s_and_saveexec_b32 s36, s14
	s_cbranch_execz .LBB141_67
.LBB141_99:                             ;   in Loop: Header=BB141_52 Depth=1
	ds_load_b32 v4, v5 offset:32880
	s_waitcnt lgkmcnt(0)
	v_add_nc_u32_e32 v10, v10, v4
	s_or_b32 exec_lo, exec_lo, s36
	s_and_saveexec_b32 s36, s15
	s_cbranch_execz .LBB141_68
.LBB141_100:                            ;   in Loop: Header=BB141_52 Depth=1
	ds_load_b32 v4, v5 offset:32888
	s_waitcnt lgkmcnt(0)
	v_add_nc_u32_e32 v10, v10, v4
	s_or_b32 exec_lo, exec_lo, s36
	s_and_saveexec_b32 s36, s16
	s_cbranch_execz .LBB141_69
.LBB141_101:                            ;   in Loop: Header=BB141_52 Depth=1
	ds_load_b32 v4, v5 offset:32896
	s_waitcnt lgkmcnt(0)
	v_add_nc_u32_e32 v10, v10, v4
	s_or_b32 exec_lo, exec_lo, s36
	s_and_saveexec_b32 s36, s17
	s_cbranch_execz .LBB141_70
.LBB141_102:                            ;   in Loop: Header=BB141_52 Depth=1
	ds_load_b32 v4, v5 offset:32904
	s_waitcnt lgkmcnt(0)
	v_add_nc_u32_e32 v10, v10, v4
	s_or_b32 exec_lo, exec_lo, s36
	s_and_saveexec_b32 s36, s18
	s_cbranch_execz .LBB141_71
.LBB141_103:                            ;   in Loop: Header=BB141_52 Depth=1
	ds_load_b32 v4, v5 offset:32912
	s_waitcnt lgkmcnt(0)
	v_add_nc_u32_e32 v10, v10, v4
	s_or_b32 exec_lo, exec_lo, s36
	s_and_saveexec_b32 s36, s19
	s_cbranch_execz .LBB141_72
.LBB141_104:                            ;   in Loop: Header=BB141_52 Depth=1
	ds_load_b32 v4, v5 offset:32920
	s_waitcnt lgkmcnt(0)
	v_add_nc_u32_e32 v10, v10, v4
	s_or_b32 exec_lo, exec_lo, s36
	s_and_saveexec_b32 s36, s20
	s_cbranch_execz .LBB141_73
.LBB141_105:                            ;   in Loop: Header=BB141_52 Depth=1
	ds_load_b32 v4, v5 offset:32928
	s_waitcnt lgkmcnt(0)
	v_add_nc_u32_e32 v10, v10, v4
	s_or_b32 exec_lo, exec_lo, s36
	s_and_saveexec_b32 s36, s21
	s_cbranch_execz .LBB141_74
.LBB141_106:                            ;   in Loop: Header=BB141_52 Depth=1
	ds_load_b32 v4, v5 offset:32936
	s_waitcnt lgkmcnt(0)
	v_add_nc_u32_e32 v10, v10, v4
	s_or_b32 exec_lo, exec_lo, s36
	s_and_saveexec_b32 s36, s22
	s_cbranch_execz .LBB141_75
.LBB141_107:                            ;   in Loop: Header=BB141_52 Depth=1
	ds_load_b32 v4, v5 offset:32944
	s_waitcnt lgkmcnt(0)
	v_add_nc_u32_e32 v10, v10, v4
	s_or_b32 exec_lo, exec_lo, s36
	s_and_saveexec_b32 s36, s23
	s_cbranch_execz .LBB141_76
.LBB141_108:                            ;   in Loop: Header=BB141_52 Depth=1
	ds_load_b32 v4, v5 offset:32952
	s_waitcnt lgkmcnt(0)
	v_add_nc_u32_e32 v10, v10, v4
	s_or_b32 exec_lo, exec_lo, s36
	s_and_saveexec_b32 s36, s24
	s_cbranch_execz .LBB141_77
.LBB141_109:                            ;   in Loop: Header=BB141_52 Depth=1
	ds_load_b32 v4, v5 offset:32960
	s_waitcnt lgkmcnt(0)
	v_add_nc_u32_e32 v10, v10, v4
	s_or_b32 exec_lo, exec_lo, s36
	s_and_saveexec_b32 s36, s25
	s_cbranch_execz .LBB141_78
.LBB141_110:                            ;   in Loop: Header=BB141_52 Depth=1
	ds_load_b32 v4, v5 offset:32968
	s_waitcnt lgkmcnt(0)
	v_add_nc_u32_e32 v10, v10, v4
	s_or_b32 exec_lo, exec_lo, s36
	s_and_saveexec_b32 s36, s26
	s_cbranch_execz .LBB141_79
.LBB141_111:                            ;   in Loop: Header=BB141_52 Depth=1
	ds_load_b32 v4, v5 offset:32976
	s_waitcnt lgkmcnt(0)
	v_add_nc_u32_e32 v10, v10, v4
	s_or_b32 exec_lo, exec_lo, s36
	s_and_saveexec_b32 s36, s27
	s_cbranch_execz .LBB141_80
.LBB141_112:                            ;   in Loop: Header=BB141_52 Depth=1
	ds_load_b32 v4, v5 offset:32984
	s_waitcnt lgkmcnt(0)
	v_add_nc_u32_e32 v10, v10, v4
	s_or_b32 exec_lo, exec_lo, s36
	s_and_saveexec_b32 s36, s28
	s_cbranch_execz .LBB141_81
.LBB141_113:                            ;   in Loop: Header=BB141_52 Depth=1
	ds_load_b32 v4, v5 offset:32992
	s_waitcnt lgkmcnt(0)
	v_add_nc_u32_e32 v10, v10, v4
	s_or_b32 exec_lo, exec_lo, s36
	s_and_saveexec_b32 s36, s29
	s_cbranch_execz .LBB141_82
.LBB141_114:                            ;   in Loop: Header=BB141_52 Depth=1
	ds_load_b32 v4, v5 offset:33000
	s_waitcnt lgkmcnt(0)
	v_add_nc_u32_e32 v10, v10, v4
	s_or_b32 exec_lo, exec_lo, s36
	s_and_saveexec_b32 s36, s30
	s_cbranch_execz .LBB141_83
.LBB141_115:                            ;   in Loop: Header=BB141_52 Depth=1
	ds_load_b32 v4, v5 offset:33008
	s_waitcnt lgkmcnt(0)
	v_add_nc_u32_e32 v10, v10, v4
	s_or_b32 exec_lo, exec_lo, s36
	s_delay_alu instid0(VALU_DEP_1)
	v_ashrrev_i32_e32 v11, 31, v10
	s_and_saveexec_b32 s36, s31
	s_cbranch_execz .LBB141_84
.LBB141_116:                            ;   in Loop: Header=BB141_52 Depth=1
	v_add3_u32 v4, v2, -1, v10
	s_delay_alu instid0(VALU_DEP_1) | instskip(NEXT) | instid1(VALU_DEP_1)
	v_lshl_add_u32 v4, v4, 3, 0
	v_add_nc_u32_e32 v15, 0x4000, v4
	ds_store_b64 v4, v[6:7]
	ds_store_2addr_b32 v15, v8, v9 offset1:1
	s_or_b32 exec_lo, exec_lo, s36
	s_and_saveexec_b32 s31, vcc_lo
	s_cbranch_execz .LBB141_51
.LBB141_117:                            ;   in Loop: Header=BB141_52 Depth=1
	ds_store_b64 v5, v[10:11] offset:33016
	s_branch .LBB141_51
.LBB141_118:
	s_or_b32 exec_lo, exec_lo, s33
	s_lshl_b64 s[0:1], s[50:51], 3
	v_mov_b32_e32 v1, 0
	s_add_u32 s0, s40, s0
	s_addc_u32 s1, s41, s1
	s_mov_b32 s6, exec_lo
	s_load_b128 s[0:3], s[0:1], 0x0
	s_waitcnt lgkmcnt(0)
	s_sub_u32 s4, s2, s0
	s_subb_u32 s5, s3, s1
	s_delay_alu instid0(SALU_CYCLE_1)
	v_cmpx_gt_i64_e64 s[4:5], v[0:1]
	s_cbranch_execz .LBB141_128
; %bb.119:
	s_sub_u32 s8, s0, s46
	s_subb_u32 s9, s1, 0
	s_and_b32 s6, s4, 7
	s_sub_u32 s0, s0, s2
	s_subb_u32 s1, s1, s3
	s_mov_b32 s7, 0
	v_cmp_lt_u64_e64 s12, s[0:1], -7
	s_and_b32 s2, s4, -8
	s_cmp_lg_u64 s[6:7], 0
	s_mov_b32 s3, s5
	s_cselect_b32 s13, -1, 0
	s_mov_b32 s14, s7
	s_branch .LBB141_121
.LBB141_120:                            ;   in Loop: Header=BB141_121 Depth=1
	s_waitcnt lgkmcnt(1)
	v_add_co_u32 v4, vcc_lo, v4, s46
	v_lshlrev_b64 v[6:7], 3, v[6:7]
	v_add_co_ci_u32_e32 v5, vcc_lo, 0, v5, vcc_lo
	v_add_co_u32 v0, vcc_lo, 0x400, v0
	v_add_co_ci_u32_e32 v1, vcc_lo, 0, v1, vcc_lo
	s_delay_alu instid0(VALU_DEP_4) | instskip(SKIP_1) | instid1(VALU_DEP_3)
	v_add_co_u32 v8, vcc_lo, s42, v6
	v_add_co_ci_u32_e32 v9, vcc_lo, s43, v7, vcc_lo
	v_cmp_le_i64_e32 vcc_lo, s[4:5], v[0:1]
	v_add_co_u32 v6, s0, s34, v6
	s_delay_alu instid0(VALU_DEP_1) | instskip(SKIP_4) | instid1(SALU_CYCLE_1)
	v_add_co_ci_u32_e64 v7, s0, s35, v7, s0
	global_store_b64 v[8:9], v[4:5], off
	s_waitcnt lgkmcnt(0)
	global_store_b64 v[6:7], v[2:3], off
	s_or_b32 s14, vcc_lo, s14
	s_and_not1_b32 exec_lo, exec_lo, s14
	s_cbranch_execz .LBB141_128
.LBB141_121:                            ; =>This Loop Header: Depth=1
                                        ;     Child Loop BB141_123 Depth 2
                                        ;     Child Loop BB141_127 Depth 2
	v_lshl_add_u32 v2, v0, 3, 0
	s_and_not1_b32 vcc_lo, exec_lo, s12
	s_mov_b64 s[0:1], 0
	v_dual_mov_b32 v6, s8 :: v_dual_mov_b32 v7, s9
	s_delay_alu instid0(VALU_DEP_2)
	v_add_nc_u32_e32 v3, 0x4000, v2
	ds_load_b64 v[4:5], v2
	ds_load_2addr_b32 v[2:3], v3 offset1:1
	s_cbranch_vccnz .LBB141_125
; %bb.122:                              ;   in Loop: Header=BB141_121 Depth=1
	v_dual_mov_b32 v6, s8 :: v_dual_mov_b32 v7, s9
	s_mov_b64 s[10:11], 0
	s_mov_b32 s1, 0
.LBB141_123:                            ;   Parent Loop BB141_121 Depth=1
                                        ; =>  This Inner Loop Header: Depth=2
	s_delay_alu instid0(SALU_CYCLE_1)
	v_mov_b32_e32 v20, s1
	s_add_u32 s10, s10, 8
	s_addc_u32 s11, s11, 0
	s_add_i32 s1, s1, 64
	s_cmp_eq_u64 s[2:3], s[10:11]
	ds_load_2addr_b64 v[8:11], v20 offset1:1
	ds_load_2addr_b64 v[12:15], v20 offset0:2 offset1:3
	ds_load_2addr_b64 v[16:19], v20 offset0:4 offset1:5
	;; [unrolled: 1-line block ×3, first 2 shown]
	s_waitcnt lgkmcnt(3)
	v_cmp_gt_i64_e32 vcc_lo, v[4:5], v[8:9]
	v_cndmask_b32_e64 v8, 0, 1, vcc_lo
	v_cmp_gt_i64_e32 vcc_lo, v[4:5], v[10:11]
	v_cndmask_b32_e64 v9, 0, 1, vcc_lo
	s_waitcnt lgkmcnt(2)
	v_cmp_gt_i64_e32 vcc_lo, v[4:5], v[12:13]
	v_cndmask_b32_e64 v10, 0, 1, vcc_lo
	v_cmp_gt_i64_e32 vcc_lo, v[4:5], v[14:15]
	v_cndmask_b32_e64 v11, 0, 1, vcc_lo
	s_waitcnt lgkmcnt(1)
	v_cmp_gt_i64_e32 vcc_lo, v[4:5], v[16:17]
	v_cndmask_b32_e64 v12, 0, 1, vcc_lo
	v_add_co_u32 v6, vcc_lo, v6, v8
	v_add_co_ci_u32_e32 v7, vcc_lo, 0, v7, vcc_lo
	v_cmp_gt_i64_e32 vcc_lo, v[4:5], v[18:19]
	s_delay_alu instid0(VALU_DEP_3) | instskip(NEXT) | instid1(VALU_DEP_1)
	v_add_co_u32 v6, s0, v6, v9
	v_add_co_ci_u32_e64 v7, s0, 0, v7, s0
	v_cndmask_b32_e64 v8, 0, 1, vcc_lo
	s_delay_alu instid0(VALU_DEP_3) | instskip(NEXT) | instid1(VALU_DEP_3)
	v_add_co_u32 v6, vcc_lo, v6, v10
	v_add_co_ci_u32_e32 v7, vcc_lo, 0, v7, vcc_lo
	s_waitcnt lgkmcnt(0)
	v_cmp_gt_i64_e32 vcc_lo, v[4:5], v[20:21]
	s_delay_alu instid0(VALU_DEP_3) | instskip(NEXT) | instid1(VALU_DEP_1)
	v_add_co_u32 v6, s0, v6, v11
	v_add_co_ci_u32_e64 v7, s0, 0, v7, s0
	v_cndmask_b32_e64 v9, 0, 1, vcc_lo
	s_delay_alu instid0(VALU_DEP_3) | instskip(NEXT) | instid1(VALU_DEP_3)
	v_add_co_u32 v6, vcc_lo, v6, v12
	v_add_co_ci_u32_e32 v7, vcc_lo, 0, v7, vcc_lo
	v_cmp_gt_i64_e32 vcc_lo, v[4:5], v[22:23]
	s_delay_alu instid0(VALU_DEP_3) | instskip(NEXT) | instid1(VALU_DEP_1)
	v_add_co_u32 v6, s0, v6, v8
	v_add_co_ci_u32_e64 v7, s0, 0, v7, s0
	v_cndmask_b32_e64 v8, 0, 1, vcc_lo
	s_delay_alu instid0(VALU_DEP_3) | instskip(NEXT) | instid1(VALU_DEP_3)
	v_add_co_u32 v6, vcc_lo, v6, v9
	v_add_co_ci_u32_e32 v7, vcc_lo, 0, v7, vcc_lo
	s_delay_alu instid0(VALU_DEP_2) | instskip(NEXT) | instid1(VALU_DEP_2)
	v_add_co_u32 v6, vcc_lo, v6, v8
	v_add_co_ci_u32_e32 v7, vcc_lo, 0, v7, vcc_lo
	s_cbranch_scc0 .LBB141_123
; %bb.124:                              ;   in Loop: Header=BB141_121 Depth=1
	s_mov_b64 s[0:1], s[2:3]
.LBB141_125:                            ;   in Loop: Header=BB141_121 Depth=1
	s_and_not1_b32 vcc_lo, exec_lo, s13
	s_cbranch_vccnz .LBB141_120
; %bb.126:                              ;   in Loop: Header=BB141_121 Depth=1
	s_lshl_b32 s0, s0, 3
	s_delay_alu instid0(SALU_CYCLE_1)
	s_add_i32 s10, s0, 0
	s_mov_b64 s[0:1], s[6:7]
.LBB141_127:                            ;   Parent Loop BB141_121 Depth=1
                                        ; =>  This Inner Loop Header: Depth=2
	v_mov_b32_e32 v8, s10
	s_add_i32 s10, s10, 8
	s_add_u32 s0, s0, -1
	s_addc_u32 s1, s1, -1
	s_delay_alu instid0(SALU_CYCLE_1) | instskip(SKIP_4) | instid1(VALU_DEP_1)
	s_cmp_lg_u64 s[0:1], 0
	ds_load_b64 v[8:9], v8
	s_waitcnt lgkmcnt(0)
	v_cmp_gt_i64_e32 vcc_lo, v[4:5], v[8:9]
	v_cndmask_b32_e64 v8, 0, 1, vcc_lo
	v_add_co_u32 v6, vcc_lo, v6, v8
	v_add_co_ci_u32_e32 v7, vcc_lo, 0, v7, vcc_lo
	s_cbranch_scc1 .LBB141_127
	s_branch .LBB141_120
.LBB141_128:
	s_nop 0
	s_sendmsg sendmsg(MSG_DEALLOC_VGPRS)
	s_endpgm
	.section	.rodata,"a",@progbits
	.p2align	6, 0x0
	.amdhsa_kernel _ZN9rocsparseL26csrgemm_fill_block_per_rowILj1024ELj32ELj2048ELj137ELj32Ell21rocsparse_complex_numIfEEEvT5_PKS3_S5_NS_24const_host_device_scalarIT6_EEPKT4_S5_PKS7_SB_S5_SD_S8_SB_S5_SD_SB_PS3_PS7_21rocsparse_index_base_SG_SG_SG_bbb
		.amdhsa_group_segment_fixed_size 0
		.amdhsa_private_segment_fixed_size 0
		.amdhsa_kernarg_size 156
		.amdhsa_user_sgpr_count 15
		.amdhsa_user_sgpr_dispatch_ptr 0
		.amdhsa_user_sgpr_queue_ptr 0
		.amdhsa_user_sgpr_kernarg_segment_ptr 1
		.amdhsa_user_sgpr_dispatch_id 0
		.amdhsa_user_sgpr_private_segment_size 0
		.amdhsa_wavefront_size32 1
		.amdhsa_uses_dynamic_stack 0
		.amdhsa_enable_private_segment 0
		.amdhsa_system_sgpr_workgroup_id_x 1
		.amdhsa_system_sgpr_workgroup_id_y 0
		.amdhsa_system_sgpr_workgroup_id_z 0
		.amdhsa_system_sgpr_workgroup_info 0
		.amdhsa_system_vgpr_workitem_id 0
		.amdhsa_next_free_vgpr 24
		.amdhsa_next_free_sgpr 52
		.amdhsa_reserve_vcc 1
		.amdhsa_float_round_mode_32 0
		.amdhsa_float_round_mode_16_64 0
		.amdhsa_float_denorm_mode_32 3
		.amdhsa_float_denorm_mode_16_64 3
		.amdhsa_dx10_clamp 1
		.amdhsa_ieee_mode 1
		.amdhsa_fp16_overflow 0
		.amdhsa_workgroup_processor_mode 1
		.amdhsa_memory_ordered 1
		.amdhsa_forward_progress 0
		.amdhsa_shared_vgpr_count 0
		.amdhsa_exception_fp_ieee_invalid_op 0
		.amdhsa_exception_fp_denorm_src 0
		.amdhsa_exception_fp_ieee_div_zero 0
		.amdhsa_exception_fp_ieee_overflow 0
		.amdhsa_exception_fp_ieee_underflow 0
		.amdhsa_exception_fp_ieee_inexact 0
		.amdhsa_exception_int_div_zero 0
	.end_amdhsa_kernel
	.section	.text._ZN9rocsparseL26csrgemm_fill_block_per_rowILj1024ELj32ELj2048ELj137ELj32Ell21rocsparse_complex_numIfEEEvT5_PKS3_S5_NS_24const_host_device_scalarIT6_EEPKT4_S5_PKS7_SB_S5_SD_S8_SB_S5_SD_SB_PS3_PS7_21rocsparse_index_base_SG_SG_SG_bbb,"axG",@progbits,_ZN9rocsparseL26csrgemm_fill_block_per_rowILj1024ELj32ELj2048ELj137ELj32Ell21rocsparse_complex_numIfEEEvT5_PKS3_S5_NS_24const_host_device_scalarIT6_EEPKT4_S5_PKS7_SB_S5_SD_S8_SB_S5_SD_SB_PS3_PS7_21rocsparse_index_base_SG_SG_SG_bbb,comdat
.Lfunc_end141:
	.size	_ZN9rocsparseL26csrgemm_fill_block_per_rowILj1024ELj32ELj2048ELj137ELj32Ell21rocsparse_complex_numIfEEEvT5_PKS3_S5_NS_24const_host_device_scalarIT6_EEPKT4_S5_PKS7_SB_S5_SD_S8_SB_S5_SD_SB_PS3_PS7_21rocsparse_index_base_SG_SG_SG_bbb, .Lfunc_end141-_ZN9rocsparseL26csrgemm_fill_block_per_rowILj1024ELj32ELj2048ELj137ELj32Ell21rocsparse_complex_numIfEEEvT5_PKS3_S5_NS_24const_host_device_scalarIT6_EEPKT4_S5_PKS7_SB_S5_SD_S8_SB_S5_SD_SB_PS3_PS7_21rocsparse_index_base_SG_SG_SG_bbb
                                        ; -- End function
	.section	.AMDGPU.csdata,"",@progbits
; Kernel info:
; codeLenInByte = 4444
; NumSgprs: 54
; NumVgprs: 24
; ScratchSize: 0
; MemoryBound: 0
; FloatMode: 240
; IeeeMode: 1
; LDSByteSize: 0 bytes/workgroup (compile time only)
; SGPRBlocks: 6
; VGPRBlocks: 2
; NumSGPRsForWavesPerEU: 54
; NumVGPRsForWavesPerEU: 24
; Occupancy: 16
; WaveLimiterHint : 1
; COMPUTE_PGM_RSRC2:SCRATCH_EN: 0
; COMPUTE_PGM_RSRC2:USER_SGPR: 15
; COMPUTE_PGM_RSRC2:TRAP_HANDLER: 0
; COMPUTE_PGM_RSRC2:TGID_X_EN: 1
; COMPUTE_PGM_RSRC2:TGID_Y_EN: 0
; COMPUTE_PGM_RSRC2:TGID_Z_EN: 0
; COMPUTE_PGM_RSRC2:TIDIG_COMP_CNT: 0
	.section	.text._ZN9rocsparseL26csrgemm_fill_block_per_rowILj1024ELj32ELj2048ELj137ELj64Ell21rocsparse_complex_numIfEEEvT5_PKS3_S5_NS_24const_host_device_scalarIT6_EEPKT4_S5_PKS7_SB_S5_SD_S8_SB_S5_SD_SB_PS3_PS7_21rocsparse_index_base_SG_SG_SG_bbb,"axG",@progbits,_ZN9rocsparseL26csrgemm_fill_block_per_rowILj1024ELj32ELj2048ELj137ELj64Ell21rocsparse_complex_numIfEEEvT5_PKS3_S5_NS_24const_host_device_scalarIT6_EEPKT4_S5_PKS7_SB_S5_SD_S8_SB_S5_SD_SB_PS3_PS7_21rocsparse_index_base_SG_SG_SG_bbb,comdat
	.globl	_ZN9rocsparseL26csrgemm_fill_block_per_rowILj1024ELj32ELj2048ELj137ELj64Ell21rocsparse_complex_numIfEEEvT5_PKS3_S5_NS_24const_host_device_scalarIT6_EEPKT4_S5_PKS7_SB_S5_SD_S8_SB_S5_SD_SB_PS3_PS7_21rocsparse_index_base_SG_SG_SG_bbb ; -- Begin function _ZN9rocsparseL26csrgemm_fill_block_per_rowILj1024ELj32ELj2048ELj137ELj64Ell21rocsparse_complex_numIfEEEvT5_PKS3_S5_NS_24const_host_device_scalarIT6_EEPKT4_S5_PKS7_SB_S5_SD_S8_SB_S5_SD_SB_PS3_PS7_21rocsparse_index_base_SG_SG_SG_bbb
	.p2align	8
	.type	_ZN9rocsparseL26csrgemm_fill_block_per_rowILj1024ELj32ELj2048ELj137ELj64Ell21rocsparse_complex_numIfEEEvT5_PKS3_S5_NS_24const_host_device_scalarIT6_EEPKT4_S5_PKS7_SB_S5_SD_S8_SB_S5_SD_SB_PS3_PS7_21rocsparse_index_base_SG_SG_SG_bbb,@function
_ZN9rocsparseL26csrgemm_fill_block_per_rowILj1024ELj32ELj2048ELj137ELj64Ell21rocsparse_complex_numIfEEEvT5_PKS3_S5_NS_24const_host_device_scalarIT6_EEPKT4_S5_PKS7_SB_S5_SD_S8_SB_S5_SD_SB_PS3_PS7_21rocsparse_index_base_SG_SG_SG_bbb: ; @_ZN9rocsparseL26csrgemm_fill_block_per_rowILj1024ELj32ELj2048ELj137ELj64Ell21rocsparse_complex_numIfEEEvT5_PKS3_S5_NS_24const_host_device_scalarIT6_EEPKT4_S5_PKS7_SB_S5_SD_S8_SB_S5_SD_SB_PS3_PS7_21rocsparse_index_base_SG_SG_SG_bbb
; %bb.0:
	s_mov_b32 s42, s15
	s_clause 0x6
	s_load_b32 s33, s[0:1], 0x98
	s_load_b256 s[12:19], s[0:1], 0x60
	s_load_b256 s[4:11], s[0:1], 0x40
	s_load_b128 s[36:39], s[0:1], 0x8
	s_load_b256 s[20:27], s[0:1], 0x20
	s_load_b64 s[34:35], s[0:1], 0x80
	s_load_b128 s[28:31], s[0:1], 0x88
	s_mov_b32 s3, 0
	s_mov_b32 s44, 0
	s_waitcnt lgkmcnt(0)
	s_bitcmp1_b32 s33, 0
	s_cselect_b32 s46, -1, 0
	s_bitcmp1_b32 s33, 16
	s_cselect_b32 s2, -1, 0
	s_delay_alu instid0(SALU_CYCLE_1) | instskip(SKIP_2) | instid1(VALU_DEP_1)
	s_xor_b32 s40, s2, -1
	s_bitcmp0_b32 s33, 0
	v_cndmask_b32_e64 v1, 0, 1, s40
	v_cmp_ne_u32_e32 vcc_lo, 1, v1
	s_cbranch_scc1 .LBB142_5
; %bb.1:
	s_load_b64 s[2:3], s[0:1], 0x18
	s_and_b32 vcc_lo, exec_lo, vcc_lo
	s_waitcnt lgkmcnt(0)
	s_mov_b32 s44, s2
	s_cbranch_vccnz .LBB142_3
; %bb.2:
	s_load_b32 s44, s[2:3], 0x0
.LBB142_3:
	s_and_not1_b32 vcc_lo, exec_lo, s40
	s_cbranch_vccnz .LBB142_5
; %bb.4:
	s_load_b32 s3, s[2:3], 0x4
.LBB142_5:
	s_bitcmp1_b32 s33, 8
	s_cselect_b32 s45, -1, 0
	s_bfe_u32 s2, s33, 0x10008
	s_mov_b32 s33, 0
	s_cmp_eq_u32 s2, 0
	s_mov_b32 s2, 0
	s_cbranch_scc1 .LBB142_11
; %bb.6:
	v_cmp_ne_u32_e32 vcc_lo, 1, v1
	s_mov_b32 s2, s8
	s_cbranch_vccnz .LBB142_8
; %bb.7:
	s_load_b32 s2, s[8:9], 0x0
.LBB142_8:
	v_cmp_ne_u32_e32 vcc_lo, 1, v1
	s_cbranch_vccnz .LBB142_10
; %bb.9:
	s_load_b32 s9, s[8:9], 0x4
.LBB142_10:
	s_waitcnt lgkmcnt(0)
	s_mov_b32 s33, s9
.LBB142_11:
	s_load_b64 s[40:41], s[0:1], 0x0
	v_lshl_add_u32 v12, v0, 3, 0
	v_or_b32_e32 v13, 0xfffffc00, v0
	v_mov_b32_e32 v3, 0
	s_mov_b32 s0, 0
	s_delay_alu instid0(VALU_DEP_2)
	v_dual_mov_b32 v4, v12 :: v_dual_mov_b32 v5, v13
	s_waitcnt lgkmcnt(0)
	v_dual_mov_b32 v1, s40 :: v_dual_mov_b32 v2, s41
.LBB142_12:                             ; =>This Inner Loop Header: Depth=1
	s_delay_alu instid0(VALU_DEP_2) | instskip(NEXT) | instid1(VALU_DEP_1)
	v_add_co_u32 v5, s1, 0x400, v5
	s_xor_b32 s1, s1, -1
	v_add_nc_u32_e32 v6, 0x4000, v4
	ds_store_b64 v4, v[1:2]
	v_add_nc_u32_e32 v4, 0x2000, v4
	s_and_b32 s1, exec_lo, s1
	ds_store_2addr_b32 v6, v3, v3 offset1:1
	s_or_b32 s0, s1, s0
	s_delay_alu instid0(SALU_CYCLE_1)
	s_and_not1_b32 exec_lo, exec_lo, s0
	s_cbranch_execnz .LBB142_12
; %bb.13:
	s_or_b32 exec_lo, exec_lo, s0
	s_waitcnt lgkmcnt(0)
	s_barrier
	buffer_gl0_inv
	s_load_b64 s[0:1], s[36:37], 0x0
	s_mov_b32 s43, 0
	s_waitcnt lgkmcnt(0)
	s_lshl_b64 s[0:1], s[0:1], 3
	s_delay_alu instid0(SALU_CYCLE_1) | instskip(SKIP_2) | instid1(SALU_CYCLE_1)
	s_add_u32 s8, s38, s0
	s_addc_u32 s9, s39, s1
	s_lshl_b64 s[0:1], s[42:43], 3
	s_add_u32 s0, s8, s0
	s_addc_u32 s1, s9, s1
	s_and_b32 vcc_lo, exec_lo, s46
	s_load_b64 s[36:37], s[0:1], 0x0
	s_cbranch_vccz .LBB142_33
; %bb.14:
	s_waitcnt lgkmcnt(0)
	s_lshl_b64 s[0:1], s[36:37], 3
	v_lshrrev_b32_e32 v1, 5, v0
	s_add_u32 s0, s20, s0
	s_addc_u32 s1, s21, s1
	s_mov_b32 s8, exec_lo
	s_load_b128 s[48:51], s[0:1], 0x0
	v_sub_co_u32 v1, s0, v1, s28
	s_delay_alu instid0(VALU_DEP_1) | instskip(SKIP_1) | instid1(VALU_DEP_2)
	v_sub_co_ci_u32_e64 v2, null, 0, 0, s0
	s_waitcnt lgkmcnt(0)
	v_add_co_u32 v1, vcc_lo, s48, v1
	s_delay_alu instid0(VALU_DEP_2)
	v_add_co_ci_u32_e32 v2, vcc_lo, s49, v2, vcc_lo
	s_sub_u32 s0, s50, s28
	s_subb_u32 s1, s51, 0
	s_delay_alu instid0(VALU_DEP_1) | instid1(SALU_CYCLE_1)
	v_cmpx_gt_i64_e64 s[0:1], v[1:2]
	s_cbranch_execz .LBB142_32
; %bb.15:
	v_and_b32_e32 v3, 31, v0
	s_mov_b32 s20, s29
	s_delay_alu instid0(VALU_DEP_1) | instskip(NEXT) | instid1(VALU_DEP_1)
	v_sub_co_u32 v11, s9, v3, s29
	v_sub_co_ci_u32_e64 v14, null, 0, 0, s9
	s_mov_b32 s9, 0
	s_branch .LBB142_17
.LBB142_16:                             ;   in Loop: Header=BB142_17 Depth=1
	s_or_b32 exec_lo, exec_lo, s21
	v_add_co_u32 v1, vcc_lo, v1, 32
	v_add_co_ci_u32_e32 v2, vcc_lo, 0, v2, vcc_lo
	s_delay_alu instid0(VALU_DEP_1) | instskip(SKIP_1) | instid1(SALU_CYCLE_1)
	v_cmp_le_i64_e32 vcc_lo, s[0:1], v[1:2]
	s_or_b32 s9, vcc_lo, s9
	s_and_not1_b32 exec_lo, exec_lo, s9
	s_cbranch_execz .LBB142_32
.LBB142_17:                             ; =>This Loop Header: Depth=1
                                        ;     Child Loop BB142_20 Depth 2
                                        ;       Child Loop BB142_22 Depth 3
	v_lshlrev_b64 v[7:8], 3, v[1:2]
	s_mov_b32 s21, exec_lo
	s_delay_alu instid0(VALU_DEP_1) | instskip(NEXT) | instid1(VALU_DEP_2)
	v_add_co_u32 v3, vcc_lo, s22, v7
	v_add_co_ci_u32_e32 v4, vcc_lo, s23, v8, vcc_lo
	global_load_b64 v[3:4], v[3:4], off
	s_waitcnt vmcnt(0)
	v_sub_co_u32 v3, vcc_lo, v3, s28
	v_subrev_co_ci_u32_e32 v4, vcc_lo, 0, v4, vcc_lo
	s_delay_alu instid0(VALU_DEP_1) | instskip(NEXT) | instid1(VALU_DEP_1)
	v_lshlrev_b64 v[3:4], 3, v[3:4]
	v_add_co_u32 v3, vcc_lo, s26, v3
	s_delay_alu instid0(VALU_DEP_2)
	v_add_co_ci_u32_e32 v4, vcc_lo, s27, v4, vcc_lo
	global_load_b128 v[15:18], v[3:4], off
	s_waitcnt vmcnt(0)
	v_sub_co_u32 v3, vcc_lo, v17, s20
	v_subrev_co_ci_u32_e32 v4, vcc_lo, 0, v18, vcc_lo
	v_add_co_u32 v5, vcc_lo, v15, v11
	v_add_co_ci_u32_e32 v6, vcc_lo, v16, v14, vcc_lo
	s_delay_alu instid0(VALU_DEP_1)
	v_cmpx_lt_i64_e64 v[5:6], v[3:4]
	s_cbranch_execz .LBB142_16
; %bb.18:                               ;   in Loop: Header=BB142_17 Depth=1
	v_add_co_u32 v7, vcc_lo, s24, v7
	v_add_co_ci_u32_e32 v8, vcc_lo, s25, v8, vcc_lo
	s_mov_b32 s29, 0
	global_load_b64 v[7:8], v[7:8], off
	s_waitcnt vmcnt(0)
	v_mul_f32_e64 v15, v8, -s3
	s_delay_alu instid0(VALU_DEP_1) | instskip(NEXT) | instid1(VALU_DEP_1)
	v_dual_mul_f32 v16, s44, v8 :: v_dual_fmac_f32 v15, s44, v7
	v_fmac_f32_e32 v16, s3, v7
	s_branch .LBB142_20
.LBB142_19:                             ;   in Loop: Header=BB142_20 Depth=2
	s_or_b32 exec_lo, exec_lo, s38
	v_add_co_u32 v5, vcc_lo, v5, 32
	v_add_co_ci_u32_e32 v6, vcc_lo, 0, v6, vcc_lo
	s_delay_alu instid0(VALU_DEP_1) | instskip(SKIP_1) | instid1(SALU_CYCLE_1)
	v_cmp_ge_i64_e32 vcc_lo, v[5:6], v[3:4]
	s_or_b32 s29, vcc_lo, s29
	s_and_not1_b32 exec_lo, exec_lo, s29
	s_cbranch_execz .LBB142_16
.LBB142_20:                             ;   Parent Loop BB142_17 Depth=1
                                        ; =>  This Loop Header: Depth=2
                                        ;       Child Loop BB142_22 Depth 3
	v_lshlrev_b64 v[7:8], 3, v[5:6]
	s_mov_b32 s38, 0
	s_delay_alu instid0(VALU_DEP_1) | instskip(NEXT) | instid1(VALU_DEP_2)
	v_add_co_u32 v9, vcc_lo, s4, v7
	v_add_co_ci_u32_e32 v10, vcc_lo, s5, v8, vcc_lo
	v_add_co_u32 v7, vcc_lo, s6, v7
	v_add_co_ci_u32_e32 v8, vcc_lo, s7, v8, vcc_lo
	global_load_b64 v[9:10], v[9:10], off
	global_load_b64 v[19:20], v[7:8], off
	s_waitcnt vmcnt(1)
	v_sub_co_u32 v7, vcc_lo, v9, s20
	v_subrev_co_ci_u32_e32 v8, vcc_lo, 0, v10, vcc_lo
	s_waitcnt vmcnt(0)
	v_mul_f32_e64 v17, v20, -v16
	s_delay_alu instid0(VALU_DEP_3) | instskip(SKIP_1) | instid1(VALU_DEP_3)
	v_mul_lo_u32 v9, 0x89, v7
	v_mul_f32_e32 v18, v15, v20
	v_fmac_f32_e32 v17, v15, v19
	s_delay_alu instid0(VALU_DEP_2)
	v_dual_fmac_f32 v18, v16, v19 :: v_dual_and_b32 v19, 0x7ff, v9
	s_branch .LBB142_22
.LBB142_21:                             ;   in Loop: Header=BB142_22 Depth=3
	s_or_b32 exec_lo, exec_lo, s39
	s_xor_b32 s39, s42, -1
	s_delay_alu instid0(SALU_CYCLE_1) | instskip(NEXT) | instid1(SALU_CYCLE_1)
	s_and_b32 s39, exec_lo, s39
	s_or_b32 s38, s39, s38
	s_delay_alu instid0(SALU_CYCLE_1)
	s_and_not1_b32 exec_lo, exec_lo, s38
	s_cbranch_execz .LBB142_19
.LBB142_22:                             ;   Parent Loop BB142_17 Depth=1
                                        ;     Parent Loop BB142_20 Depth=2
                                        ; =>    This Inner Loop Header: Depth=3
	s_delay_alu instid0(VALU_DEP_1)
	v_lshl_add_u32 v20, v19, 3, 0
	s_mov_b32 s39, exec_lo
                                        ; implicit-def: $sgpr42
	ds_load_b64 v[9:10], v20
	s_waitcnt lgkmcnt(0)
	v_cmpx_ne_u64_e64 v[9:10], v[7:8]
	s_xor_b32 s39, exec_lo, s39
	s_cbranch_execz .LBB142_30
; %bb.23:                               ;   in Loop: Header=BB142_22 Depth=3
	s_mov_b32 s43, exec_lo
                                        ; implicit-def: $sgpr42
	v_cmpx_ne_u64_e64 s[40:41], v[9:10]
	s_xor_b32 s43, exec_lo, s43
; %bb.24:                               ;   in Loop: Header=BB142_22 Depth=3
	v_add_nc_u32_e32 v9, 1, v19
	s_mov_b32 s42, -1
                                        ; implicit-def: $vgpr20
	s_delay_alu instid0(VALU_DEP_1)
	v_and_b32_e32 v19, 0x7ff, v9
; %bb.25:                               ;   in Loop: Header=BB142_22 Depth=3
	s_and_not1_saveexec_b32 s43, s43
	s_cbranch_execz .LBB142_29
; %bb.26:                               ;   in Loop: Header=BB142_22 Depth=3
	v_dual_mov_b32 v9, s40 :: v_dual_mov_b32 v10, s41
	s_mov_b32 s46, -1
	s_mov_b32 s47, exec_lo
	ds_cmpstore_rtn_b64 v[9:10], v20, v[7:8], v[9:10]
	s_waitcnt lgkmcnt(0)
	v_cmpx_eq_u64_e64 s[40:41], v[9:10]
	s_cbranch_execz .LBB142_28
; %bb.27:                               ;   in Loop: Header=BB142_22 Depth=3
	ds_add_f32 v20, v17 offset:16384
	ds_add_f32 v20, v18 offset:16388
	s_xor_b32 s46, exec_lo, -1
.LBB142_28:                             ;   in Loop: Header=BB142_22 Depth=3
	s_or_b32 exec_lo, exec_lo, s47
	s_delay_alu instid0(SALU_CYCLE_1) | instskip(SKIP_1) | instid1(SALU_CYCLE_1)
	s_and_not1_b32 s42, s42, exec_lo
	s_and_b32 s46, s46, exec_lo
	s_or_b32 s42, s42, s46
.LBB142_29:                             ;   in Loop: Header=BB142_22 Depth=3
	s_or_b32 exec_lo, exec_lo, s43
	s_delay_alu instid0(SALU_CYCLE_1)
	s_and_b32 s42, s42, exec_lo
                                        ; implicit-def: $vgpr20
.LBB142_30:                             ;   in Loop: Header=BB142_22 Depth=3
	s_and_not1_saveexec_b32 s39, s39
	s_cbranch_execz .LBB142_21
; %bb.31:                               ;   in Loop: Header=BB142_22 Depth=3
	ds_add_f32 v20, v17 offset:16384
	ds_add_f32 v20, v18 offset:16388
	s_and_not1_b32 s42, s42, exec_lo
	s_branch .LBB142_21
.LBB142_32:
	s_or_b32 exec_lo, exec_lo, s8
.LBB142_33:
	s_delay_alu instid0(SALU_CYCLE_1)
	s_and_not1_b32 vcc_lo, exec_lo, s45
	s_cbranch_vccnz .LBB142_50
; %bb.34:
	s_waitcnt lgkmcnt(0)
	s_lshl_b64 s[0:1], s[36:37], 3
	s_mov_b32 s3, 0
	s_add_u32 s0, s10, s0
	s_addc_u32 s1, s11, s1
	s_load_b128 s[4:7], s[0:1], 0x0
	v_sub_co_u32 v1, s0, v0, s31
	s_delay_alu instid0(VALU_DEP_1) | instskip(SKIP_1) | instid1(VALU_DEP_2)
	v_sub_co_ci_u32_e64 v2, null, 0, 0, s0
	s_waitcnt lgkmcnt(0)
	v_add_co_u32 v1, vcc_lo, s4, v1
	s_delay_alu instid0(VALU_DEP_2) | instskip(SKIP_3) | instid1(VALU_DEP_1)
	v_add_co_ci_u32_e32 v2, vcc_lo, s5, v2, vcc_lo
	s_sub_u32 s0, s6, s31
	s_subb_u32 s1, s7, 0
	s_mov_b32 s4, exec_lo
	v_cmpx_gt_i64_e64 s[0:1], v[1:2]
	s_cbranch_execz .LBB142_49
; %bb.35:
	s_mov_b32 s5, s31
	s_branch .LBB142_37
.LBB142_36:                             ;   in Loop: Header=BB142_37 Depth=1
	s_or_b32 exec_lo, exec_lo, s6
	v_add_co_u32 v1, vcc_lo, 0x400, v1
	v_add_co_ci_u32_e32 v2, vcc_lo, 0, v2, vcc_lo
	s_delay_alu instid0(VALU_DEP_1) | instskip(SKIP_1) | instid1(SALU_CYCLE_1)
	v_cmp_le_i64_e32 vcc_lo, s[0:1], v[1:2]
	s_or_b32 s3, vcc_lo, s3
	s_and_not1_b32 exec_lo, exec_lo, s3
	s_cbranch_execz .LBB142_49
.LBB142_37:                             ; =>This Loop Header: Depth=1
                                        ;     Child Loop BB142_39 Depth 2
	v_lshlrev_b64 v[3:4], 3, v[1:2]
	s_mov_b32 s6, 0
	s_delay_alu instid0(VALU_DEP_1) | instskip(NEXT) | instid1(VALU_DEP_2)
	v_add_co_u32 v5, vcc_lo, s12, v3
	v_add_co_ci_u32_e32 v6, vcc_lo, s13, v4, vcc_lo
	v_add_co_u32 v3, vcc_lo, s14, v3
	v_add_co_ci_u32_e32 v4, vcc_lo, s15, v4, vcc_lo
	global_load_b64 v[5:6], v[5:6], off
	global_load_b64 v[9:10], v[3:4], off
	s_waitcnt vmcnt(1)
	v_sub_co_u32 v3, vcc_lo, v5, s5
	v_subrev_co_ci_u32_e32 v4, vcc_lo, 0, v6, vcc_lo
	s_waitcnt vmcnt(0)
	v_mul_f32_e64 v7, v10, -s33
	s_delay_alu instid0(VALU_DEP_3) | instskip(NEXT) | instid1(VALU_DEP_2)
	v_mul_lo_u32 v5, 0x89, v3
	v_dual_mul_f32 v8, s2, v10 :: v_dual_fmac_f32 v7, s2, v9
	s_delay_alu instid0(VALU_DEP_1) | instskip(NEXT) | instid1(VALU_DEP_3)
	v_fmac_f32_e32 v8, s33, v9
	v_and_b32_e32 v9, 0x7ff, v5
	s_branch .LBB142_39
.LBB142_38:                             ;   in Loop: Header=BB142_39 Depth=2
	s_or_b32 exec_lo, exec_lo, s7
	s_xor_b32 s7, s8, -1
	s_delay_alu instid0(SALU_CYCLE_1) | instskip(NEXT) | instid1(SALU_CYCLE_1)
	s_and_b32 s7, exec_lo, s7
	s_or_b32 s6, s7, s6
	s_delay_alu instid0(SALU_CYCLE_1)
	s_and_not1_b32 exec_lo, exec_lo, s6
	s_cbranch_execz .LBB142_36
.LBB142_39:                             ;   Parent Loop BB142_37 Depth=1
                                        ; =>  This Inner Loop Header: Depth=2
	s_delay_alu instid0(VALU_DEP_1)
	v_lshl_add_u32 v10, v9, 3, 0
	s_mov_b32 s7, exec_lo
                                        ; implicit-def: $sgpr8
	ds_load_b64 v[5:6], v10
	s_waitcnt lgkmcnt(0)
	v_cmpx_ne_u64_e64 v[5:6], v[3:4]
	s_xor_b32 s7, exec_lo, s7
	s_cbranch_execz .LBB142_47
; %bb.40:                               ;   in Loop: Header=BB142_39 Depth=2
	s_mov_b32 s9, exec_lo
                                        ; implicit-def: $sgpr8
	v_cmpx_ne_u64_e64 s[40:41], v[5:6]
	s_xor_b32 s9, exec_lo, s9
; %bb.41:                               ;   in Loop: Header=BB142_39 Depth=2
	v_add_nc_u32_e32 v5, 1, v9
	s_mov_b32 s8, -1
                                        ; implicit-def: $vgpr10
	s_delay_alu instid0(VALU_DEP_1)
	v_and_b32_e32 v9, 0x7ff, v5
; %bb.42:                               ;   in Loop: Header=BB142_39 Depth=2
	s_and_not1_saveexec_b32 s9, s9
	s_cbranch_execz .LBB142_46
; %bb.43:                               ;   in Loop: Header=BB142_39 Depth=2
	v_dual_mov_b32 v5, s40 :: v_dual_mov_b32 v6, s41
	s_mov_b32 s10, -1
	s_mov_b32 s11, exec_lo
	ds_cmpstore_rtn_b64 v[5:6], v10, v[3:4], v[5:6]
	s_waitcnt lgkmcnt(0)
	v_cmpx_eq_u64_e64 s[40:41], v[5:6]
	s_cbranch_execz .LBB142_45
; %bb.44:                               ;   in Loop: Header=BB142_39 Depth=2
	ds_add_f32 v10, v7 offset:16384
	ds_add_f32 v10, v8 offset:16388
	s_xor_b32 s10, exec_lo, -1
.LBB142_45:                             ;   in Loop: Header=BB142_39 Depth=2
	s_or_b32 exec_lo, exec_lo, s11
	s_delay_alu instid0(SALU_CYCLE_1) | instskip(SKIP_1) | instid1(SALU_CYCLE_1)
	s_and_not1_b32 s8, s8, exec_lo
	s_and_b32 s10, s10, exec_lo
	s_or_b32 s8, s8, s10
.LBB142_46:                             ;   in Loop: Header=BB142_39 Depth=2
	s_or_b32 exec_lo, exec_lo, s9
	s_delay_alu instid0(SALU_CYCLE_1)
	s_and_b32 s8, s8, exec_lo
                                        ; implicit-def: $vgpr10
.LBB142_47:                             ;   in Loop: Header=BB142_39 Depth=2
	s_and_not1_saveexec_b32 s7, s7
	s_cbranch_execz .LBB142_38
; %bb.48:                               ;   in Loop: Header=BB142_39 Depth=2
	ds_add_f32 v10, v7 offset:16384
	ds_add_f32 v10, v8 offset:16388
	s_and_not1_b32 s8, s8, exec_lo
	s_branch .LBB142_38
.LBB142_49:
	s_or_b32 exec_lo, exec_lo, s4
.LBB142_50:
	v_mbcnt_lo_u32_b32 v1, -1, 0
	v_lshrrev_b32_e32 v2, 3, v0
	v_cmp_eq_u32_e32 vcc_lo, 0x3ff, v0
	v_cmp_lt_u32_e64 s0, 63, v0
	v_cmp_lt_u32_e64 s1, 0x7f, v0
	v_xor_b32_e32 v1, 63, v1
	v_and_b32_e32 v3, 0x78, v2
	v_cmp_lt_u32_e64 s2, 0xbf, v0
	v_cmp_lt_u32_e64 s3, 0xff, v0
	;; [unrolled: 1-line block ×3, first 2 shown]
	v_lshrrev_b64 v[1:2], v1, -1
	v_add_nc_u32_e32 v14, 0, v3
	v_dual_mov_b32 v2, 0 :: v_dual_mov_b32 v5, 0
	v_cmp_lt_u32_e64 s5, 0x17f, v0
	v_cmp_lt_u32_e64 s6, 0x1bf, v0
	;; [unrolled: 1-line block ×10, first 2 shown]
	v_mov_b32_e32 v3, 0
	s_mov_b32 s20, 0
	s_waitcnt lgkmcnt(0)
	s_barrier
	buffer_gl0_inv
	s_branch .LBB142_52
.LBB142_51:                             ;   in Loop: Header=BB142_52 Depth=1
	s_or_b32 exec_lo, exec_lo, s15
	s_waitcnt lgkmcnt(0)
	s_barrier
	buffer_gl0_inv
	ds_load_b64 v[6:7], v5 offset:32888
	v_add_co_u32 v13, s15, 0x400, v13
	s_delay_alu instid0(VALU_DEP_1) | instskip(SKIP_3) | instid1(VALU_DEP_1)
	s_xor_b32 s21, s15, -1
	v_add_nc_u32_e32 v12, 0x2000, v12
	s_waitcnt lgkmcnt(0)
	v_add_co_u32 v2, s15, v6, v2
	v_add_co_ci_u32_e64 v3, s15, v7, v3, s15
	s_and_b32 s15, exec_lo, s21
	s_delay_alu instid0(SALU_CYCLE_1) | instskip(NEXT) | instid1(SALU_CYCLE_1)
	s_or_b32 s20, s15, s20
	s_and_not1_b32 exec_lo, exec_lo, s20
	s_cbranch_execz .LBB142_86
.LBB142_52:                             ; =>This Inner Loop Header: Depth=1
	ds_load_b64 v[6:7], v12
	v_add_nc_u32_e32 v4, 0x4000, v12
	ds_load_2addr_b32 v[8:9], v4 offset1:1
	s_waitcnt lgkmcnt(0)
	s_barrier
	buffer_gl0_inv
	v_cmp_gt_i64_e64 s15, s[40:41], v[6:7]
	s_delay_alu instid0(VALU_DEP_1) | instskip(SKIP_1) | instid1(SALU_CYCLE_1)
	v_and_b32_e32 v10, s15, v1
	s_bcnt1_i32_b32 s21, s15
	v_mov_b32_e32 v4, s21
	s_delay_alu instid0(VALU_DEP_2)
	v_bcnt_u32_b32 v10, v10, 0
	ds_store_b64 v14, v[4:5] offset:32768
	s_waitcnt lgkmcnt(0)
	s_barrier
	buffer_gl0_inv
	s_and_saveexec_b32 s21, s0
	s_cbranch_execnz .LBB142_69
; %bb.53:                               ;   in Loop: Header=BB142_52 Depth=1
	s_or_b32 exec_lo, exec_lo, s21
	s_and_saveexec_b32 s21, s1
	s_cbranch_execnz .LBB142_70
.LBB142_54:                             ;   in Loop: Header=BB142_52 Depth=1
	s_or_b32 exec_lo, exec_lo, s21
	s_and_saveexec_b32 s21, s2
	s_cbranch_execnz .LBB142_71
.LBB142_55:                             ;   in Loop: Header=BB142_52 Depth=1
	s_or_b32 exec_lo, exec_lo, s21
	s_and_saveexec_b32 s21, s3
	s_cbranch_execnz .LBB142_72
.LBB142_56:                             ;   in Loop: Header=BB142_52 Depth=1
	s_or_b32 exec_lo, exec_lo, s21
	s_and_saveexec_b32 s21, s4
	s_cbranch_execnz .LBB142_73
.LBB142_57:                             ;   in Loop: Header=BB142_52 Depth=1
	s_or_b32 exec_lo, exec_lo, s21
	s_and_saveexec_b32 s21, s5
	s_cbranch_execnz .LBB142_74
.LBB142_58:                             ;   in Loop: Header=BB142_52 Depth=1
	s_or_b32 exec_lo, exec_lo, s21
	s_and_saveexec_b32 s21, s6
	s_cbranch_execnz .LBB142_75
.LBB142_59:                             ;   in Loop: Header=BB142_52 Depth=1
	s_or_b32 exec_lo, exec_lo, s21
	s_and_saveexec_b32 s21, s7
	s_cbranch_execnz .LBB142_76
.LBB142_60:                             ;   in Loop: Header=BB142_52 Depth=1
	s_or_b32 exec_lo, exec_lo, s21
	s_and_saveexec_b32 s21, s8
	s_cbranch_execnz .LBB142_77
.LBB142_61:                             ;   in Loop: Header=BB142_52 Depth=1
	s_or_b32 exec_lo, exec_lo, s21
	s_and_saveexec_b32 s21, s9
	s_cbranch_execnz .LBB142_78
.LBB142_62:                             ;   in Loop: Header=BB142_52 Depth=1
	s_or_b32 exec_lo, exec_lo, s21
	s_and_saveexec_b32 s21, s10
	s_cbranch_execnz .LBB142_79
.LBB142_63:                             ;   in Loop: Header=BB142_52 Depth=1
	s_or_b32 exec_lo, exec_lo, s21
	s_and_saveexec_b32 s21, s11
	s_cbranch_execnz .LBB142_80
.LBB142_64:                             ;   in Loop: Header=BB142_52 Depth=1
	s_or_b32 exec_lo, exec_lo, s21
	s_and_saveexec_b32 s21, s12
	s_cbranch_execnz .LBB142_81
.LBB142_65:                             ;   in Loop: Header=BB142_52 Depth=1
	s_or_b32 exec_lo, exec_lo, s21
	s_and_saveexec_b32 s21, s13
	s_cbranch_execnz .LBB142_82
.LBB142_66:                             ;   in Loop: Header=BB142_52 Depth=1
	s_or_b32 exec_lo, exec_lo, s21
	s_and_saveexec_b32 s21, s14
	s_cbranch_execnz .LBB142_83
.LBB142_67:                             ;   in Loop: Header=BB142_52 Depth=1
	s_or_b32 exec_lo, exec_lo, s21
	v_ashrrev_i32_e32 v11, 31, v10
	s_and_saveexec_b32 s21, s15
	s_cbranch_execnz .LBB142_84
.LBB142_68:                             ;   in Loop: Header=BB142_52 Depth=1
	s_or_b32 exec_lo, exec_lo, s21
	s_and_saveexec_b32 s15, vcc_lo
	s_cbranch_execz .LBB142_51
	s_branch .LBB142_85
.LBB142_69:                             ;   in Loop: Header=BB142_52 Depth=1
	ds_load_b32 v4, v5 offset:32768
	s_waitcnt lgkmcnt(0)
	v_add_nc_u32_e32 v10, v4, v10
	s_or_b32 exec_lo, exec_lo, s21
	s_and_saveexec_b32 s21, s1
	s_cbranch_execz .LBB142_54
.LBB142_70:                             ;   in Loop: Header=BB142_52 Depth=1
	ds_load_b32 v4, v5 offset:32776
	s_waitcnt lgkmcnt(0)
	v_add_nc_u32_e32 v10, v10, v4
	s_or_b32 exec_lo, exec_lo, s21
	s_and_saveexec_b32 s21, s2
	s_cbranch_execz .LBB142_55
.LBB142_71:                             ;   in Loop: Header=BB142_52 Depth=1
	ds_load_b32 v4, v5 offset:32784
	s_waitcnt lgkmcnt(0)
	v_add_nc_u32_e32 v10, v10, v4
	s_or_b32 exec_lo, exec_lo, s21
	s_and_saveexec_b32 s21, s3
	s_cbranch_execz .LBB142_56
.LBB142_72:                             ;   in Loop: Header=BB142_52 Depth=1
	ds_load_b32 v4, v5 offset:32792
	s_waitcnt lgkmcnt(0)
	v_add_nc_u32_e32 v10, v10, v4
	s_or_b32 exec_lo, exec_lo, s21
	s_and_saveexec_b32 s21, s4
	s_cbranch_execz .LBB142_57
.LBB142_73:                             ;   in Loop: Header=BB142_52 Depth=1
	ds_load_b32 v4, v5 offset:32800
	s_waitcnt lgkmcnt(0)
	v_add_nc_u32_e32 v10, v10, v4
	s_or_b32 exec_lo, exec_lo, s21
	s_and_saveexec_b32 s21, s5
	s_cbranch_execz .LBB142_58
.LBB142_74:                             ;   in Loop: Header=BB142_52 Depth=1
	ds_load_b32 v4, v5 offset:32808
	s_waitcnt lgkmcnt(0)
	v_add_nc_u32_e32 v10, v10, v4
	s_or_b32 exec_lo, exec_lo, s21
	s_and_saveexec_b32 s21, s6
	s_cbranch_execz .LBB142_59
.LBB142_75:                             ;   in Loop: Header=BB142_52 Depth=1
	ds_load_b32 v4, v5 offset:32816
	s_waitcnt lgkmcnt(0)
	v_add_nc_u32_e32 v10, v10, v4
	s_or_b32 exec_lo, exec_lo, s21
	s_and_saveexec_b32 s21, s7
	s_cbranch_execz .LBB142_60
.LBB142_76:                             ;   in Loop: Header=BB142_52 Depth=1
	ds_load_b32 v4, v5 offset:32824
	s_waitcnt lgkmcnt(0)
	v_add_nc_u32_e32 v10, v10, v4
	s_or_b32 exec_lo, exec_lo, s21
	s_and_saveexec_b32 s21, s8
	s_cbranch_execz .LBB142_61
.LBB142_77:                             ;   in Loop: Header=BB142_52 Depth=1
	ds_load_b32 v4, v5 offset:32832
	s_waitcnt lgkmcnt(0)
	v_add_nc_u32_e32 v10, v10, v4
	s_or_b32 exec_lo, exec_lo, s21
	s_and_saveexec_b32 s21, s9
	s_cbranch_execz .LBB142_62
.LBB142_78:                             ;   in Loop: Header=BB142_52 Depth=1
	ds_load_b32 v4, v5 offset:32840
	s_waitcnt lgkmcnt(0)
	v_add_nc_u32_e32 v10, v10, v4
	s_or_b32 exec_lo, exec_lo, s21
	s_and_saveexec_b32 s21, s10
	s_cbranch_execz .LBB142_63
.LBB142_79:                             ;   in Loop: Header=BB142_52 Depth=1
	ds_load_b32 v4, v5 offset:32848
	s_waitcnt lgkmcnt(0)
	v_add_nc_u32_e32 v10, v10, v4
	s_or_b32 exec_lo, exec_lo, s21
	s_and_saveexec_b32 s21, s11
	s_cbranch_execz .LBB142_64
.LBB142_80:                             ;   in Loop: Header=BB142_52 Depth=1
	ds_load_b32 v4, v5 offset:32856
	s_waitcnt lgkmcnt(0)
	v_add_nc_u32_e32 v10, v10, v4
	s_or_b32 exec_lo, exec_lo, s21
	s_and_saveexec_b32 s21, s12
	s_cbranch_execz .LBB142_65
.LBB142_81:                             ;   in Loop: Header=BB142_52 Depth=1
	ds_load_b32 v4, v5 offset:32864
	s_waitcnt lgkmcnt(0)
	v_add_nc_u32_e32 v10, v10, v4
	s_or_b32 exec_lo, exec_lo, s21
	s_and_saveexec_b32 s21, s13
	s_cbranch_execz .LBB142_66
.LBB142_82:                             ;   in Loop: Header=BB142_52 Depth=1
	ds_load_b32 v4, v5 offset:32872
	s_waitcnt lgkmcnt(0)
	v_add_nc_u32_e32 v10, v10, v4
	s_or_b32 exec_lo, exec_lo, s21
	s_and_saveexec_b32 s21, s14
	s_cbranch_execz .LBB142_67
.LBB142_83:                             ;   in Loop: Header=BB142_52 Depth=1
	ds_load_b32 v4, v5 offset:32880
	s_waitcnt lgkmcnt(0)
	v_add_nc_u32_e32 v10, v10, v4
	s_or_b32 exec_lo, exec_lo, s21
	s_delay_alu instid0(VALU_DEP_1)
	v_ashrrev_i32_e32 v11, 31, v10
	s_and_saveexec_b32 s21, s15
	s_cbranch_execz .LBB142_68
.LBB142_84:                             ;   in Loop: Header=BB142_52 Depth=1
	v_add3_u32 v4, v2, -1, v10
	s_delay_alu instid0(VALU_DEP_1) | instskip(NEXT) | instid1(VALU_DEP_1)
	v_lshl_add_u32 v4, v4, 3, 0
	v_add_nc_u32_e32 v15, 0x4000, v4
	ds_store_b64 v4, v[6:7]
	ds_store_2addr_b32 v15, v8, v9 offset1:1
	s_or_b32 exec_lo, exec_lo, s21
	s_and_saveexec_b32 s15, vcc_lo
	s_cbranch_execz .LBB142_51
.LBB142_85:                             ;   in Loop: Header=BB142_52 Depth=1
	ds_store_b64 v5, v[10:11] offset:32888
	s_branch .LBB142_51
.LBB142_86:
	s_or_b32 exec_lo, exec_lo, s20
	s_lshl_b64 s[0:1], s[36:37], 3
	v_mov_b32_e32 v1, 0
	s_add_u32 s0, s16, s0
	s_addc_u32 s1, s17, s1
	s_mov_b32 s6, exec_lo
	s_load_b128 s[0:3], s[0:1], 0x0
	s_waitcnt lgkmcnt(0)
	s_sub_u32 s4, s2, s0
	s_subb_u32 s5, s3, s1
	s_delay_alu instid0(SALU_CYCLE_1)
	v_cmpx_gt_i64_e64 s[4:5], v[0:1]
	s_cbranch_execz .LBB142_96
; %bb.87:
	s_sub_u32 s8, s0, s30
	s_subb_u32 s9, s1, 0
	s_and_b32 s6, s4, 7
	s_sub_u32 s0, s0, s2
	s_subb_u32 s1, s1, s3
	s_mov_b32 s7, 0
	v_cmp_lt_u64_e64 s12, s[0:1], -7
	s_and_b32 s2, s4, -8
	s_cmp_lg_u64 s[6:7], 0
	s_mov_b32 s3, s5
	s_cselect_b32 s13, -1, 0
	s_mov_b32 s14, s7
	s_branch .LBB142_89
.LBB142_88:                             ;   in Loop: Header=BB142_89 Depth=1
	s_waitcnt lgkmcnt(1)
	v_add_co_u32 v4, vcc_lo, v4, s30
	v_lshlrev_b64 v[6:7], 3, v[6:7]
	v_add_co_ci_u32_e32 v5, vcc_lo, 0, v5, vcc_lo
	v_add_co_u32 v0, vcc_lo, 0x400, v0
	v_add_co_ci_u32_e32 v1, vcc_lo, 0, v1, vcc_lo
	s_delay_alu instid0(VALU_DEP_4) | instskip(SKIP_1) | instid1(VALU_DEP_3)
	v_add_co_u32 v8, vcc_lo, s18, v6
	v_add_co_ci_u32_e32 v9, vcc_lo, s19, v7, vcc_lo
	v_cmp_le_i64_e32 vcc_lo, s[4:5], v[0:1]
	v_add_co_u32 v6, s0, s34, v6
	s_delay_alu instid0(VALU_DEP_1) | instskip(SKIP_4) | instid1(SALU_CYCLE_1)
	v_add_co_ci_u32_e64 v7, s0, s35, v7, s0
	global_store_b64 v[8:9], v[4:5], off
	s_waitcnt lgkmcnt(0)
	global_store_b64 v[6:7], v[2:3], off
	s_or_b32 s14, vcc_lo, s14
	s_and_not1_b32 exec_lo, exec_lo, s14
	s_cbranch_execz .LBB142_96
.LBB142_89:                             ; =>This Loop Header: Depth=1
                                        ;     Child Loop BB142_91 Depth 2
                                        ;     Child Loop BB142_95 Depth 2
	v_lshl_add_u32 v2, v0, 3, 0
	s_and_not1_b32 vcc_lo, exec_lo, s12
	s_mov_b64 s[0:1], 0
	v_dual_mov_b32 v6, s8 :: v_dual_mov_b32 v7, s9
	s_delay_alu instid0(VALU_DEP_2)
	v_add_nc_u32_e32 v3, 0x4000, v2
	ds_load_b64 v[4:5], v2
	ds_load_2addr_b32 v[2:3], v3 offset1:1
	s_cbranch_vccnz .LBB142_93
; %bb.90:                               ;   in Loop: Header=BB142_89 Depth=1
	v_dual_mov_b32 v6, s8 :: v_dual_mov_b32 v7, s9
	s_mov_b64 s[10:11], 0
	s_mov_b32 s1, 0
.LBB142_91:                             ;   Parent Loop BB142_89 Depth=1
                                        ; =>  This Inner Loop Header: Depth=2
	s_delay_alu instid0(SALU_CYCLE_1)
	v_mov_b32_e32 v20, s1
	s_add_u32 s10, s10, 8
	s_addc_u32 s11, s11, 0
	s_add_i32 s1, s1, 64
	s_cmp_eq_u64 s[2:3], s[10:11]
	ds_load_2addr_b64 v[8:11], v20 offset1:1
	ds_load_2addr_b64 v[12:15], v20 offset0:2 offset1:3
	ds_load_2addr_b64 v[16:19], v20 offset0:4 offset1:5
	ds_load_2addr_b64 v[20:23], v20 offset0:6 offset1:7
	s_waitcnt lgkmcnt(3)
	v_cmp_gt_i64_e32 vcc_lo, v[4:5], v[8:9]
	v_cndmask_b32_e64 v8, 0, 1, vcc_lo
	v_cmp_gt_i64_e32 vcc_lo, v[4:5], v[10:11]
	v_cndmask_b32_e64 v9, 0, 1, vcc_lo
	s_waitcnt lgkmcnt(2)
	v_cmp_gt_i64_e32 vcc_lo, v[4:5], v[12:13]
	v_cndmask_b32_e64 v10, 0, 1, vcc_lo
	v_cmp_gt_i64_e32 vcc_lo, v[4:5], v[14:15]
	v_cndmask_b32_e64 v11, 0, 1, vcc_lo
	s_waitcnt lgkmcnt(1)
	v_cmp_gt_i64_e32 vcc_lo, v[4:5], v[16:17]
	v_cndmask_b32_e64 v12, 0, 1, vcc_lo
	v_add_co_u32 v6, vcc_lo, v6, v8
	v_add_co_ci_u32_e32 v7, vcc_lo, 0, v7, vcc_lo
	v_cmp_gt_i64_e32 vcc_lo, v[4:5], v[18:19]
	s_delay_alu instid0(VALU_DEP_3) | instskip(NEXT) | instid1(VALU_DEP_1)
	v_add_co_u32 v6, s0, v6, v9
	v_add_co_ci_u32_e64 v7, s0, 0, v7, s0
	v_cndmask_b32_e64 v8, 0, 1, vcc_lo
	s_delay_alu instid0(VALU_DEP_3) | instskip(NEXT) | instid1(VALU_DEP_3)
	v_add_co_u32 v6, vcc_lo, v6, v10
	v_add_co_ci_u32_e32 v7, vcc_lo, 0, v7, vcc_lo
	s_waitcnt lgkmcnt(0)
	v_cmp_gt_i64_e32 vcc_lo, v[4:5], v[20:21]
	s_delay_alu instid0(VALU_DEP_3) | instskip(NEXT) | instid1(VALU_DEP_1)
	v_add_co_u32 v6, s0, v6, v11
	v_add_co_ci_u32_e64 v7, s0, 0, v7, s0
	v_cndmask_b32_e64 v9, 0, 1, vcc_lo
	s_delay_alu instid0(VALU_DEP_3) | instskip(NEXT) | instid1(VALU_DEP_3)
	v_add_co_u32 v6, vcc_lo, v6, v12
	v_add_co_ci_u32_e32 v7, vcc_lo, 0, v7, vcc_lo
	v_cmp_gt_i64_e32 vcc_lo, v[4:5], v[22:23]
	s_delay_alu instid0(VALU_DEP_3) | instskip(NEXT) | instid1(VALU_DEP_1)
	v_add_co_u32 v6, s0, v6, v8
	v_add_co_ci_u32_e64 v7, s0, 0, v7, s0
	v_cndmask_b32_e64 v8, 0, 1, vcc_lo
	s_delay_alu instid0(VALU_DEP_3) | instskip(NEXT) | instid1(VALU_DEP_3)
	v_add_co_u32 v6, vcc_lo, v6, v9
	v_add_co_ci_u32_e32 v7, vcc_lo, 0, v7, vcc_lo
	s_delay_alu instid0(VALU_DEP_2) | instskip(NEXT) | instid1(VALU_DEP_2)
	v_add_co_u32 v6, vcc_lo, v6, v8
	v_add_co_ci_u32_e32 v7, vcc_lo, 0, v7, vcc_lo
	s_cbranch_scc0 .LBB142_91
; %bb.92:                               ;   in Loop: Header=BB142_89 Depth=1
	s_mov_b64 s[0:1], s[2:3]
.LBB142_93:                             ;   in Loop: Header=BB142_89 Depth=1
	s_and_not1_b32 vcc_lo, exec_lo, s13
	s_cbranch_vccnz .LBB142_88
; %bb.94:                               ;   in Loop: Header=BB142_89 Depth=1
	s_lshl_b32 s0, s0, 3
	s_delay_alu instid0(SALU_CYCLE_1)
	s_add_i32 s10, s0, 0
	s_mov_b64 s[0:1], s[6:7]
.LBB142_95:                             ;   Parent Loop BB142_89 Depth=1
                                        ; =>  This Inner Loop Header: Depth=2
	v_mov_b32_e32 v8, s10
	s_add_i32 s10, s10, 8
	s_add_u32 s0, s0, -1
	s_addc_u32 s1, s1, -1
	s_delay_alu instid0(SALU_CYCLE_1) | instskip(SKIP_4) | instid1(VALU_DEP_1)
	s_cmp_lg_u64 s[0:1], 0
	ds_load_b64 v[8:9], v8
	s_waitcnt lgkmcnt(0)
	v_cmp_gt_i64_e32 vcc_lo, v[4:5], v[8:9]
	v_cndmask_b32_e64 v8, 0, 1, vcc_lo
	v_add_co_u32 v6, vcc_lo, v6, v8
	v_add_co_ci_u32_e32 v7, vcc_lo, 0, v7, vcc_lo
	s_cbranch_scc1 .LBB142_95
	s_branch .LBB142_88
.LBB142_96:
	s_nop 0
	s_sendmsg sendmsg(MSG_DEALLOC_VGPRS)
	s_endpgm
	.section	.rodata,"a",@progbits
	.p2align	6, 0x0
	.amdhsa_kernel _ZN9rocsparseL26csrgemm_fill_block_per_rowILj1024ELj32ELj2048ELj137ELj64Ell21rocsparse_complex_numIfEEEvT5_PKS3_S5_NS_24const_host_device_scalarIT6_EEPKT4_S5_PKS7_SB_S5_SD_S8_SB_S5_SD_SB_PS3_PS7_21rocsparse_index_base_SG_SG_SG_bbb
		.amdhsa_group_segment_fixed_size 0
		.amdhsa_private_segment_fixed_size 0
		.amdhsa_kernarg_size 156
		.amdhsa_user_sgpr_count 15
		.amdhsa_user_sgpr_dispatch_ptr 0
		.amdhsa_user_sgpr_queue_ptr 0
		.amdhsa_user_sgpr_kernarg_segment_ptr 1
		.amdhsa_user_sgpr_dispatch_id 0
		.amdhsa_user_sgpr_private_segment_size 0
		.amdhsa_wavefront_size32 1
		.amdhsa_uses_dynamic_stack 0
		.amdhsa_enable_private_segment 0
		.amdhsa_system_sgpr_workgroup_id_x 1
		.amdhsa_system_sgpr_workgroup_id_y 0
		.amdhsa_system_sgpr_workgroup_id_z 0
		.amdhsa_system_sgpr_workgroup_info 0
		.amdhsa_system_vgpr_workitem_id 0
		.amdhsa_next_free_vgpr 24
		.amdhsa_next_free_sgpr 52
		.amdhsa_reserve_vcc 1
		.amdhsa_float_round_mode_32 0
		.amdhsa_float_round_mode_16_64 0
		.amdhsa_float_denorm_mode_32 3
		.amdhsa_float_denorm_mode_16_64 3
		.amdhsa_dx10_clamp 1
		.amdhsa_ieee_mode 1
		.amdhsa_fp16_overflow 0
		.amdhsa_workgroup_processor_mode 1
		.amdhsa_memory_ordered 1
		.amdhsa_forward_progress 0
		.amdhsa_shared_vgpr_count 0
		.amdhsa_exception_fp_ieee_invalid_op 0
		.amdhsa_exception_fp_denorm_src 0
		.amdhsa_exception_fp_ieee_div_zero 0
		.amdhsa_exception_fp_ieee_overflow 0
		.amdhsa_exception_fp_ieee_underflow 0
		.amdhsa_exception_fp_ieee_inexact 0
		.amdhsa_exception_int_div_zero 0
	.end_amdhsa_kernel
	.section	.text._ZN9rocsparseL26csrgemm_fill_block_per_rowILj1024ELj32ELj2048ELj137ELj64Ell21rocsparse_complex_numIfEEEvT5_PKS3_S5_NS_24const_host_device_scalarIT6_EEPKT4_S5_PKS7_SB_S5_SD_S8_SB_S5_SD_SB_PS3_PS7_21rocsparse_index_base_SG_SG_SG_bbb,"axG",@progbits,_ZN9rocsparseL26csrgemm_fill_block_per_rowILj1024ELj32ELj2048ELj137ELj64Ell21rocsparse_complex_numIfEEEvT5_PKS3_S5_NS_24const_host_device_scalarIT6_EEPKT4_S5_PKS7_SB_S5_SD_S8_SB_S5_SD_SB_PS3_PS7_21rocsparse_index_base_SG_SG_SG_bbb,comdat
.Lfunc_end142:
	.size	_ZN9rocsparseL26csrgemm_fill_block_per_rowILj1024ELj32ELj2048ELj137ELj64Ell21rocsparse_complex_numIfEEEvT5_PKS3_S5_NS_24const_host_device_scalarIT6_EEPKT4_S5_PKS7_SB_S5_SD_S8_SB_S5_SD_SB_PS3_PS7_21rocsparse_index_base_SG_SG_SG_bbb, .Lfunc_end142-_ZN9rocsparseL26csrgemm_fill_block_per_rowILj1024ELj32ELj2048ELj137ELj64Ell21rocsparse_complex_numIfEEEvT5_PKS3_S5_NS_24const_host_device_scalarIT6_EEPKT4_S5_PKS7_SB_S5_SD_S8_SB_S5_SD_SB_PS3_PS7_21rocsparse_index_base_SG_SG_SG_bbb
                                        ; -- End function
	.section	.AMDGPU.csdata,"",@progbits
; Kernel info:
; codeLenInByte = 3620
; NumSgprs: 54
; NumVgprs: 24
; ScratchSize: 0
; MemoryBound: 0
; FloatMode: 240
; IeeeMode: 1
; LDSByteSize: 0 bytes/workgroup (compile time only)
; SGPRBlocks: 6
; VGPRBlocks: 2
; NumSGPRsForWavesPerEU: 54
; NumVGPRsForWavesPerEU: 24
; Occupancy: 16
; WaveLimiterHint : 1
; COMPUTE_PGM_RSRC2:SCRATCH_EN: 0
; COMPUTE_PGM_RSRC2:USER_SGPR: 15
; COMPUTE_PGM_RSRC2:TRAP_HANDLER: 0
; COMPUTE_PGM_RSRC2:TGID_X_EN: 1
; COMPUTE_PGM_RSRC2:TGID_Y_EN: 0
; COMPUTE_PGM_RSRC2:TGID_Z_EN: 0
; COMPUTE_PGM_RSRC2:TIDIG_COMP_CNT: 0
	.section	.text._ZN9rocsparseL26csrgemm_fill_block_per_rowILj1024ELj64ELj4096ELj137ELj32Ell21rocsparse_complex_numIfEEEvT5_PKS3_S5_NS_24const_host_device_scalarIT6_EEPKT4_S5_PKS7_SB_S5_SD_S8_SB_S5_SD_SB_PS3_PS7_21rocsparse_index_base_SG_SG_SG_bbb,"axG",@progbits,_ZN9rocsparseL26csrgemm_fill_block_per_rowILj1024ELj64ELj4096ELj137ELj32Ell21rocsparse_complex_numIfEEEvT5_PKS3_S5_NS_24const_host_device_scalarIT6_EEPKT4_S5_PKS7_SB_S5_SD_S8_SB_S5_SD_SB_PS3_PS7_21rocsparse_index_base_SG_SG_SG_bbb,comdat
	.globl	_ZN9rocsparseL26csrgemm_fill_block_per_rowILj1024ELj64ELj4096ELj137ELj32Ell21rocsparse_complex_numIfEEEvT5_PKS3_S5_NS_24const_host_device_scalarIT6_EEPKT4_S5_PKS7_SB_S5_SD_S8_SB_S5_SD_SB_PS3_PS7_21rocsparse_index_base_SG_SG_SG_bbb ; -- Begin function _ZN9rocsparseL26csrgemm_fill_block_per_rowILj1024ELj64ELj4096ELj137ELj32Ell21rocsparse_complex_numIfEEEvT5_PKS3_S5_NS_24const_host_device_scalarIT6_EEPKT4_S5_PKS7_SB_S5_SD_S8_SB_S5_SD_SB_PS3_PS7_21rocsparse_index_base_SG_SG_SG_bbb
	.p2align	8
	.type	_ZN9rocsparseL26csrgemm_fill_block_per_rowILj1024ELj64ELj4096ELj137ELj32Ell21rocsparse_complex_numIfEEEvT5_PKS3_S5_NS_24const_host_device_scalarIT6_EEPKT4_S5_PKS7_SB_S5_SD_S8_SB_S5_SD_SB_PS3_PS7_21rocsparse_index_base_SG_SG_SG_bbb,@function
_ZN9rocsparseL26csrgemm_fill_block_per_rowILj1024ELj64ELj4096ELj137ELj32Ell21rocsparse_complex_numIfEEEvT5_PKS3_S5_NS_24const_host_device_scalarIT6_EEPKT4_S5_PKS7_SB_S5_SD_S8_SB_S5_SD_SB_PS3_PS7_21rocsparse_index_base_SG_SG_SG_bbb: ; @_ZN9rocsparseL26csrgemm_fill_block_per_rowILj1024ELj64ELj4096ELj137ELj32Ell21rocsparse_complex_numIfEEEvT5_PKS3_S5_NS_24const_host_device_scalarIT6_EEPKT4_S5_PKS7_SB_S5_SD_S8_SB_S5_SD_SB_PS3_PS7_21rocsparse_index_base_SG_SG_SG_bbb
; %bb.0:
	s_mov_b32 s24, s15
	s_clause 0x6
	s_load_b32 s25, s[0:1], 0x98
	s_load_b256 s[36:43], s[0:1], 0x60
	s_load_b256 s[4:11], s[0:1], 0x40
	s_load_b128 s[20:23], s[0:1], 0x8
	s_load_b256 s[12:19], s[0:1], 0x20
	s_load_b64 s[34:35], s[0:1], 0x80
	s_load_b128 s[44:47], s[0:1], 0x88
	s_mov_b32 s3, 0
	s_mov_b32 s27, 0
	s_waitcnt lgkmcnt(0)
	s_bitcmp1_b32 s25, 0
	s_cselect_b32 s29, -1, 0
	s_bitcmp1_b32 s25, 16
	s_cselect_b32 s2, -1, 0
	s_delay_alu instid0(SALU_CYCLE_1) | instskip(SKIP_2) | instid1(VALU_DEP_1)
	s_xor_b32 s26, s2, -1
	s_bitcmp0_b32 s25, 0
	v_cndmask_b32_e64 v1, 0, 1, s26
	v_cmp_ne_u32_e32 vcc_lo, 1, v1
	s_cbranch_scc1 .LBB143_5
; %bb.1:
	s_load_b64 s[2:3], s[0:1], 0x18
	s_and_b32 vcc_lo, exec_lo, vcc_lo
	s_waitcnt lgkmcnt(0)
	s_mov_b32 s27, s2
	s_cbranch_vccnz .LBB143_3
; %bb.2:
	s_load_b32 s27, s[2:3], 0x0
.LBB143_3:
	s_and_not1_b32 vcc_lo, exec_lo, s26
	s_cbranch_vccnz .LBB143_5
; %bb.4:
	s_load_b32 s3, s[2:3], 0x4
.LBB143_5:
	s_bitcmp1_b32 s25, 8
	s_mov_b32 s26, 0
	s_cselect_b32 s28, -1, 0
	s_bfe_u32 s2, s25, 0x10008
	s_delay_alu instid0(SALU_CYCLE_1)
	s_cmp_eq_u32 s2, 0
	s_mov_b32 s2, 0
	s_cbranch_scc1 .LBB143_11
; %bb.6:
	v_cmp_ne_u32_e32 vcc_lo, 1, v1
	s_mov_b32 s2, s8
	s_cbranch_vccnz .LBB143_8
; %bb.7:
	s_load_b32 s2, s[8:9], 0x0
.LBB143_8:
	v_cmp_ne_u32_e32 vcc_lo, 1, v1
	s_cbranch_vccnz .LBB143_10
; %bb.9:
	s_load_b32 s9, s[8:9], 0x4
.LBB143_10:
	s_waitcnt lgkmcnt(0)
	s_mov_b32 s26, s9
.LBB143_11:
	s_load_b64 s[48:49], s[0:1], 0x0
	v_lshl_add_u32 v12, v0, 3, 0
	v_or_b32_e32 v13, 0xfffffc00, v0
	v_mov_b32_e32 v3, 0
	s_mov_b32 s0, 0
	s_delay_alu instid0(VALU_DEP_2)
	v_dual_mov_b32 v4, v12 :: v_dual_mov_b32 v5, v13
	s_waitcnt lgkmcnt(0)
	v_dual_mov_b32 v1, s48 :: v_dual_mov_b32 v2, s49
.LBB143_12:                             ; =>This Inner Loop Header: Depth=1
	s_delay_alu instid0(VALU_DEP_2) | instskip(NEXT) | instid1(VALU_DEP_3)
	v_add_nc_u32_e32 v5, 0x400, v5
	v_add_nc_u32_e32 v6, 0x8000, v4
	ds_store_b64 v4, v[1:2]
	v_add_nc_u32_e32 v4, 0x2000, v4
	v_cmp_lt_u32_e32 vcc_lo, 0xbff, v5
	ds_store_2addr_b32 v6, v3, v3 offset1:1
	s_or_b32 s0, vcc_lo, s0
	s_delay_alu instid0(SALU_CYCLE_1)
	s_and_not1_b32 exec_lo, exec_lo, s0
	s_cbranch_execnz .LBB143_12
; %bb.13:
	s_or_b32 exec_lo, exec_lo, s0
	s_waitcnt lgkmcnt(0)
	s_barrier
	buffer_gl0_inv
	s_load_b64 s[0:1], s[20:21], 0x0
	s_mov_b32 s25, 0
	s_waitcnt lgkmcnt(0)
	s_lshl_b64 s[0:1], s[0:1], 3
	s_delay_alu instid0(SALU_CYCLE_1) | instskip(SKIP_2) | instid1(SALU_CYCLE_1)
	s_add_u32 s8, s22, s0
	s_addc_u32 s9, s23, s1
	s_lshl_b64 s[0:1], s[24:25], 3
	s_add_u32 s0, s8, s0
	s_addc_u32 s1, s9, s1
	s_and_b32 vcc_lo, exec_lo, s29
	s_load_b64 s[50:51], s[0:1], 0x0
	s_cbranch_vccz .LBB143_33
; %bb.14:
	s_waitcnt lgkmcnt(0)
	s_lshl_b64 s[0:1], s[50:51], 3
	v_lshrrev_b32_e32 v1, 6, v0
	s_add_u32 s0, s12, s0
	s_addc_u32 s1, s13, s1
	s_mov_b32 s8, exec_lo
	s_load_b128 s[20:23], s[0:1], 0x0
	v_sub_co_u32 v1, s0, v1, s44
	s_delay_alu instid0(VALU_DEP_1) | instskip(SKIP_1) | instid1(VALU_DEP_2)
	v_sub_co_ci_u32_e64 v2, null, 0, 0, s0
	s_waitcnt lgkmcnt(0)
	v_add_co_u32 v1, vcc_lo, s20, v1
	s_delay_alu instid0(VALU_DEP_2)
	v_add_co_ci_u32_e32 v2, vcc_lo, s21, v2, vcc_lo
	s_sub_u32 s0, s22, s44
	s_subb_u32 s1, s23, 0
	s_delay_alu instid0(VALU_DEP_1) | instid1(SALU_CYCLE_1)
	v_cmpx_gt_i64_e64 s[0:1], v[1:2]
	s_cbranch_execz .LBB143_32
; %bb.15:
	v_and_b32_e32 v3, 63, v0
	s_mov_b32 s12, s45
	s_delay_alu instid0(VALU_DEP_1) | instskip(NEXT) | instid1(VALU_DEP_1)
	v_sub_co_u32 v11, s9, v3, s45
	v_sub_co_ci_u32_e64 v14, null, 0, 0, s9
	s_mov_b32 s9, 0
	s_branch .LBB143_17
.LBB143_16:                             ;   in Loop: Header=BB143_17 Depth=1
	s_or_b32 exec_lo, exec_lo, s13
	v_add_co_u32 v1, vcc_lo, v1, 16
	v_add_co_ci_u32_e32 v2, vcc_lo, 0, v2, vcc_lo
	s_delay_alu instid0(VALU_DEP_1) | instskip(SKIP_1) | instid1(SALU_CYCLE_1)
	v_cmp_le_i64_e32 vcc_lo, s[0:1], v[1:2]
	s_or_b32 s9, vcc_lo, s9
	s_and_not1_b32 exec_lo, exec_lo, s9
	s_cbranch_execz .LBB143_32
.LBB143_17:                             ; =>This Loop Header: Depth=1
                                        ;     Child Loop BB143_20 Depth 2
                                        ;       Child Loop BB143_22 Depth 3
	v_lshlrev_b64 v[7:8], 3, v[1:2]
	s_mov_b32 s13, exec_lo
	s_delay_alu instid0(VALU_DEP_1) | instskip(NEXT) | instid1(VALU_DEP_2)
	v_add_co_u32 v3, vcc_lo, s14, v7
	v_add_co_ci_u32_e32 v4, vcc_lo, s15, v8, vcc_lo
	global_load_b64 v[3:4], v[3:4], off
	s_waitcnt vmcnt(0)
	v_sub_co_u32 v3, vcc_lo, v3, s44
	v_subrev_co_ci_u32_e32 v4, vcc_lo, 0, v4, vcc_lo
	s_delay_alu instid0(VALU_DEP_1) | instskip(NEXT) | instid1(VALU_DEP_1)
	v_lshlrev_b64 v[3:4], 3, v[3:4]
	v_add_co_u32 v3, vcc_lo, s18, v3
	s_delay_alu instid0(VALU_DEP_2)
	v_add_co_ci_u32_e32 v4, vcc_lo, s19, v4, vcc_lo
	global_load_b128 v[15:18], v[3:4], off
	s_waitcnt vmcnt(0)
	v_sub_co_u32 v3, vcc_lo, v17, s12
	v_subrev_co_ci_u32_e32 v4, vcc_lo, 0, v18, vcc_lo
	v_add_co_u32 v5, vcc_lo, v15, v11
	v_add_co_ci_u32_e32 v6, vcc_lo, v16, v14, vcc_lo
	s_delay_alu instid0(VALU_DEP_1)
	v_cmpx_lt_i64_e64 v[5:6], v[3:4]
	s_cbranch_execz .LBB143_16
; %bb.18:                               ;   in Loop: Header=BB143_17 Depth=1
	v_add_co_u32 v7, vcc_lo, s16, v7
	v_add_co_ci_u32_e32 v8, vcc_lo, s17, v8, vcc_lo
	s_mov_b32 s20, 0
	global_load_b64 v[7:8], v[7:8], off
	s_waitcnt vmcnt(0)
	v_mul_f32_e64 v15, v8, -s3
	s_delay_alu instid0(VALU_DEP_1) | instskip(NEXT) | instid1(VALU_DEP_1)
	v_dual_mul_f32 v16, s27, v8 :: v_dual_fmac_f32 v15, s27, v7
	v_fmac_f32_e32 v16, s3, v7
	s_branch .LBB143_20
.LBB143_19:                             ;   in Loop: Header=BB143_20 Depth=2
	s_or_b32 exec_lo, exec_lo, s21
	v_add_co_u32 v5, vcc_lo, v5, 64
	v_add_co_ci_u32_e32 v6, vcc_lo, 0, v6, vcc_lo
	s_delay_alu instid0(VALU_DEP_1) | instskip(SKIP_1) | instid1(SALU_CYCLE_1)
	v_cmp_ge_i64_e32 vcc_lo, v[5:6], v[3:4]
	s_or_b32 s20, vcc_lo, s20
	s_and_not1_b32 exec_lo, exec_lo, s20
	s_cbranch_execz .LBB143_16
.LBB143_20:                             ;   Parent Loop BB143_17 Depth=1
                                        ; =>  This Loop Header: Depth=2
                                        ;       Child Loop BB143_22 Depth 3
	v_lshlrev_b64 v[7:8], 3, v[5:6]
	s_mov_b32 s21, 0
	s_delay_alu instid0(VALU_DEP_1) | instskip(NEXT) | instid1(VALU_DEP_2)
	v_add_co_u32 v9, vcc_lo, s4, v7
	v_add_co_ci_u32_e32 v10, vcc_lo, s5, v8, vcc_lo
	v_add_co_u32 v7, vcc_lo, s6, v7
	v_add_co_ci_u32_e32 v8, vcc_lo, s7, v8, vcc_lo
	global_load_b64 v[9:10], v[9:10], off
	global_load_b64 v[19:20], v[7:8], off
	s_waitcnt vmcnt(1)
	v_sub_co_u32 v7, vcc_lo, v9, s12
	v_subrev_co_ci_u32_e32 v8, vcc_lo, 0, v10, vcc_lo
	s_waitcnt vmcnt(0)
	v_mul_f32_e64 v17, v20, -v16
	s_delay_alu instid0(VALU_DEP_3) | instskip(SKIP_1) | instid1(VALU_DEP_3)
	v_mul_lo_u32 v9, 0x89, v7
	v_mul_f32_e32 v18, v15, v20
	v_fmac_f32_e32 v17, v15, v19
	s_delay_alu instid0(VALU_DEP_2)
	v_dual_fmac_f32 v18, v16, v19 :: v_dual_and_b32 v19, 0xfff, v9
	s_branch .LBB143_22
.LBB143_21:                             ;   in Loop: Header=BB143_22 Depth=3
	s_or_b32 exec_lo, exec_lo, s22
	s_xor_b32 s22, s23, -1
	s_delay_alu instid0(SALU_CYCLE_1) | instskip(NEXT) | instid1(SALU_CYCLE_1)
	s_and_b32 s22, exec_lo, s22
	s_or_b32 s21, s22, s21
	s_delay_alu instid0(SALU_CYCLE_1)
	s_and_not1_b32 exec_lo, exec_lo, s21
	s_cbranch_execz .LBB143_19
.LBB143_22:                             ;   Parent Loop BB143_17 Depth=1
                                        ;     Parent Loop BB143_20 Depth=2
                                        ; =>    This Inner Loop Header: Depth=3
	s_delay_alu instid0(VALU_DEP_1)
	v_lshl_add_u32 v20, v19, 3, 0
	s_mov_b32 s22, exec_lo
                                        ; implicit-def: $sgpr23
	ds_load_b64 v[9:10], v20
	s_waitcnt lgkmcnt(0)
	v_cmpx_ne_u64_e64 v[9:10], v[7:8]
	s_xor_b32 s22, exec_lo, s22
	s_cbranch_execz .LBB143_30
; %bb.23:                               ;   in Loop: Header=BB143_22 Depth=3
	s_mov_b32 s24, exec_lo
                                        ; implicit-def: $sgpr23
	v_cmpx_ne_u64_e64 s[48:49], v[9:10]
	s_xor_b32 s24, exec_lo, s24
; %bb.24:                               ;   in Loop: Header=BB143_22 Depth=3
	v_add_nc_u32_e32 v9, 1, v19
	s_mov_b32 s23, -1
                                        ; implicit-def: $vgpr20
	s_delay_alu instid0(VALU_DEP_1)
	v_and_b32_e32 v19, 0xfff, v9
; %bb.25:                               ;   in Loop: Header=BB143_22 Depth=3
	s_and_not1_saveexec_b32 s24, s24
	s_cbranch_execz .LBB143_29
; %bb.26:                               ;   in Loop: Header=BB143_22 Depth=3
	v_dual_mov_b32 v9, s48 :: v_dual_mov_b32 v10, s49
	s_mov_b32 s25, -1
	s_mov_b32 s29, exec_lo
	ds_cmpstore_rtn_b64 v[9:10], v20, v[7:8], v[9:10]
	s_waitcnt lgkmcnt(0)
	v_cmpx_eq_u64_e64 s[48:49], v[9:10]
	s_cbranch_execz .LBB143_28
; %bb.27:                               ;   in Loop: Header=BB143_22 Depth=3
	ds_add_f32 v20, v17 offset:32768
	ds_add_f32 v20, v18 offset:32772
	s_xor_b32 s25, exec_lo, -1
.LBB143_28:                             ;   in Loop: Header=BB143_22 Depth=3
	s_or_b32 exec_lo, exec_lo, s29
	s_delay_alu instid0(SALU_CYCLE_1) | instskip(SKIP_1) | instid1(SALU_CYCLE_1)
	s_and_not1_b32 s23, s23, exec_lo
	s_and_b32 s25, s25, exec_lo
	s_or_b32 s23, s23, s25
.LBB143_29:                             ;   in Loop: Header=BB143_22 Depth=3
	s_or_b32 exec_lo, exec_lo, s24
	s_delay_alu instid0(SALU_CYCLE_1)
	s_and_b32 s23, s23, exec_lo
                                        ; implicit-def: $vgpr20
.LBB143_30:                             ;   in Loop: Header=BB143_22 Depth=3
	s_and_not1_saveexec_b32 s22, s22
	s_cbranch_execz .LBB143_21
; %bb.31:                               ;   in Loop: Header=BB143_22 Depth=3
	ds_add_f32 v20, v17 offset:32768
	ds_add_f32 v20, v18 offset:32772
	s_and_not1_b32 s23, s23, exec_lo
	s_branch .LBB143_21
.LBB143_32:
	s_or_b32 exec_lo, exec_lo, s8
.LBB143_33:
	s_delay_alu instid0(SALU_CYCLE_1)
	s_and_not1_b32 vcc_lo, exec_lo, s28
	s_cbranch_vccnz .LBB143_50
; %bb.34:
	s_waitcnt lgkmcnt(0)
	s_lshl_b64 s[0:1], s[50:51], 3
	s_mov_b32 s3, 0
	s_add_u32 s0, s10, s0
	s_addc_u32 s1, s11, s1
	s_load_b128 s[4:7], s[0:1], 0x0
	v_sub_co_u32 v1, s0, v0, s47
	s_delay_alu instid0(VALU_DEP_1) | instskip(SKIP_1) | instid1(VALU_DEP_2)
	v_sub_co_ci_u32_e64 v2, null, 0, 0, s0
	s_waitcnt lgkmcnt(0)
	v_add_co_u32 v1, vcc_lo, s4, v1
	s_delay_alu instid0(VALU_DEP_2) | instskip(SKIP_3) | instid1(VALU_DEP_1)
	v_add_co_ci_u32_e32 v2, vcc_lo, s5, v2, vcc_lo
	s_sub_u32 s0, s6, s47
	s_subb_u32 s1, s7, 0
	s_mov_b32 s4, exec_lo
	v_cmpx_gt_i64_e64 s[0:1], v[1:2]
	s_cbranch_execz .LBB143_49
; %bb.35:
	s_mov_b32 s5, s47
	s_branch .LBB143_37
.LBB143_36:                             ;   in Loop: Header=BB143_37 Depth=1
	s_or_b32 exec_lo, exec_lo, s6
	v_add_co_u32 v1, vcc_lo, 0x400, v1
	v_add_co_ci_u32_e32 v2, vcc_lo, 0, v2, vcc_lo
	s_delay_alu instid0(VALU_DEP_1) | instskip(SKIP_1) | instid1(SALU_CYCLE_1)
	v_cmp_le_i64_e32 vcc_lo, s[0:1], v[1:2]
	s_or_b32 s3, vcc_lo, s3
	s_and_not1_b32 exec_lo, exec_lo, s3
	s_cbranch_execz .LBB143_49
.LBB143_37:                             ; =>This Loop Header: Depth=1
                                        ;     Child Loop BB143_39 Depth 2
	v_lshlrev_b64 v[3:4], 3, v[1:2]
	s_mov_b32 s6, 0
	s_delay_alu instid0(VALU_DEP_1) | instskip(NEXT) | instid1(VALU_DEP_2)
	v_add_co_u32 v5, vcc_lo, s36, v3
	v_add_co_ci_u32_e32 v6, vcc_lo, s37, v4, vcc_lo
	v_add_co_u32 v3, vcc_lo, s38, v3
	v_add_co_ci_u32_e32 v4, vcc_lo, s39, v4, vcc_lo
	global_load_b64 v[5:6], v[5:6], off
	global_load_b64 v[9:10], v[3:4], off
	s_waitcnt vmcnt(1)
	v_sub_co_u32 v3, vcc_lo, v5, s5
	v_subrev_co_ci_u32_e32 v4, vcc_lo, 0, v6, vcc_lo
	s_waitcnt vmcnt(0)
	v_mul_f32_e64 v7, v10, -s26
	s_delay_alu instid0(VALU_DEP_3) | instskip(NEXT) | instid1(VALU_DEP_2)
	v_mul_lo_u32 v5, 0x89, v3
	v_dual_mul_f32 v8, s2, v10 :: v_dual_fmac_f32 v7, s2, v9
	s_delay_alu instid0(VALU_DEP_1) | instskip(NEXT) | instid1(VALU_DEP_3)
	v_fmac_f32_e32 v8, s26, v9
	v_and_b32_e32 v9, 0xfff, v5
	s_branch .LBB143_39
.LBB143_38:                             ;   in Loop: Header=BB143_39 Depth=2
	s_or_b32 exec_lo, exec_lo, s7
	s_xor_b32 s7, s8, -1
	s_delay_alu instid0(SALU_CYCLE_1) | instskip(NEXT) | instid1(SALU_CYCLE_1)
	s_and_b32 s7, exec_lo, s7
	s_or_b32 s6, s7, s6
	s_delay_alu instid0(SALU_CYCLE_1)
	s_and_not1_b32 exec_lo, exec_lo, s6
	s_cbranch_execz .LBB143_36
.LBB143_39:                             ;   Parent Loop BB143_37 Depth=1
                                        ; =>  This Inner Loop Header: Depth=2
	s_delay_alu instid0(VALU_DEP_1)
	v_lshl_add_u32 v10, v9, 3, 0
	s_mov_b32 s7, exec_lo
                                        ; implicit-def: $sgpr8
	ds_load_b64 v[5:6], v10
	s_waitcnt lgkmcnt(0)
	v_cmpx_ne_u64_e64 v[5:6], v[3:4]
	s_xor_b32 s7, exec_lo, s7
	s_cbranch_execz .LBB143_47
; %bb.40:                               ;   in Loop: Header=BB143_39 Depth=2
	s_mov_b32 s9, exec_lo
                                        ; implicit-def: $sgpr8
	v_cmpx_ne_u64_e64 s[48:49], v[5:6]
	s_xor_b32 s9, exec_lo, s9
; %bb.41:                               ;   in Loop: Header=BB143_39 Depth=2
	v_add_nc_u32_e32 v5, 1, v9
	s_mov_b32 s8, -1
                                        ; implicit-def: $vgpr10
	s_delay_alu instid0(VALU_DEP_1)
	v_and_b32_e32 v9, 0xfff, v5
; %bb.42:                               ;   in Loop: Header=BB143_39 Depth=2
	s_and_not1_saveexec_b32 s9, s9
	s_cbranch_execz .LBB143_46
; %bb.43:                               ;   in Loop: Header=BB143_39 Depth=2
	v_dual_mov_b32 v5, s48 :: v_dual_mov_b32 v6, s49
	s_mov_b32 s10, -1
	s_mov_b32 s11, exec_lo
	ds_cmpstore_rtn_b64 v[5:6], v10, v[3:4], v[5:6]
	s_waitcnt lgkmcnt(0)
	v_cmpx_eq_u64_e64 s[48:49], v[5:6]
	s_cbranch_execz .LBB143_45
; %bb.44:                               ;   in Loop: Header=BB143_39 Depth=2
	ds_add_f32 v10, v7 offset:32768
	ds_add_f32 v10, v8 offset:32772
	s_xor_b32 s10, exec_lo, -1
.LBB143_45:                             ;   in Loop: Header=BB143_39 Depth=2
	s_or_b32 exec_lo, exec_lo, s11
	s_delay_alu instid0(SALU_CYCLE_1) | instskip(SKIP_1) | instid1(SALU_CYCLE_1)
	s_and_not1_b32 s8, s8, exec_lo
	s_and_b32 s10, s10, exec_lo
	s_or_b32 s8, s8, s10
.LBB143_46:                             ;   in Loop: Header=BB143_39 Depth=2
	s_or_b32 exec_lo, exec_lo, s9
	s_delay_alu instid0(SALU_CYCLE_1)
	s_and_b32 s8, s8, exec_lo
                                        ; implicit-def: $vgpr10
.LBB143_47:                             ;   in Loop: Header=BB143_39 Depth=2
	s_and_not1_saveexec_b32 s7, s7
	s_cbranch_execz .LBB143_38
; %bb.48:                               ;   in Loop: Header=BB143_39 Depth=2
	ds_add_f32 v10, v7 offset:32768
	ds_add_f32 v10, v8 offset:32772
	s_and_not1_b32 s8, s8, exec_lo
	s_branch .LBB143_38
.LBB143_49:
	s_or_b32 exec_lo, exec_lo, s4
.LBB143_50:
	v_mbcnt_lo_u32_b32 v1, -1, 0
	v_lshrrev_b32_e32 v2, 2, v0
	s_add_i32 s73, 0, 0x100f8
	v_cmp_eq_u32_e32 vcc_lo, 0x3ff, v0
	v_cmp_lt_u32_e64 s0, 31, v0
	v_xor_b32_e32 v1, 63, v1
	v_and_b32_e32 v3, 0xf8, v2
	v_cmp_lt_u32_e64 s1, 63, v0
	v_cmp_lt_u32_e64 s2, 0x5f, v0
	;; [unrolled: 1-line block ×3, first 2 shown]
	v_lshrrev_b64 v[1:2], v1, -1
	v_add3_u32 v14, 0, 0x10000, v3
	v_dual_mov_b32 v2, 0 :: v_dual_mov_b32 v5, 0
	v_cmp_lt_u32_e64 s4, 0x9f, v0
	v_cmp_lt_u32_e64 s5, 0xbf, v0
	;; [unrolled: 1-line block ×27, first 2 shown]
	v_mov_b32_e32 v3, 0
	v_mov_b32_e32 v15, s73
	s_mov_b32 s36, 0
	s_add_i32 s37, 0, 0x10000
	s_add_i32 s38, 0, 0x10008
	;; [unrolled: 1-line block ×31, first 2 shown]
	s_waitcnt lgkmcnt(0)
	s_barrier
	buffer_gl0_inv
	s_branch .LBB143_52
.LBB143_51:                             ;   in Loop: Header=BB143_52 Depth=1
	s_or_b32 exec_lo, exec_lo, s31
	s_waitcnt lgkmcnt(0)
	s_barrier
	buffer_gl0_inv
	ds_load_b64 v[6:7], v15
	v_add_nc_u32_e32 v13, 0x400, v13
	v_add_nc_u32_e32 v12, 0x2000, v12
	s_delay_alu instid0(VALU_DEP_2) | instskip(NEXT) | instid1(VALU_DEP_1)
	v_cmp_lt_u32_e64 s31, 0xbff, v13
	s_or_b32 s36, s31, s36
	s_waitcnt lgkmcnt(0)
	v_add_co_u32 v2, s33, v6, v2
	s_delay_alu instid0(VALU_DEP_1)
	v_add_co_ci_u32_e64 v3, s33, v7, v3, s33
	s_and_not1_b32 exec_lo, exec_lo, s36
	s_cbranch_execz .LBB143_118
.LBB143_52:                             ; =>This Inner Loop Header: Depth=1
	ds_load_b64 v[6:7], v12
	v_add_nc_u32_e32 v4, 0x8000, v12
	ds_load_2addr_b32 v[8:9], v4 offset1:1
	s_waitcnt lgkmcnt(0)
	s_barrier
	buffer_gl0_inv
	v_cmp_gt_i64_e64 s31, s[48:49], v[6:7]
	s_delay_alu instid0(VALU_DEP_1) | instskip(SKIP_1) | instid1(SALU_CYCLE_1)
	v_and_b32_e32 v10, s31, v1
	s_bcnt1_i32_b32 s33, s31
	v_mov_b32_e32 v4, s33
	s_delay_alu instid0(VALU_DEP_2)
	v_bcnt_u32_b32 v10, v10, 0
	ds_store_b64 v14, v[4:5]
	s_waitcnt lgkmcnt(0)
	s_barrier
	buffer_gl0_inv
	s_and_saveexec_b32 s33, s0
	s_cbranch_execnz .LBB143_85
; %bb.53:                               ;   in Loop: Header=BB143_52 Depth=1
	s_or_b32 exec_lo, exec_lo, s33
	s_and_saveexec_b32 s33, s1
	s_cbranch_execnz .LBB143_86
.LBB143_54:                             ;   in Loop: Header=BB143_52 Depth=1
	s_or_b32 exec_lo, exec_lo, s33
	s_and_saveexec_b32 s33, s2
	s_cbranch_execnz .LBB143_87
.LBB143_55:                             ;   in Loop: Header=BB143_52 Depth=1
	s_or_b32 exec_lo, exec_lo, s33
	s_and_saveexec_b32 s33, s3
	s_cbranch_execnz .LBB143_88
.LBB143_56:                             ;   in Loop: Header=BB143_52 Depth=1
	s_or_b32 exec_lo, exec_lo, s33
	s_and_saveexec_b32 s33, s4
	s_cbranch_execnz .LBB143_89
.LBB143_57:                             ;   in Loop: Header=BB143_52 Depth=1
	s_or_b32 exec_lo, exec_lo, s33
	s_and_saveexec_b32 s33, s5
	s_cbranch_execnz .LBB143_90
.LBB143_58:                             ;   in Loop: Header=BB143_52 Depth=1
	s_or_b32 exec_lo, exec_lo, s33
	s_and_saveexec_b32 s33, s6
	s_cbranch_execnz .LBB143_91
.LBB143_59:                             ;   in Loop: Header=BB143_52 Depth=1
	s_or_b32 exec_lo, exec_lo, s33
	s_and_saveexec_b32 s33, s7
	s_cbranch_execnz .LBB143_92
.LBB143_60:                             ;   in Loop: Header=BB143_52 Depth=1
	s_or_b32 exec_lo, exec_lo, s33
	s_and_saveexec_b32 s33, s8
	s_cbranch_execnz .LBB143_93
.LBB143_61:                             ;   in Loop: Header=BB143_52 Depth=1
	s_or_b32 exec_lo, exec_lo, s33
	s_and_saveexec_b32 s33, s9
	s_cbranch_execnz .LBB143_94
.LBB143_62:                             ;   in Loop: Header=BB143_52 Depth=1
	s_or_b32 exec_lo, exec_lo, s33
	s_and_saveexec_b32 s33, s10
	s_cbranch_execnz .LBB143_95
.LBB143_63:                             ;   in Loop: Header=BB143_52 Depth=1
	s_or_b32 exec_lo, exec_lo, s33
	s_and_saveexec_b32 s33, s11
	s_cbranch_execnz .LBB143_96
.LBB143_64:                             ;   in Loop: Header=BB143_52 Depth=1
	s_or_b32 exec_lo, exec_lo, s33
	s_and_saveexec_b32 s33, s12
	s_cbranch_execnz .LBB143_97
.LBB143_65:                             ;   in Loop: Header=BB143_52 Depth=1
	s_or_b32 exec_lo, exec_lo, s33
	s_and_saveexec_b32 s33, s13
	s_cbranch_execnz .LBB143_98
.LBB143_66:                             ;   in Loop: Header=BB143_52 Depth=1
	s_or_b32 exec_lo, exec_lo, s33
	s_and_saveexec_b32 s33, s14
	s_cbranch_execnz .LBB143_99
.LBB143_67:                             ;   in Loop: Header=BB143_52 Depth=1
	s_or_b32 exec_lo, exec_lo, s33
	s_and_saveexec_b32 s33, s15
	s_cbranch_execnz .LBB143_100
.LBB143_68:                             ;   in Loop: Header=BB143_52 Depth=1
	s_or_b32 exec_lo, exec_lo, s33
	s_and_saveexec_b32 s33, s16
	s_cbranch_execnz .LBB143_101
.LBB143_69:                             ;   in Loop: Header=BB143_52 Depth=1
	s_or_b32 exec_lo, exec_lo, s33
	s_and_saveexec_b32 s33, s17
	s_cbranch_execnz .LBB143_102
.LBB143_70:                             ;   in Loop: Header=BB143_52 Depth=1
	s_or_b32 exec_lo, exec_lo, s33
	s_and_saveexec_b32 s33, s18
	s_cbranch_execnz .LBB143_103
.LBB143_71:                             ;   in Loop: Header=BB143_52 Depth=1
	s_or_b32 exec_lo, exec_lo, s33
	s_and_saveexec_b32 s33, s19
	s_cbranch_execnz .LBB143_104
.LBB143_72:                             ;   in Loop: Header=BB143_52 Depth=1
	s_or_b32 exec_lo, exec_lo, s33
	s_and_saveexec_b32 s33, s20
	s_cbranch_execnz .LBB143_105
.LBB143_73:                             ;   in Loop: Header=BB143_52 Depth=1
	s_or_b32 exec_lo, exec_lo, s33
	s_and_saveexec_b32 s33, s21
	s_cbranch_execnz .LBB143_106
.LBB143_74:                             ;   in Loop: Header=BB143_52 Depth=1
	s_or_b32 exec_lo, exec_lo, s33
	s_and_saveexec_b32 s33, s22
	s_cbranch_execnz .LBB143_107
.LBB143_75:                             ;   in Loop: Header=BB143_52 Depth=1
	s_or_b32 exec_lo, exec_lo, s33
	s_and_saveexec_b32 s33, s23
	s_cbranch_execnz .LBB143_108
.LBB143_76:                             ;   in Loop: Header=BB143_52 Depth=1
	s_or_b32 exec_lo, exec_lo, s33
	s_and_saveexec_b32 s33, s24
	s_cbranch_execnz .LBB143_109
.LBB143_77:                             ;   in Loop: Header=BB143_52 Depth=1
	s_or_b32 exec_lo, exec_lo, s33
	s_and_saveexec_b32 s33, s25
	s_cbranch_execnz .LBB143_110
.LBB143_78:                             ;   in Loop: Header=BB143_52 Depth=1
	s_or_b32 exec_lo, exec_lo, s33
	s_and_saveexec_b32 s33, s26
	s_cbranch_execnz .LBB143_111
.LBB143_79:                             ;   in Loop: Header=BB143_52 Depth=1
	s_or_b32 exec_lo, exec_lo, s33
	s_and_saveexec_b32 s33, s27
	s_cbranch_execnz .LBB143_112
.LBB143_80:                             ;   in Loop: Header=BB143_52 Depth=1
	s_or_b32 exec_lo, exec_lo, s33
	s_and_saveexec_b32 s33, s28
	s_cbranch_execnz .LBB143_113
.LBB143_81:                             ;   in Loop: Header=BB143_52 Depth=1
	s_or_b32 exec_lo, exec_lo, s33
	s_and_saveexec_b32 s33, s29
	s_cbranch_execnz .LBB143_114
.LBB143_82:                             ;   in Loop: Header=BB143_52 Depth=1
	s_or_b32 exec_lo, exec_lo, s33
	s_and_saveexec_b32 s33, s30
	s_cbranch_execnz .LBB143_115
.LBB143_83:                             ;   in Loop: Header=BB143_52 Depth=1
	s_or_b32 exec_lo, exec_lo, s33
	v_ashrrev_i32_e32 v11, 31, v10
	s_and_saveexec_b32 s33, s31
	s_cbranch_execnz .LBB143_116
.LBB143_84:                             ;   in Loop: Header=BB143_52 Depth=1
	s_or_b32 exec_lo, exec_lo, s33
	s_and_saveexec_b32 s31, vcc_lo
	s_cbranch_execz .LBB143_51
	s_branch .LBB143_117
.LBB143_85:                             ;   in Loop: Header=BB143_52 Depth=1
	v_mov_b32_e32 v4, s37
	ds_load_b32 v4, v4
	s_waitcnt lgkmcnt(0)
	v_add_nc_u32_e32 v10, v4, v10
	s_or_b32 exec_lo, exec_lo, s33
	s_and_saveexec_b32 s33, s1
	s_cbranch_execz .LBB143_54
.LBB143_86:                             ;   in Loop: Header=BB143_52 Depth=1
	v_mov_b32_e32 v4, s38
	ds_load_b32 v4, v4
	s_waitcnt lgkmcnt(0)
	v_add_nc_u32_e32 v10, v10, v4
	s_or_b32 exec_lo, exec_lo, s33
	s_and_saveexec_b32 s33, s2
	s_cbranch_execz .LBB143_55
.LBB143_87:                             ;   in Loop: Header=BB143_52 Depth=1
	v_mov_b32_e32 v4, s39
	ds_load_b32 v4, v4
	s_waitcnt lgkmcnt(0)
	v_add_nc_u32_e32 v10, v10, v4
	s_or_b32 exec_lo, exec_lo, s33
	s_and_saveexec_b32 s33, s3
	s_cbranch_execz .LBB143_56
.LBB143_88:                             ;   in Loop: Header=BB143_52 Depth=1
	v_mov_b32_e32 v4, s44
	ds_load_b32 v4, v4
	s_waitcnt lgkmcnt(0)
	v_add_nc_u32_e32 v10, v10, v4
	s_or_b32 exec_lo, exec_lo, s33
	s_and_saveexec_b32 s33, s4
	s_cbranch_execz .LBB143_57
.LBB143_89:                             ;   in Loop: Header=BB143_52 Depth=1
	v_mov_b32_e32 v4, s45
	ds_load_b32 v4, v4
	s_waitcnt lgkmcnt(0)
	v_add_nc_u32_e32 v10, v10, v4
	s_or_b32 exec_lo, exec_lo, s33
	s_and_saveexec_b32 s33, s5
	s_cbranch_execz .LBB143_58
.LBB143_90:                             ;   in Loop: Header=BB143_52 Depth=1
	v_mov_b32_e32 v4, s47
	ds_load_b32 v4, v4
	s_waitcnt lgkmcnt(0)
	v_add_nc_u32_e32 v10, v10, v4
	s_or_b32 exec_lo, exec_lo, s33
	s_and_saveexec_b32 s33, s6
	s_cbranch_execz .LBB143_59
.LBB143_91:                             ;   in Loop: Header=BB143_52 Depth=1
	v_mov_b32_e32 v4, s52
	ds_load_b32 v4, v4
	s_waitcnt lgkmcnt(0)
	v_add_nc_u32_e32 v10, v10, v4
	s_or_b32 exec_lo, exec_lo, s33
	s_and_saveexec_b32 s33, s7
	s_cbranch_execz .LBB143_60
.LBB143_92:                             ;   in Loop: Header=BB143_52 Depth=1
	v_mov_b32_e32 v4, s53
	ds_load_b32 v4, v4
	s_waitcnt lgkmcnt(0)
	v_add_nc_u32_e32 v10, v10, v4
	s_or_b32 exec_lo, exec_lo, s33
	s_and_saveexec_b32 s33, s8
	s_cbranch_execz .LBB143_61
.LBB143_93:                             ;   in Loop: Header=BB143_52 Depth=1
	v_mov_b32_e32 v4, s54
	ds_load_b32 v4, v4
	s_waitcnt lgkmcnt(0)
	v_add_nc_u32_e32 v10, v10, v4
	s_or_b32 exec_lo, exec_lo, s33
	s_and_saveexec_b32 s33, s9
	s_cbranch_execz .LBB143_62
.LBB143_94:                             ;   in Loop: Header=BB143_52 Depth=1
	v_mov_b32_e32 v4, s55
	ds_load_b32 v4, v4
	s_waitcnt lgkmcnt(0)
	v_add_nc_u32_e32 v10, v10, v4
	s_or_b32 exec_lo, exec_lo, s33
	s_and_saveexec_b32 s33, s10
	s_cbranch_execz .LBB143_63
.LBB143_95:                             ;   in Loop: Header=BB143_52 Depth=1
	v_mov_b32_e32 v4, s56
	ds_load_b32 v4, v4
	s_waitcnt lgkmcnt(0)
	v_add_nc_u32_e32 v10, v10, v4
	s_or_b32 exec_lo, exec_lo, s33
	s_and_saveexec_b32 s33, s11
	s_cbranch_execz .LBB143_64
.LBB143_96:                             ;   in Loop: Header=BB143_52 Depth=1
	v_mov_b32_e32 v4, s57
	ds_load_b32 v4, v4
	s_waitcnt lgkmcnt(0)
	v_add_nc_u32_e32 v10, v10, v4
	s_or_b32 exec_lo, exec_lo, s33
	s_and_saveexec_b32 s33, s12
	s_cbranch_execz .LBB143_65
.LBB143_97:                             ;   in Loop: Header=BB143_52 Depth=1
	v_mov_b32_e32 v4, s58
	ds_load_b32 v4, v4
	s_waitcnt lgkmcnt(0)
	v_add_nc_u32_e32 v10, v10, v4
	s_or_b32 exec_lo, exec_lo, s33
	s_and_saveexec_b32 s33, s13
	s_cbranch_execz .LBB143_66
.LBB143_98:                             ;   in Loop: Header=BB143_52 Depth=1
	v_mov_b32_e32 v4, s59
	ds_load_b32 v4, v4
	s_waitcnt lgkmcnt(0)
	v_add_nc_u32_e32 v10, v10, v4
	s_or_b32 exec_lo, exec_lo, s33
	s_and_saveexec_b32 s33, s14
	s_cbranch_execz .LBB143_67
.LBB143_99:                             ;   in Loop: Header=BB143_52 Depth=1
	v_mov_b32_e32 v4, s60
	ds_load_b32 v4, v4
	s_waitcnt lgkmcnt(0)
	v_add_nc_u32_e32 v10, v10, v4
	s_or_b32 exec_lo, exec_lo, s33
	s_and_saveexec_b32 s33, s15
	s_cbranch_execz .LBB143_68
.LBB143_100:                            ;   in Loop: Header=BB143_52 Depth=1
	v_mov_b32_e32 v4, s61
	ds_load_b32 v4, v4
	s_waitcnt lgkmcnt(0)
	v_add_nc_u32_e32 v10, v10, v4
	s_or_b32 exec_lo, exec_lo, s33
	s_and_saveexec_b32 s33, s16
	s_cbranch_execz .LBB143_69
.LBB143_101:                            ;   in Loop: Header=BB143_52 Depth=1
	v_mov_b32_e32 v4, s62
	ds_load_b32 v4, v4
	s_waitcnt lgkmcnt(0)
	v_add_nc_u32_e32 v10, v10, v4
	s_or_b32 exec_lo, exec_lo, s33
	s_and_saveexec_b32 s33, s17
	s_cbranch_execz .LBB143_70
.LBB143_102:                            ;   in Loop: Header=BB143_52 Depth=1
	v_mov_b32_e32 v4, s63
	ds_load_b32 v4, v4
	s_waitcnt lgkmcnt(0)
	v_add_nc_u32_e32 v10, v10, v4
	s_or_b32 exec_lo, exec_lo, s33
	s_and_saveexec_b32 s33, s18
	s_cbranch_execz .LBB143_71
.LBB143_103:                            ;   in Loop: Header=BB143_52 Depth=1
	v_mov_b32_e32 v4, s64
	ds_load_b32 v4, v4
	s_waitcnt lgkmcnt(0)
	v_add_nc_u32_e32 v10, v10, v4
	s_or_b32 exec_lo, exec_lo, s33
	s_and_saveexec_b32 s33, s19
	s_cbranch_execz .LBB143_72
.LBB143_104:                            ;   in Loop: Header=BB143_52 Depth=1
	v_mov_b32_e32 v4, s65
	ds_load_b32 v4, v4
	s_waitcnt lgkmcnt(0)
	v_add_nc_u32_e32 v10, v10, v4
	s_or_b32 exec_lo, exec_lo, s33
	s_and_saveexec_b32 s33, s20
	s_cbranch_execz .LBB143_73
.LBB143_105:                            ;   in Loop: Header=BB143_52 Depth=1
	v_mov_b32_e32 v4, s66
	ds_load_b32 v4, v4
	s_waitcnt lgkmcnt(0)
	v_add_nc_u32_e32 v10, v10, v4
	s_or_b32 exec_lo, exec_lo, s33
	s_and_saveexec_b32 s33, s21
	s_cbranch_execz .LBB143_74
.LBB143_106:                            ;   in Loop: Header=BB143_52 Depth=1
	v_mov_b32_e32 v4, s67
	ds_load_b32 v4, v4
	s_waitcnt lgkmcnt(0)
	v_add_nc_u32_e32 v10, v10, v4
	s_or_b32 exec_lo, exec_lo, s33
	s_and_saveexec_b32 s33, s22
	s_cbranch_execz .LBB143_75
.LBB143_107:                            ;   in Loop: Header=BB143_52 Depth=1
	v_mov_b32_e32 v4, s68
	ds_load_b32 v4, v4
	s_waitcnt lgkmcnt(0)
	v_add_nc_u32_e32 v10, v10, v4
	s_or_b32 exec_lo, exec_lo, s33
	s_and_saveexec_b32 s33, s23
	s_cbranch_execz .LBB143_76
.LBB143_108:                            ;   in Loop: Header=BB143_52 Depth=1
	v_mov_b32_e32 v4, s69
	ds_load_b32 v4, v4
	s_waitcnt lgkmcnt(0)
	v_add_nc_u32_e32 v10, v10, v4
	s_or_b32 exec_lo, exec_lo, s33
	s_and_saveexec_b32 s33, s24
	s_cbranch_execz .LBB143_77
.LBB143_109:                            ;   in Loop: Header=BB143_52 Depth=1
	v_mov_b32_e32 v4, s70
	ds_load_b32 v4, v4
	s_waitcnt lgkmcnt(0)
	v_add_nc_u32_e32 v10, v10, v4
	s_or_b32 exec_lo, exec_lo, s33
	s_and_saveexec_b32 s33, s25
	s_cbranch_execz .LBB143_78
.LBB143_110:                            ;   in Loop: Header=BB143_52 Depth=1
	v_mov_b32_e32 v4, s71
	ds_load_b32 v4, v4
	s_waitcnt lgkmcnt(0)
	v_add_nc_u32_e32 v10, v10, v4
	s_or_b32 exec_lo, exec_lo, s33
	s_and_saveexec_b32 s33, s26
	s_cbranch_execz .LBB143_79
.LBB143_111:                            ;   in Loop: Header=BB143_52 Depth=1
	v_mov_b32_e32 v4, s72
	ds_load_b32 v4, v4
	s_waitcnt lgkmcnt(0)
	v_add_nc_u32_e32 v10, v10, v4
	s_or_b32 exec_lo, exec_lo, s33
	s_and_saveexec_b32 s33, s27
	s_cbranch_execz .LBB143_80
.LBB143_112:                            ;   in Loop: Header=BB143_52 Depth=1
	v_mov_b32_e32 v4, s74
	ds_load_b32 v4, v4
	s_waitcnt lgkmcnt(0)
	v_add_nc_u32_e32 v10, v10, v4
	s_or_b32 exec_lo, exec_lo, s33
	s_and_saveexec_b32 s33, s28
	s_cbranch_execz .LBB143_81
.LBB143_113:                            ;   in Loop: Header=BB143_52 Depth=1
	v_mov_b32_e32 v4, s75
	ds_load_b32 v4, v4
	s_waitcnt lgkmcnt(0)
	v_add_nc_u32_e32 v10, v10, v4
	s_or_b32 exec_lo, exec_lo, s33
	s_and_saveexec_b32 s33, s29
	s_cbranch_execz .LBB143_82
.LBB143_114:                            ;   in Loop: Header=BB143_52 Depth=1
	v_mov_b32_e32 v4, s76
	ds_load_b32 v4, v4
	s_waitcnt lgkmcnt(0)
	v_add_nc_u32_e32 v10, v10, v4
	s_or_b32 exec_lo, exec_lo, s33
	s_and_saveexec_b32 s33, s30
	s_cbranch_execz .LBB143_83
.LBB143_115:                            ;   in Loop: Header=BB143_52 Depth=1
	v_mov_b32_e32 v4, s77
	ds_load_b32 v4, v4
	s_waitcnt lgkmcnt(0)
	v_add_nc_u32_e32 v10, v10, v4
	s_or_b32 exec_lo, exec_lo, s33
	s_delay_alu instid0(VALU_DEP_1)
	v_ashrrev_i32_e32 v11, 31, v10
	s_and_saveexec_b32 s33, s31
	s_cbranch_execz .LBB143_84
.LBB143_116:                            ;   in Loop: Header=BB143_52 Depth=1
	v_add3_u32 v4, v2, -1, v10
	s_delay_alu instid0(VALU_DEP_1) | instskip(NEXT) | instid1(VALU_DEP_1)
	v_lshl_add_u32 v4, v4, 3, 0
	v_add_nc_u32_e32 v16, 0x8000, v4
	ds_store_b64 v4, v[6:7]
	ds_store_2addr_b32 v16, v8, v9 offset1:1
	s_or_b32 exec_lo, exec_lo, s33
	s_and_saveexec_b32 s31, vcc_lo
	s_cbranch_execz .LBB143_51
.LBB143_117:                            ;   in Loop: Header=BB143_52 Depth=1
	v_mov_b32_e32 v4, s73
	ds_store_b64 v4, v[10:11]
	s_branch .LBB143_51
.LBB143_118:
	s_or_b32 exec_lo, exec_lo, s36
	s_lshl_b64 s[0:1], s[50:51], 3
	v_mov_b32_e32 v1, 0
	s_add_u32 s0, s40, s0
	s_addc_u32 s1, s41, s1
	s_mov_b32 s6, exec_lo
	s_load_b128 s[0:3], s[0:1], 0x0
	s_waitcnt lgkmcnt(0)
	s_sub_u32 s4, s2, s0
	s_subb_u32 s5, s3, s1
	s_delay_alu instid0(SALU_CYCLE_1)
	v_cmpx_gt_i64_e64 s[4:5], v[0:1]
	s_cbranch_execz .LBB143_128
; %bb.119:
	s_sub_u32 s8, s0, s46
	s_subb_u32 s9, s1, 0
	s_and_b32 s6, s4, 7
	s_sub_u32 s0, s0, s2
	s_subb_u32 s1, s1, s3
	s_mov_b32 s7, 0
	v_cmp_lt_u64_e64 s12, s[0:1], -7
	s_and_b32 s2, s4, -8
	s_cmp_lg_u64 s[6:7], 0
	s_mov_b32 s3, s5
	s_cselect_b32 s13, -1, 0
	s_mov_b32 s14, s7
	s_branch .LBB143_121
.LBB143_120:                            ;   in Loop: Header=BB143_121 Depth=1
	s_waitcnt lgkmcnt(1)
	v_add_co_u32 v4, vcc_lo, v4, s46
	v_lshlrev_b64 v[6:7], 3, v[6:7]
	v_add_co_ci_u32_e32 v5, vcc_lo, 0, v5, vcc_lo
	v_add_co_u32 v0, vcc_lo, 0x400, v0
	v_add_co_ci_u32_e32 v1, vcc_lo, 0, v1, vcc_lo
	s_delay_alu instid0(VALU_DEP_4) | instskip(SKIP_1) | instid1(VALU_DEP_3)
	v_add_co_u32 v8, vcc_lo, s42, v6
	v_add_co_ci_u32_e32 v9, vcc_lo, s43, v7, vcc_lo
	v_cmp_le_i64_e32 vcc_lo, s[4:5], v[0:1]
	v_add_co_u32 v6, s0, s34, v6
	s_delay_alu instid0(VALU_DEP_1) | instskip(SKIP_4) | instid1(SALU_CYCLE_1)
	v_add_co_ci_u32_e64 v7, s0, s35, v7, s0
	global_store_b64 v[8:9], v[4:5], off
	s_waitcnt lgkmcnt(0)
	global_store_b64 v[6:7], v[2:3], off
	s_or_b32 s14, vcc_lo, s14
	s_and_not1_b32 exec_lo, exec_lo, s14
	s_cbranch_execz .LBB143_128
.LBB143_121:                            ; =>This Loop Header: Depth=1
                                        ;     Child Loop BB143_123 Depth 2
                                        ;     Child Loop BB143_127 Depth 2
	v_lshl_add_u32 v2, v0, 3, 0
	s_and_not1_b32 vcc_lo, exec_lo, s12
	s_mov_b64 s[0:1], 0
	v_dual_mov_b32 v6, s8 :: v_dual_mov_b32 v7, s9
	s_delay_alu instid0(VALU_DEP_2)
	v_add_nc_u32_e32 v3, 0x8000, v2
	ds_load_b64 v[4:5], v2
	ds_load_2addr_b32 v[2:3], v3 offset1:1
	s_cbranch_vccnz .LBB143_125
; %bb.122:                              ;   in Loop: Header=BB143_121 Depth=1
	v_dual_mov_b32 v6, s8 :: v_dual_mov_b32 v7, s9
	s_mov_b64 s[10:11], 0
	s_mov_b32 s1, 0
.LBB143_123:                            ;   Parent Loop BB143_121 Depth=1
                                        ; =>  This Inner Loop Header: Depth=2
	s_delay_alu instid0(SALU_CYCLE_1)
	v_mov_b32_e32 v20, s1
	s_add_u32 s10, s10, 8
	s_addc_u32 s11, s11, 0
	s_add_i32 s1, s1, 64
	s_cmp_eq_u64 s[2:3], s[10:11]
	ds_load_2addr_b64 v[8:11], v20 offset1:1
	ds_load_2addr_b64 v[12:15], v20 offset0:2 offset1:3
	ds_load_2addr_b64 v[16:19], v20 offset0:4 offset1:5
	;; [unrolled: 1-line block ×3, first 2 shown]
	s_waitcnt lgkmcnt(3)
	v_cmp_gt_i64_e32 vcc_lo, v[4:5], v[8:9]
	v_cndmask_b32_e64 v8, 0, 1, vcc_lo
	v_cmp_gt_i64_e32 vcc_lo, v[4:5], v[10:11]
	v_cndmask_b32_e64 v9, 0, 1, vcc_lo
	s_waitcnt lgkmcnt(2)
	v_cmp_gt_i64_e32 vcc_lo, v[4:5], v[12:13]
	v_cndmask_b32_e64 v10, 0, 1, vcc_lo
	v_cmp_gt_i64_e32 vcc_lo, v[4:5], v[14:15]
	v_cndmask_b32_e64 v11, 0, 1, vcc_lo
	s_waitcnt lgkmcnt(1)
	v_cmp_gt_i64_e32 vcc_lo, v[4:5], v[16:17]
	v_cndmask_b32_e64 v12, 0, 1, vcc_lo
	v_add_co_u32 v6, vcc_lo, v6, v8
	v_add_co_ci_u32_e32 v7, vcc_lo, 0, v7, vcc_lo
	v_cmp_gt_i64_e32 vcc_lo, v[4:5], v[18:19]
	s_delay_alu instid0(VALU_DEP_3) | instskip(NEXT) | instid1(VALU_DEP_1)
	v_add_co_u32 v6, s0, v6, v9
	v_add_co_ci_u32_e64 v7, s0, 0, v7, s0
	v_cndmask_b32_e64 v8, 0, 1, vcc_lo
	s_delay_alu instid0(VALU_DEP_3) | instskip(NEXT) | instid1(VALU_DEP_3)
	v_add_co_u32 v6, vcc_lo, v6, v10
	v_add_co_ci_u32_e32 v7, vcc_lo, 0, v7, vcc_lo
	s_waitcnt lgkmcnt(0)
	v_cmp_gt_i64_e32 vcc_lo, v[4:5], v[20:21]
	s_delay_alu instid0(VALU_DEP_3) | instskip(NEXT) | instid1(VALU_DEP_1)
	v_add_co_u32 v6, s0, v6, v11
	v_add_co_ci_u32_e64 v7, s0, 0, v7, s0
	v_cndmask_b32_e64 v9, 0, 1, vcc_lo
	s_delay_alu instid0(VALU_DEP_3) | instskip(NEXT) | instid1(VALU_DEP_3)
	v_add_co_u32 v6, vcc_lo, v6, v12
	v_add_co_ci_u32_e32 v7, vcc_lo, 0, v7, vcc_lo
	v_cmp_gt_i64_e32 vcc_lo, v[4:5], v[22:23]
	s_delay_alu instid0(VALU_DEP_3) | instskip(NEXT) | instid1(VALU_DEP_1)
	v_add_co_u32 v6, s0, v6, v8
	v_add_co_ci_u32_e64 v7, s0, 0, v7, s0
	v_cndmask_b32_e64 v8, 0, 1, vcc_lo
	s_delay_alu instid0(VALU_DEP_3) | instskip(NEXT) | instid1(VALU_DEP_3)
	v_add_co_u32 v6, vcc_lo, v6, v9
	v_add_co_ci_u32_e32 v7, vcc_lo, 0, v7, vcc_lo
	s_delay_alu instid0(VALU_DEP_2) | instskip(NEXT) | instid1(VALU_DEP_2)
	v_add_co_u32 v6, vcc_lo, v6, v8
	v_add_co_ci_u32_e32 v7, vcc_lo, 0, v7, vcc_lo
	s_cbranch_scc0 .LBB143_123
; %bb.124:                              ;   in Loop: Header=BB143_121 Depth=1
	s_mov_b64 s[0:1], s[2:3]
.LBB143_125:                            ;   in Loop: Header=BB143_121 Depth=1
	s_and_not1_b32 vcc_lo, exec_lo, s13
	s_cbranch_vccnz .LBB143_120
; %bb.126:                              ;   in Loop: Header=BB143_121 Depth=1
	s_lshl_b32 s0, s0, 3
	s_delay_alu instid0(SALU_CYCLE_1)
	s_add_i32 s10, s0, 0
	s_mov_b64 s[0:1], s[6:7]
.LBB143_127:                            ;   Parent Loop BB143_121 Depth=1
                                        ; =>  This Inner Loop Header: Depth=2
	v_mov_b32_e32 v8, s10
	s_add_i32 s10, s10, 8
	s_add_u32 s0, s0, -1
	s_addc_u32 s1, s1, -1
	s_delay_alu instid0(SALU_CYCLE_1) | instskip(SKIP_4) | instid1(VALU_DEP_1)
	s_cmp_lg_u64 s[0:1], 0
	ds_load_b64 v[8:9], v8
	s_waitcnt lgkmcnt(0)
	v_cmp_gt_i64_e32 vcc_lo, v[4:5], v[8:9]
	v_cndmask_b32_e64 v8, 0, 1, vcc_lo
	v_add_co_u32 v6, vcc_lo, v6, v8
	v_add_co_ci_u32_e32 v7, vcc_lo, 0, v7, vcc_lo
	s_cbranch_scc1 .LBB143_127
	s_branch .LBB143_120
.LBB143_128:
	s_nop 0
	s_sendmsg sendmsg(MSG_DEALLOC_VGPRS)
	s_endpgm
	.section	.rodata,"a",@progbits
	.p2align	6, 0x0
	.amdhsa_kernel _ZN9rocsparseL26csrgemm_fill_block_per_rowILj1024ELj64ELj4096ELj137ELj32Ell21rocsparse_complex_numIfEEEvT5_PKS3_S5_NS_24const_host_device_scalarIT6_EEPKT4_S5_PKS7_SB_S5_SD_S8_SB_S5_SD_SB_PS3_PS7_21rocsparse_index_base_SG_SG_SG_bbb
		.amdhsa_group_segment_fixed_size 0
		.amdhsa_private_segment_fixed_size 0
		.amdhsa_kernarg_size 156
		.amdhsa_user_sgpr_count 15
		.amdhsa_user_sgpr_dispatch_ptr 0
		.amdhsa_user_sgpr_queue_ptr 0
		.amdhsa_user_sgpr_kernarg_segment_ptr 1
		.amdhsa_user_sgpr_dispatch_id 0
		.amdhsa_user_sgpr_private_segment_size 0
		.amdhsa_wavefront_size32 1
		.amdhsa_uses_dynamic_stack 0
		.amdhsa_enable_private_segment 0
		.amdhsa_system_sgpr_workgroup_id_x 1
		.amdhsa_system_sgpr_workgroup_id_y 0
		.amdhsa_system_sgpr_workgroup_id_z 0
		.amdhsa_system_sgpr_workgroup_info 0
		.amdhsa_system_vgpr_workitem_id 0
		.amdhsa_next_free_vgpr 24
		.amdhsa_next_free_sgpr 78
		.amdhsa_reserve_vcc 1
		.amdhsa_float_round_mode_32 0
		.amdhsa_float_round_mode_16_64 0
		.amdhsa_float_denorm_mode_32 3
		.amdhsa_float_denorm_mode_16_64 3
		.amdhsa_dx10_clamp 1
		.amdhsa_ieee_mode 1
		.amdhsa_fp16_overflow 0
		.amdhsa_workgroup_processor_mode 1
		.amdhsa_memory_ordered 1
		.amdhsa_forward_progress 0
		.amdhsa_shared_vgpr_count 0
		.amdhsa_exception_fp_ieee_invalid_op 0
		.amdhsa_exception_fp_denorm_src 0
		.amdhsa_exception_fp_ieee_div_zero 0
		.amdhsa_exception_fp_ieee_overflow 0
		.amdhsa_exception_fp_ieee_underflow 0
		.amdhsa_exception_fp_ieee_inexact 0
		.amdhsa_exception_int_div_zero 0
	.end_amdhsa_kernel
	.section	.text._ZN9rocsparseL26csrgemm_fill_block_per_rowILj1024ELj64ELj4096ELj137ELj32Ell21rocsparse_complex_numIfEEEvT5_PKS3_S5_NS_24const_host_device_scalarIT6_EEPKT4_S5_PKS7_SB_S5_SD_S8_SB_S5_SD_SB_PS3_PS7_21rocsparse_index_base_SG_SG_SG_bbb,"axG",@progbits,_ZN9rocsparseL26csrgemm_fill_block_per_rowILj1024ELj64ELj4096ELj137ELj32Ell21rocsparse_complex_numIfEEEvT5_PKS3_S5_NS_24const_host_device_scalarIT6_EEPKT4_S5_PKS7_SB_S5_SD_S8_SB_S5_SD_SB_PS3_PS7_21rocsparse_index_base_SG_SG_SG_bbb,comdat
.Lfunc_end143:
	.size	_ZN9rocsparseL26csrgemm_fill_block_per_rowILj1024ELj64ELj4096ELj137ELj32Ell21rocsparse_complex_numIfEEEvT5_PKS3_S5_NS_24const_host_device_scalarIT6_EEPKT4_S5_PKS7_SB_S5_SD_S8_SB_S5_SD_SB_PS3_PS7_21rocsparse_index_base_SG_SG_SG_bbb, .Lfunc_end143-_ZN9rocsparseL26csrgemm_fill_block_per_rowILj1024ELj64ELj4096ELj137ELj32Ell21rocsparse_complex_numIfEEEvT5_PKS3_S5_NS_24const_host_device_scalarIT6_EEPKT4_S5_PKS7_SB_S5_SD_S8_SB_S5_SD_SB_PS3_PS7_21rocsparse_index_base_SG_SG_SG_bbb
                                        ; -- End function
	.section	.AMDGPU.csdata,"",@progbits
; Kernel info:
; codeLenInByte = 4844
; NumSgprs: 80
; NumVgprs: 24
; ScratchSize: 0
; MemoryBound: 0
; FloatMode: 240
; IeeeMode: 1
; LDSByteSize: 0 bytes/workgroup (compile time only)
; SGPRBlocks: 9
; VGPRBlocks: 2
; NumSGPRsForWavesPerEU: 80
; NumVGPRsForWavesPerEU: 24
; Occupancy: 16
; WaveLimiterHint : 1
; COMPUTE_PGM_RSRC2:SCRATCH_EN: 0
; COMPUTE_PGM_RSRC2:USER_SGPR: 15
; COMPUTE_PGM_RSRC2:TRAP_HANDLER: 0
; COMPUTE_PGM_RSRC2:TGID_X_EN: 1
; COMPUTE_PGM_RSRC2:TGID_Y_EN: 0
; COMPUTE_PGM_RSRC2:TGID_Z_EN: 0
; COMPUTE_PGM_RSRC2:TIDIG_COMP_CNT: 0
	.section	.text._ZN9rocsparseL26csrgemm_fill_block_per_rowILj1024ELj64ELj4096ELj137ELj64Ell21rocsparse_complex_numIfEEEvT5_PKS3_S5_NS_24const_host_device_scalarIT6_EEPKT4_S5_PKS7_SB_S5_SD_S8_SB_S5_SD_SB_PS3_PS7_21rocsparse_index_base_SG_SG_SG_bbb,"axG",@progbits,_ZN9rocsparseL26csrgemm_fill_block_per_rowILj1024ELj64ELj4096ELj137ELj64Ell21rocsparse_complex_numIfEEEvT5_PKS3_S5_NS_24const_host_device_scalarIT6_EEPKT4_S5_PKS7_SB_S5_SD_S8_SB_S5_SD_SB_PS3_PS7_21rocsparse_index_base_SG_SG_SG_bbb,comdat
	.globl	_ZN9rocsparseL26csrgemm_fill_block_per_rowILj1024ELj64ELj4096ELj137ELj64Ell21rocsparse_complex_numIfEEEvT5_PKS3_S5_NS_24const_host_device_scalarIT6_EEPKT4_S5_PKS7_SB_S5_SD_S8_SB_S5_SD_SB_PS3_PS7_21rocsparse_index_base_SG_SG_SG_bbb ; -- Begin function _ZN9rocsparseL26csrgemm_fill_block_per_rowILj1024ELj64ELj4096ELj137ELj64Ell21rocsparse_complex_numIfEEEvT5_PKS3_S5_NS_24const_host_device_scalarIT6_EEPKT4_S5_PKS7_SB_S5_SD_S8_SB_S5_SD_SB_PS3_PS7_21rocsparse_index_base_SG_SG_SG_bbb
	.p2align	8
	.type	_ZN9rocsparseL26csrgemm_fill_block_per_rowILj1024ELj64ELj4096ELj137ELj64Ell21rocsparse_complex_numIfEEEvT5_PKS3_S5_NS_24const_host_device_scalarIT6_EEPKT4_S5_PKS7_SB_S5_SD_S8_SB_S5_SD_SB_PS3_PS7_21rocsparse_index_base_SG_SG_SG_bbb,@function
_ZN9rocsparseL26csrgemm_fill_block_per_rowILj1024ELj64ELj4096ELj137ELj64Ell21rocsparse_complex_numIfEEEvT5_PKS3_S5_NS_24const_host_device_scalarIT6_EEPKT4_S5_PKS7_SB_S5_SD_S8_SB_S5_SD_SB_PS3_PS7_21rocsparse_index_base_SG_SG_SG_bbb: ; @_ZN9rocsparseL26csrgemm_fill_block_per_rowILj1024ELj64ELj4096ELj137ELj64Ell21rocsparse_complex_numIfEEEvT5_PKS3_S5_NS_24const_host_device_scalarIT6_EEPKT4_S5_PKS7_SB_S5_SD_S8_SB_S5_SD_SB_PS3_PS7_21rocsparse_index_base_SG_SG_SG_bbb
; %bb.0:
	s_mov_b32 s42, s15
	s_clause 0x6
	s_load_b32 s33, s[0:1], 0x98
	s_load_b256 s[16:23], s[0:1], 0x60
	s_load_b256 s[4:11], s[0:1], 0x40
	s_load_b128 s[12:15], s[0:1], 0x8
	s_load_b256 s[24:31], s[0:1], 0x20
	s_load_b64 s[34:35], s[0:1], 0x80
	s_load_b128 s[36:39], s[0:1], 0x88
	s_mov_b32 s3, 0
	s_mov_b32 s44, 0
	s_waitcnt lgkmcnt(0)
	s_bitcmp1_b32 s33, 0
	s_cselect_b32 s46, -1, 0
	s_bitcmp1_b32 s33, 16
	s_cselect_b32 s2, -1, 0
	s_delay_alu instid0(SALU_CYCLE_1) | instskip(SKIP_2) | instid1(VALU_DEP_1)
	s_xor_b32 s40, s2, -1
	s_bitcmp0_b32 s33, 0
	v_cndmask_b32_e64 v1, 0, 1, s40
	v_cmp_ne_u32_e32 vcc_lo, 1, v1
	s_cbranch_scc1 .LBB144_5
; %bb.1:
	s_load_b64 s[2:3], s[0:1], 0x18
	s_and_b32 vcc_lo, exec_lo, vcc_lo
	s_waitcnt lgkmcnt(0)
	s_mov_b32 s44, s2
	s_cbranch_vccnz .LBB144_3
; %bb.2:
	s_load_b32 s44, s[2:3], 0x0
.LBB144_3:
	s_and_not1_b32 vcc_lo, exec_lo, s40
	s_cbranch_vccnz .LBB144_5
; %bb.4:
	s_load_b32 s3, s[2:3], 0x4
.LBB144_5:
	s_bitcmp1_b32 s33, 8
	s_cselect_b32 s45, -1, 0
	s_bfe_u32 s2, s33, 0x10008
	s_mov_b32 s33, 0
	s_cmp_eq_u32 s2, 0
	s_mov_b32 s2, 0
	s_cbranch_scc1 .LBB144_11
; %bb.6:
	v_cmp_ne_u32_e32 vcc_lo, 1, v1
	s_mov_b32 s2, s8
	s_cbranch_vccnz .LBB144_8
; %bb.7:
	s_load_b32 s2, s[8:9], 0x0
.LBB144_8:
	v_cmp_ne_u32_e32 vcc_lo, 1, v1
	s_cbranch_vccnz .LBB144_10
; %bb.9:
	s_load_b32 s9, s[8:9], 0x4
.LBB144_10:
	s_waitcnt lgkmcnt(0)
	s_mov_b32 s33, s9
.LBB144_11:
	s_load_b64 s[40:41], s[0:1], 0x0
	v_lshl_add_u32 v12, v0, 3, 0
	v_or_b32_e32 v13, 0xfffffc00, v0
	v_mov_b32_e32 v3, 0
	s_mov_b32 s0, 0
	s_delay_alu instid0(VALU_DEP_2)
	v_dual_mov_b32 v4, v12 :: v_dual_mov_b32 v5, v13
	s_waitcnt lgkmcnt(0)
	v_dual_mov_b32 v1, s40 :: v_dual_mov_b32 v2, s41
.LBB144_12:                             ; =>This Inner Loop Header: Depth=1
	s_delay_alu instid0(VALU_DEP_2) | instskip(NEXT) | instid1(VALU_DEP_3)
	v_add_nc_u32_e32 v5, 0x400, v5
	v_add_nc_u32_e32 v6, 0x8000, v4
	ds_store_b64 v4, v[1:2]
	v_add_nc_u32_e32 v4, 0x2000, v4
	v_cmp_lt_u32_e32 vcc_lo, 0xbff, v5
	ds_store_2addr_b32 v6, v3, v3 offset1:1
	s_or_b32 s0, vcc_lo, s0
	s_delay_alu instid0(SALU_CYCLE_1)
	s_and_not1_b32 exec_lo, exec_lo, s0
	s_cbranch_execnz .LBB144_12
; %bb.13:
	s_or_b32 exec_lo, exec_lo, s0
	s_waitcnt lgkmcnt(0)
	s_barrier
	buffer_gl0_inv
	s_load_b64 s[0:1], s[12:13], 0x0
	s_mov_b32 s43, 0
	v_lshrrev_b32_e32 v11, 6, v0
	s_waitcnt lgkmcnt(0)
	s_lshl_b64 s[0:1], s[0:1], 3
	s_delay_alu instid0(SALU_CYCLE_1) | instskip(SKIP_2) | instid1(SALU_CYCLE_1)
	s_add_u32 s8, s14, s0
	s_addc_u32 s9, s15, s1
	s_lshl_b64 s[0:1], s[42:43], 3
	s_add_u32 s0, s8, s0
	s_addc_u32 s1, s9, s1
	s_and_b32 vcc_lo, exec_lo, s46
	s_load_b64 s[42:43], s[0:1], 0x0
	s_cbranch_vccz .LBB144_33
; %bb.14:
	s_waitcnt lgkmcnt(0)
	s_lshl_b64 s[0:1], s[42:43], 3
	s_mov_b32 s8, exec_lo
	s_add_u32 s0, s24, s0
	s_addc_u32 s1, s25, s1
	s_load_b128 s[12:15], s[0:1], 0x0
	v_sub_co_u32 v1, s0, v11, s36
	s_delay_alu instid0(VALU_DEP_1) | instskip(SKIP_1) | instid1(VALU_DEP_2)
	v_sub_co_ci_u32_e64 v2, null, 0, 0, s0
	s_waitcnt lgkmcnt(0)
	v_add_co_u32 v1, vcc_lo, s12, v1
	s_delay_alu instid0(VALU_DEP_2)
	v_add_co_ci_u32_e32 v2, vcc_lo, s13, v2, vcc_lo
	s_sub_u32 s0, s14, s36
	s_subb_u32 s1, s15, 0
	s_delay_alu instid0(VALU_DEP_1) | instid1(SALU_CYCLE_1)
	v_cmpx_gt_i64_e64 s[0:1], v[1:2]
	s_cbranch_execz .LBB144_32
; %bb.15:
	v_and_b32_e32 v3, 63, v0
	s_mov_b32 s12, s37
	s_delay_alu instid0(VALU_DEP_1) | instskip(NEXT) | instid1(VALU_DEP_1)
	v_sub_co_u32 v14, s9, v3, s37
	v_sub_co_ci_u32_e64 v15, null, 0, 0, s9
	s_mov_b32 s9, 0
	s_branch .LBB144_17
.LBB144_16:                             ;   in Loop: Header=BB144_17 Depth=1
	s_or_b32 exec_lo, exec_lo, s13
	v_add_co_u32 v1, vcc_lo, v1, 16
	v_add_co_ci_u32_e32 v2, vcc_lo, 0, v2, vcc_lo
	s_delay_alu instid0(VALU_DEP_1) | instskip(SKIP_1) | instid1(SALU_CYCLE_1)
	v_cmp_le_i64_e32 vcc_lo, s[0:1], v[1:2]
	s_or_b32 s9, vcc_lo, s9
	s_and_not1_b32 exec_lo, exec_lo, s9
	s_cbranch_execz .LBB144_32
.LBB144_17:                             ; =>This Loop Header: Depth=1
                                        ;     Child Loop BB144_20 Depth 2
                                        ;       Child Loop BB144_22 Depth 3
	v_lshlrev_b64 v[7:8], 3, v[1:2]
	s_mov_b32 s13, exec_lo
	s_delay_alu instid0(VALU_DEP_1) | instskip(NEXT) | instid1(VALU_DEP_2)
	v_add_co_u32 v3, vcc_lo, s26, v7
	v_add_co_ci_u32_e32 v4, vcc_lo, s27, v8, vcc_lo
	global_load_b64 v[3:4], v[3:4], off
	s_waitcnt vmcnt(0)
	v_sub_co_u32 v3, vcc_lo, v3, s36
	v_subrev_co_ci_u32_e32 v4, vcc_lo, 0, v4, vcc_lo
	s_delay_alu instid0(VALU_DEP_1) | instskip(NEXT) | instid1(VALU_DEP_1)
	v_lshlrev_b64 v[3:4], 3, v[3:4]
	v_add_co_u32 v3, vcc_lo, s30, v3
	s_delay_alu instid0(VALU_DEP_2)
	v_add_co_ci_u32_e32 v4, vcc_lo, s31, v4, vcc_lo
	global_load_b128 v[16:19], v[3:4], off
	s_waitcnt vmcnt(0)
	v_sub_co_u32 v3, vcc_lo, v18, s12
	v_subrev_co_ci_u32_e32 v4, vcc_lo, 0, v19, vcc_lo
	v_add_co_u32 v5, vcc_lo, v16, v14
	v_add_co_ci_u32_e32 v6, vcc_lo, v17, v15, vcc_lo
	s_delay_alu instid0(VALU_DEP_1)
	v_cmpx_lt_i64_e64 v[5:6], v[3:4]
	s_cbranch_execz .LBB144_16
; %bb.18:                               ;   in Loop: Header=BB144_17 Depth=1
	v_add_co_u32 v7, vcc_lo, s28, v7
	v_add_co_ci_u32_e32 v8, vcc_lo, s29, v8, vcc_lo
	s_mov_b32 s14, 0
	global_load_b64 v[7:8], v[7:8], off
	s_waitcnt vmcnt(0)
	v_mul_f32_e64 v16, v8, -s3
	s_delay_alu instid0(VALU_DEP_1) | instskip(NEXT) | instid1(VALU_DEP_1)
	v_dual_mul_f32 v17, s44, v8 :: v_dual_fmac_f32 v16, s44, v7
	v_fmac_f32_e32 v17, s3, v7
	s_branch .LBB144_20
.LBB144_19:                             ;   in Loop: Header=BB144_20 Depth=2
	s_or_b32 exec_lo, exec_lo, s15
	v_add_co_u32 v5, vcc_lo, v5, 64
	v_add_co_ci_u32_e32 v6, vcc_lo, 0, v6, vcc_lo
	s_delay_alu instid0(VALU_DEP_1) | instskip(SKIP_1) | instid1(SALU_CYCLE_1)
	v_cmp_ge_i64_e32 vcc_lo, v[5:6], v[3:4]
	s_or_b32 s14, vcc_lo, s14
	s_and_not1_b32 exec_lo, exec_lo, s14
	s_cbranch_execz .LBB144_16
.LBB144_20:                             ;   Parent Loop BB144_17 Depth=1
                                        ; =>  This Loop Header: Depth=2
                                        ;       Child Loop BB144_22 Depth 3
	v_lshlrev_b64 v[7:8], 3, v[5:6]
	s_mov_b32 s15, 0
	s_delay_alu instid0(VALU_DEP_1) | instskip(NEXT) | instid1(VALU_DEP_2)
	v_add_co_u32 v9, vcc_lo, s4, v7
	v_add_co_ci_u32_e32 v10, vcc_lo, s5, v8, vcc_lo
	v_add_co_u32 v7, vcc_lo, s6, v7
	v_add_co_ci_u32_e32 v8, vcc_lo, s7, v8, vcc_lo
	global_load_b64 v[9:10], v[9:10], off
	global_load_b64 v[20:21], v[7:8], off
	s_waitcnt vmcnt(1)
	v_sub_co_u32 v7, vcc_lo, v9, s12
	v_subrev_co_ci_u32_e32 v8, vcc_lo, 0, v10, vcc_lo
	s_waitcnt vmcnt(0)
	v_mul_f32_e64 v18, v21, -v17
	s_delay_alu instid0(VALU_DEP_3) | instskip(SKIP_1) | instid1(VALU_DEP_3)
	v_mul_lo_u32 v9, 0x89, v7
	v_mul_f32_e32 v19, v16, v21
	v_fmac_f32_e32 v18, v16, v20
	s_delay_alu instid0(VALU_DEP_2)
	v_dual_fmac_f32 v19, v17, v20 :: v_dual_and_b32 v20, 0xfff, v9
	s_branch .LBB144_22
.LBB144_21:                             ;   in Loop: Header=BB144_22 Depth=3
	s_or_b32 exec_lo, exec_lo, s24
	s_xor_b32 s24, s25, -1
	s_delay_alu instid0(SALU_CYCLE_1) | instskip(NEXT) | instid1(SALU_CYCLE_1)
	s_and_b32 s24, exec_lo, s24
	s_or_b32 s15, s24, s15
	s_delay_alu instid0(SALU_CYCLE_1)
	s_and_not1_b32 exec_lo, exec_lo, s15
	s_cbranch_execz .LBB144_19
.LBB144_22:                             ;   Parent Loop BB144_17 Depth=1
                                        ;     Parent Loop BB144_20 Depth=2
                                        ; =>    This Inner Loop Header: Depth=3
	s_delay_alu instid0(VALU_DEP_1)
	v_lshl_add_u32 v21, v20, 3, 0
	s_mov_b32 s24, exec_lo
                                        ; implicit-def: $sgpr25
	ds_load_b64 v[9:10], v21
	s_waitcnt lgkmcnt(0)
	v_cmpx_ne_u64_e64 v[9:10], v[7:8]
	s_xor_b32 s24, exec_lo, s24
	s_cbranch_execz .LBB144_30
; %bb.23:                               ;   in Loop: Header=BB144_22 Depth=3
	s_mov_b32 s37, exec_lo
                                        ; implicit-def: $sgpr25
	v_cmpx_ne_u64_e64 s[40:41], v[9:10]
	s_xor_b32 s37, exec_lo, s37
; %bb.24:                               ;   in Loop: Header=BB144_22 Depth=3
	v_add_nc_u32_e32 v9, 1, v20
	s_mov_b32 s25, -1
                                        ; implicit-def: $vgpr21
	s_delay_alu instid0(VALU_DEP_1)
	v_and_b32_e32 v20, 0xfff, v9
; %bb.25:                               ;   in Loop: Header=BB144_22 Depth=3
	s_and_not1_saveexec_b32 s37, s37
	s_cbranch_execz .LBB144_29
; %bb.26:                               ;   in Loop: Header=BB144_22 Depth=3
	v_dual_mov_b32 v9, s40 :: v_dual_mov_b32 v10, s41
	s_mov_b32 s46, -1
	s_mov_b32 s47, exec_lo
	ds_cmpstore_rtn_b64 v[9:10], v21, v[7:8], v[9:10]
	s_waitcnt lgkmcnt(0)
	v_cmpx_eq_u64_e64 s[40:41], v[9:10]
	s_cbranch_execz .LBB144_28
; %bb.27:                               ;   in Loop: Header=BB144_22 Depth=3
	ds_add_f32 v21, v18 offset:32768
	ds_add_f32 v21, v19 offset:32772
	s_xor_b32 s46, exec_lo, -1
.LBB144_28:                             ;   in Loop: Header=BB144_22 Depth=3
	s_or_b32 exec_lo, exec_lo, s47
	s_delay_alu instid0(SALU_CYCLE_1) | instskip(SKIP_1) | instid1(SALU_CYCLE_1)
	s_and_not1_b32 s25, s25, exec_lo
	s_and_b32 s46, s46, exec_lo
	s_or_b32 s25, s25, s46
.LBB144_29:                             ;   in Loop: Header=BB144_22 Depth=3
	s_or_b32 exec_lo, exec_lo, s37
	s_delay_alu instid0(SALU_CYCLE_1)
	s_and_b32 s25, s25, exec_lo
                                        ; implicit-def: $vgpr21
.LBB144_30:                             ;   in Loop: Header=BB144_22 Depth=3
	s_and_not1_saveexec_b32 s24, s24
	s_cbranch_execz .LBB144_21
; %bb.31:                               ;   in Loop: Header=BB144_22 Depth=3
	ds_add_f32 v21, v18 offset:32768
	ds_add_f32 v21, v19 offset:32772
	s_and_not1_b32 s25, s25, exec_lo
	s_branch .LBB144_21
.LBB144_32:
	s_or_b32 exec_lo, exec_lo, s8
.LBB144_33:
	s_delay_alu instid0(SALU_CYCLE_1)
	s_and_not1_b32 vcc_lo, exec_lo, s45
	s_cbranch_vccnz .LBB144_50
; %bb.34:
	s_waitcnt lgkmcnt(0)
	s_lshl_b64 s[0:1], s[42:43], 3
	s_mov_b32 s3, 0
	s_add_u32 s0, s10, s0
	s_addc_u32 s1, s11, s1
	s_load_b128 s[4:7], s[0:1], 0x0
	v_sub_co_u32 v1, s0, v0, s39
	s_delay_alu instid0(VALU_DEP_1) | instskip(SKIP_1) | instid1(VALU_DEP_2)
	v_sub_co_ci_u32_e64 v2, null, 0, 0, s0
	s_waitcnt lgkmcnt(0)
	v_add_co_u32 v1, vcc_lo, s4, v1
	s_delay_alu instid0(VALU_DEP_2) | instskip(SKIP_3) | instid1(VALU_DEP_1)
	v_add_co_ci_u32_e32 v2, vcc_lo, s5, v2, vcc_lo
	s_sub_u32 s0, s6, s39
	s_subb_u32 s1, s7, 0
	s_mov_b32 s4, exec_lo
	v_cmpx_gt_i64_e64 s[0:1], v[1:2]
	s_cbranch_execz .LBB144_49
; %bb.35:
	s_mov_b32 s5, s39
	s_branch .LBB144_37
.LBB144_36:                             ;   in Loop: Header=BB144_37 Depth=1
	s_or_b32 exec_lo, exec_lo, s6
	v_add_co_u32 v1, vcc_lo, 0x400, v1
	v_add_co_ci_u32_e32 v2, vcc_lo, 0, v2, vcc_lo
	s_delay_alu instid0(VALU_DEP_1) | instskip(SKIP_1) | instid1(SALU_CYCLE_1)
	v_cmp_le_i64_e32 vcc_lo, s[0:1], v[1:2]
	s_or_b32 s3, vcc_lo, s3
	s_and_not1_b32 exec_lo, exec_lo, s3
	s_cbranch_execz .LBB144_49
.LBB144_37:                             ; =>This Loop Header: Depth=1
                                        ;     Child Loop BB144_39 Depth 2
	v_lshlrev_b64 v[3:4], 3, v[1:2]
	s_mov_b32 s6, 0
	s_delay_alu instid0(VALU_DEP_1) | instskip(NEXT) | instid1(VALU_DEP_2)
	v_add_co_u32 v5, vcc_lo, s16, v3
	v_add_co_ci_u32_e32 v6, vcc_lo, s17, v4, vcc_lo
	v_add_co_u32 v3, vcc_lo, s18, v3
	v_add_co_ci_u32_e32 v4, vcc_lo, s19, v4, vcc_lo
	global_load_b64 v[5:6], v[5:6], off
	global_load_b64 v[9:10], v[3:4], off
	s_waitcnt vmcnt(1)
	v_sub_co_u32 v3, vcc_lo, v5, s5
	v_subrev_co_ci_u32_e32 v4, vcc_lo, 0, v6, vcc_lo
	s_waitcnt vmcnt(0)
	v_mul_f32_e64 v7, v10, -s33
	s_delay_alu instid0(VALU_DEP_3) | instskip(NEXT) | instid1(VALU_DEP_2)
	v_mul_lo_u32 v5, 0x89, v3
	v_dual_mul_f32 v8, s2, v10 :: v_dual_fmac_f32 v7, s2, v9
	s_delay_alu instid0(VALU_DEP_1) | instskip(NEXT) | instid1(VALU_DEP_3)
	v_fmac_f32_e32 v8, s33, v9
	v_and_b32_e32 v9, 0xfff, v5
	s_branch .LBB144_39
.LBB144_38:                             ;   in Loop: Header=BB144_39 Depth=2
	s_or_b32 exec_lo, exec_lo, s7
	s_xor_b32 s7, s8, -1
	s_delay_alu instid0(SALU_CYCLE_1) | instskip(NEXT) | instid1(SALU_CYCLE_1)
	s_and_b32 s7, exec_lo, s7
	s_or_b32 s6, s7, s6
	s_delay_alu instid0(SALU_CYCLE_1)
	s_and_not1_b32 exec_lo, exec_lo, s6
	s_cbranch_execz .LBB144_36
.LBB144_39:                             ;   Parent Loop BB144_37 Depth=1
                                        ; =>  This Inner Loop Header: Depth=2
	s_delay_alu instid0(VALU_DEP_1)
	v_lshl_add_u32 v10, v9, 3, 0
	s_mov_b32 s7, exec_lo
                                        ; implicit-def: $sgpr8
	ds_load_b64 v[5:6], v10
	s_waitcnt lgkmcnt(0)
	v_cmpx_ne_u64_e64 v[5:6], v[3:4]
	s_xor_b32 s7, exec_lo, s7
	s_cbranch_execz .LBB144_47
; %bb.40:                               ;   in Loop: Header=BB144_39 Depth=2
	s_mov_b32 s9, exec_lo
                                        ; implicit-def: $sgpr8
	v_cmpx_ne_u64_e64 s[40:41], v[5:6]
	s_xor_b32 s9, exec_lo, s9
; %bb.41:                               ;   in Loop: Header=BB144_39 Depth=2
	v_add_nc_u32_e32 v5, 1, v9
	s_mov_b32 s8, -1
                                        ; implicit-def: $vgpr10
	s_delay_alu instid0(VALU_DEP_1)
	v_and_b32_e32 v9, 0xfff, v5
; %bb.42:                               ;   in Loop: Header=BB144_39 Depth=2
	s_and_not1_saveexec_b32 s9, s9
	s_cbranch_execz .LBB144_46
; %bb.43:                               ;   in Loop: Header=BB144_39 Depth=2
	v_dual_mov_b32 v5, s40 :: v_dual_mov_b32 v6, s41
	s_mov_b32 s10, -1
	s_mov_b32 s11, exec_lo
	ds_cmpstore_rtn_b64 v[5:6], v10, v[3:4], v[5:6]
	s_waitcnt lgkmcnt(0)
	v_cmpx_eq_u64_e64 s[40:41], v[5:6]
	s_cbranch_execz .LBB144_45
; %bb.44:                               ;   in Loop: Header=BB144_39 Depth=2
	ds_add_f32 v10, v7 offset:32768
	ds_add_f32 v10, v8 offset:32772
	s_xor_b32 s10, exec_lo, -1
.LBB144_45:                             ;   in Loop: Header=BB144_39 Depth=2
	s_or_b32 exec_lo, exec_lo, s11
	s_delay_alu instid0(SALU_CYCLE_1) | instskip(SKIP_1) | instid1(SALU_CYCLE_1)
	s_and_not1_b32 s8, s8, exec_lo
	s_and_b32 s10, s10, exec_lo
	s_or_b32 s8, s8, s10
.LBB144_46:                             ;   in Loop: Header=BB144_39 Depth=2
	s_or_b32 exec_lo, exec_lo, s9
	s_delay_alu instid0(SALU_CYCLE_1)
	s_and_b32 s8, s8, exec_lo
                                        ; implicit-def: $vgpr10
.LBB144_47:                             ;   in Loop: Header=BB144_39 Depth=2
	s_and_not1_saveexec_b32 s7, s7
	s_cbranch_execz .LBB144_38
; %bb.48:                               ;   in Loop: Header=BB144_39 Depth=2
	ds_add_f32 v10, v7 offset:32768
	ds_add_f32 v10, v8 offset:32772
	s_and_not1_b32 s8, s8, exec_lo
	s_branch .LBB144_38
.LBB144_49:
	s_or_b32 exec_lo, exec_lo, s4
.LBB144_50:
	v_mbcnt_lo_u32_b32 v1, -1, 0
	v_dual_mov_b32 v5, 0 :: v_dual_lshlrev_b32 v2, 3, v11
	s_add_i32 s36, 0, 0x10078
	v_cmp_eq_u32_e32 vcc_lo, 0x3ff, v0
	s_delay_alu instid0(VALU_DEP_3) | instskip(NEXT) | instid1(VALU_DEP_3)
	v_xor_b32_e32 v1, 63, v1
	v_add3_u32 v14, 0, 0x10000, v2
	v_cmp_lt_u32_e64 s0, 63, v0
	v_cmp_lt_u32_e64 s1, 0x7f, v0
	;; [unrolled: 1-line block ×3, first 2 shown]
	v_lshrrev_b64 v[1:2], v1, -1
	v_dual_mov_b32 v2, 0 :: v_dual_mov_b32 v15, s36
	v_cmp_lt_u32_e64 s3, 0xff, v0
	v_cmp_lt_u32_e64 s4, 0x13f, v0
	;; [unrolled: 1-line block ×12, first 2 shown]
	v_mov_b32_e32 v3, 0
	s_mov_b32 s17, 0
	s_add_i32 s18, 0, 0x10000
	s_add_i32 s19, 0, 0x10008
	;; [unrolled: 1-line block ×15, first 2 shown]
	s_waitcnt lgkmcnt(0)
	s_barrier
	buffer_gl0_inv
	s_branch .LBB144_52
.LBB144_51:                             ;   in Loop: Header=BB144_52 Depth=1
	s_or_b32 exec_lo, exec_lo, s15
	s_waitcnt lgkmcnt(0)
	s_barrier
	buffer_gl0_inv
	ds_load_b64 v[6:7], v15
	v_add_nc_u32_e32 v13, 0x400, v13
	v_add_nc_u32_e32 v12, 0x2000, v12
	s_delay_alu instid0(VALU_DEP_2) | instskip(NEXT) | instid1(VALU_DEP_1)
	v_cmp_lt_u32_e64 s15, 0xbff, v13
	s_or_b32 s17, s15, s17
	s_waitcnt lgkmcnt(0)
	v_add_co_u32 v2, s16, v6, v2
	s_delay_alu instid0(VALU_DEP_1)
	v_add_co_ci_u32_e64 v3, s16, v7, v3, s16
	s_and_not1_b32 exec_lo, exec_lo, s17
	s_cbranch_execz .LBB144_86
.LBB144_52:                             ; =>This Inner Loop Header: Depth=1
	ds_load_b64 v[6:7], v12
	v_add_nc_u32_e32 v4, 0x8000, v12
	ds_load_2addr_b32 v[8:9], v4 offset1:1
	s_waitcnt lgkmcnt(0)
	s_barrier
	buffer_gl0_inv
	v_cmp_gt_i64_e64 s15, s[40:41], v[6:7]
	s_delay_alu instid0(VALU_DEP_1) | instskip(SKIP_1) | instid1(SALU_CYCLE_1)
	v_and_b32_e32 v10, s15, v1
	s_bcnt1_i32_b32 s16, s15
	v_mov_b32_e32 v4, s16
	s_delay_alu instid0(VALU_DEP_2)
	v_bcnt_u32_b32 v10, v10, 0
	ds_store_b64 v14, v[4:5]
	s_waitcnt lgkmcnt(0)
	s_barrier
	buffer_gl0_inv
	s_and_saveexec_b32 s16, s0
	s_cbranch_execnz .LBB144_69
; %bb.53:                               ;   in Loop: Header=BB144_52 Depth=1
	s_or_b32 exec_lo, exec_lo, s16
	s_and_saveexec_b32 s16, s1
	s_cbranch_execnz .LBB144_70
.LBB144_54:                             ;   in Loop: Header=BB144_52 Depth=1
	s_or_b32 exec_lo, exec_lo, s16
	s_and_saveexec_b32 s16, s2
	s_cbranch_execnz .LBB144_71
.LBB144_55:                             ;   in Loop: Header=BB144_52 Depth=1
	s_or_b32 exec_lo, exec_lo, s16
	s_and_saveexec_b32 s16, s3
	s_cbranch_execnz .LBB144_72
.LBB144_56:                             ;   in Loop: Header=BB144_52 Depth=1
	s_or_b32 exec_lo, exec_lo, s16
	s_and_saveexec_b32 s16, s4
	s_cbranch_execnz .LBB144_73
.LBB144_57:                             ;   in Loop: Header=BB144_52 Depth=1
	s_or_b32 exec_lo, exec_lo, s16
	s_and_saveexec_b32 s16, s5
	s_cbranch_execnz .LBB144_74
.LBB144_58:                             ;   in Loop: Header=BB144_52 Depth=1
	s_or_b32 exec_lo, exec_lo, s16
	s_and_saveexec_b32 s16, s6
	s_cbranch_execnz .LBB144_75
.LBB144_59:                             ;   in Loop: Header=BB144_52 Depth=1
	s_or_b32 exec_lo, exec_lo, s16
	s_and_saveexec_b32 s16, s7
	s_cbranch_execnz .LBB144_76
.LBB144_60:                             ;   in Loop: Header=BB144_52 Depth=1
	s_or_b32 exec_lo, exec_lo, s16
	s_and_saveexec_b32 s16, s8
	s_cbranch_execnz .LBB144_77
.LBB144_61:                             ;   in Loop: Header=BB144_52 Depth=1
	s_or_b32 exec_lo, exec_lo, s16
	s_and_saveexec_b32 s16, s9
	s_cbranch_execnz .LBB144_78
.LBB144_62:                             ;   in Loop: Header=BB144_52 Depth=1
	s_or_b32 exec_lo, exec_lo, s16
	s_and_saveexec_b32 s16, s10
	s_cbranch_execnz .LBB144_79
.LBB144_63:                             ;   in Loop: Header=BB144_52 Depth=1
	s_or_b32 exec_lo, exec_lo, s16
	s_and_saveexec_b32 s16, s11
	s_cbranch_execnz .LBB144_80
.LBB144_64:                             ;   in Loop: Header=BB144_52 Depth=1
	s_or_b32 exec_lo, exec_lo, s16
	s_and_saveexec_b32 s16, s12
	s_cbranch_execnz .LBB144_81
.LBB144_65:                             ;   in Loop: Header=BB144_52 Depth=1
	s_or_b32 exec_lo, exec_lo, s16
	s_and_saveexec_b32 s16, s13
	s_cbranch_execnz .LBB144_82
.LBB144_66:                             ;   in Loop: Header=BB144_52 Depth=1
	s_or_b32 exec_lo, exec_lo, s16
	s_and_saveexec_b32 s16, s14
	s_cbranch_execnz .LBB144_83
.LBB144_67:                             ;   in Loop: Header=BB144_52 Depth=1
	s_or_b32 exec_lo, exec_lo, s16
	v_ashrrev_i32_e32 v11, 31, v10
	s_and_saveexec_b32 s16, s15
	s_cbranch_execnz .LBB144_84
.LBB144_68:                             ;   in Loop: Header=BB144_52 Depth=1
	s_or_b32 exec_lo, exec_lo, s16
	s_and_saveexec_b32 s15, vcc_lo
	s_cbranch_execz .LBB144_51
	s_branch .LBB144_85
.LBB144_69:                             ;   in Loop: Header=BB144_52 Depth=1
	v_mov_b32_e32 v4, s18
	ds_load_b32 v4, v4
	s_waitcnt lgkmcnt(0)
	v_add_nc_u32_e32 v10, v4, v10
	s_or_b32 exec_lo, exec_lo, s16
	s_and_saveexec_b32 s16, s1
	s_cbranch_execz .LBB144_54
.LBB144_70:                             ;   in Loop: Header=BB144_52 Depth=1
	v_mov_b32_e32 v4, s19
	ds_load_b32 v4, v4
	s_waitcnt lgkmcnt(0)
	v_add_nc_u32_e32 v10, v10, v4
	s_or_b32 exec_lo, exec_lo, s16
	s_and_saveexec_b32 s16, s2
	s_cbranch_execz .LBB144_55
.LBB144_71:                             ;   in Loop: Header=BB144_52 Depth=1
	v_mov_b32_e32 v4, s24
	ds_load_b32 v4, v4
	s_waitcnt lgkmcnt(0)
	v_add_nc_u32_e32 v10, v10, v4
	s_or_b32 exec_lo, exec_lo, s16
	s_and_saveexec_b32 s16, s3
	s_cbranch_execz .LBB144_56
.LBB144_72:                             ;   in Loop: Header=BB144_52 Depth=1
	v_mov_b32_e32 v4, s25
	ds_load_b32 v4, v4
	s_waitcnt lgkmcnt(0)
	v_add_nc_u32_e32 v10, v10, v4
	s_or_b32 exec_lo, exec_lo, s16
	s_and_saveexec_b32 s16, s4
	s_cbranch_execz .LBB144_57
.LBB144_73:                             ;   in Loop: Header=BB144_52 Depth=1
	v_mov_b32_e32 v4, s26
	ds_load_b32 v4, v4
	s_waitcnt lgkmcnt(0)
	v_add_nc_u32_e32 v10, v10, v4
	s_or_b32 exec_lo, exec_lo, s16
	s_and_saveexec_b32 s16, s5
	s_cbranch_execz .LBB144_58
.LBB144_74:                             ;   in Loop: Header=BB144_52 Depth=1
	v_mov_b32_e32 v4, s27
	ds_load_b32 v4, v4
	s_waitcnt lgkmcnt(0)
	v_add_nc_u32_e32 v10, v10, v4
	s_or_b32 exec_lo, exec_lo, s16
	s_and_saveexec_b32 s16, s6
	s_cbranch_execz .LBB144_59
.LBB144_75:                             ;   in Loop: Header=BB144_52 Depth=1
	v_mov_b32_e32 v4, s28
	ds_load_b32 v4, v4
	s_waitcnt lgkmcnt(0)
	v_add_nc_u32_e32 v10, v10, v4
	s_or_b32 exec_lo, exec_lo, s16
	s_and_saveexec_b32 s16, s7
	s_cbranch_execz .LBB144_60
.LBB144_76:                             ;   in Loop: Header=BB144_52 Depth=1
	v_mov_b32_e32 v4, s29
	ds_load_b32 v4, v4
	s_waitcnt lgkmcnt(0)
	v_add_nc_u32_e32 v10, v10, v4
	s_or_b32 exec_lo, exec_lo, s16
	s_and_saveexec_b32 s16, s8
	s_cbranch_execz .LBB144_61
.LBB144_77:                             ;   in Loop: Header=BB144_52 Depth=1
	v_mov_b32_e32 v4, s30
	ds_load_b32 v4, v4
	s_waitcnt lgkmcnt(0)
	v_add_nc_u32_e32 v10, v10, v4
	s_or_b32 exec_lo, exec_lo, s16
	s_and_saveexec_b32 s16, s9
	s_cbranch_execz .LBB144_62
.LBB144_78:                             ;   in Loop: Header=BB144_52 Depth=1
	v_mov_b32_e32 v4, s31
	ds_load_b32 v4, v4
	s_waitcnt lgkmcnt(0)
	v_add_nc_u32_e32 v10, v10, v4
	s_or_b32 exec_lo, exec_lo, s16
	s_and_saveexec_b32 s16, s10
	s_cbranch_execz .LBB144_63
.LBB144_79:                             ;   in Loop: Header=BB144_52 Depth=1
	v_mov_b32_e32 v4, s33
	ds_load_b32 v4, v4
	s_waitcnt lgkmcnt(0)
	v_add_nc_u32_e32 v10, v10, v4
	s_or_b32 exec_lo, exec_lo, s16
	s_and_saveexec_b32 s16, s11
	s_cbranch_execz .LBB144_64
.LBB144_80:                             ;   in Loop: Header=BB144_52 Depth=1
	v_mov_b32_e32 v4, s37
	ds_load_b32 v4, v4
	s_waitcnt lgkmcnt(0)
	v_add_nc_u32_e32 v10, v10, v4
	s_or_b32 exec_lo, exec_lo, s16
	s_and_saveexec_b32 s16, s12
	s_cbranch_execz .LBB144_65
.LBB144_81:                             ;   in Loop: Header=BB144_52 Depth=1
	v_mov_b32_e32 v4, s39
	ds_load_b32 v4, v4
	s_waitcnt lgkmcnt(0)
	v_add_nc_u32_e32 v10, v10, v4
	s_or_b32 exec_lo, exec_lo, s16
	s_and_saveexec_b32 s16, s13
	s_cbranch_execz .LBB144_66
.LBB144_82:                             ;   in Loop: Header=BB144_52 Depth=1
	v_mov_b32_e32 v4, s44
	ds_load_b32 v4, v4
	s_waitcnt lgkmcnt(0)
	v_add_nc_u32_e32 v10, v10, v4
	s_or_b32 exec_lo, exec_lo, s16
	s_and_saveexec_b32 s16, s14
	s_cbranch_execz .LBB144_67
.LBB144_83:                             ;   in Loop: Header=BB144_52 Depth=1
	v_mov_b32_e32 v4, s45
	ds_load_b32 v4, v4
	s_waitcnt lgkmcnt(0)
	v_add_nc_u32_e32 v10, v10, v4
	s_or_b32 exec_lo, exec_lo, s16
	s_delay_alu instid0(VALU_DEP_1)
	v_ashrrev_i32_e32 v11, 31, v10
	s_and_saveexec_b32 s16, s15
	s_cbranch_execz .LBB144_68
.LBB144_84:                             ;   in Loop: Header=BB144_52 Depth=1
	v_add3_u32 v4, v2, -1, v10
	s_delay_alu instid0(VALU_DEP_1) | instskip(NEXT) | instid1(VALU_DEP_1)
	v_lshl_add_u32 v4, v4, 3, 0
	v_add_nc_u32_e32 v16, 0x8000, v4
	ds_store_b64 v4, v[6:7]
	ds_store_2addr_b32 v16, v8, v9 offset1:1
	s_or_b32 exec_lo, exec_lo, s16
	s_and_saveexec_b32 s15, vcc_lo
	s_cbranch_execz .LBB144_51
.LBB144_85:                             ;   in Loop: Header=BB144_52 Depth=1
	v_mov_b32_e32 v4, s36
	ds_store_b64 v4, v[10:11]
	s_branch .LBB144_51
.LBB144_86:
	s_or_b32 exec_lo, exec_lo, s17
	s_lshl_b64 s[0:1], s[42:43], 3
	v_mov_b32_e32 v1, 0
	s_add_u32 s0, s20, s0
	s_addc_u32 s1, s21, s1
	s_mov_b32 s6, exec_lo
	s_load_b128 s[0:3], s[0:1], 0x0
	s_waitcnt lgkmcnt(0)
	s_sub_u32 s4, s2, s0
	s_subb_u32 s5, s3, s1
	s_delay_alu instid0(SALU_CYCLE_1)
	v_cmpx_gt_i64_e64 s[4:5], v[0:1]
	s_cbranch_execz .LBB144_96
; %bb.87:
	s_sub_u32 s8, s0, s38
	s_subb_u32 s9, s1, 0
	s_and_b32 s6, s4, 7
	s_sub_u32 s0, s0, s2
	s_subb_u32 s1, s1, s3
	s_mov_b32 s7, 0
	v_cmp_lt_u64_e64 s12, s[0:1], -7
	s_and_b32 s2, s4, -8
	s_cmp_lg_u64 s[6:7], 0
	s_mov_b32 s3, s5
	s_cselect_b32 s13, -1, 0
	s_mov_b32 s14, s7
	s_branch .LBB144_89
.LBB144_88:                             ;   in Loop: Header=BB144_89 Depth=1
	s_waitcnt lgkmcnt(1)
	v_add_co_u32 v4, vcc_lo, v4, s38
	v_lshlrev_b64 v[6:7], 3, v[6:7]
	v_add_co_ci_u32_e32 v5, vcc_lo, 0, v5, vcc_lo
	v_add_co_u32 v0, vcc_lo, 0x400, v0
	v_add_co_ci_u32_e32 v1, vcc_lo, 0, v1, vcc_lo
	s_delay_alu instid0(VALU_DEP_4) | instskip(SKIP_1) | instid1(VALU_DEP_3)
	v_add_co_u32 v8, vcc_lo, s22, v6
	v_add_co_ci_u32_e32 v9, vcc_lo, s23, v7, vcc_lo
	v_cmp_le_i64_e32 vcc_lo, s[4:5], v[0:1]
	v_add_co_u32 v6, s0, s34, v6
	s_delay_alu instid0(VALU_DEP_1) | instskip(SKIP_4) | instid1(SALU_CYCLE_1)
	v_add_co_ci_u32_e64 v7, s0, s35, v7, s0
	global_store_b64 v[8:9], v[4:5], off
	s_waitcnt lgkmcnt(0)
	global_store_b64 v[6:7], v[2:3], off
	s_or_b32 s14, vcc_lo, s14
	s_and_not1_b32 exec_lo, exec_lo, s14
	s_cbranch_execz .LBB144_96
.LBB144_89:                             ; =>This Loop Header: Depth=1
                                        ;     Child Loop BB144_91 Depth 2
                                        ;     Child Loop BB144_95 Depth 2
	v_lshl_add_u32 v2, v0, 3, 0
	s_and_not1_b32 vcc_lo, exec_lo, s12
	s_mov_b64 s[0:1], 0
	v_dual_mov_b32 v6, s8 :: v_dual_mov_b32 v7, s9
	s_delay_alu instid0(VALU_DEP_2)
	v_add_nc_u32_e32 v3, 0x8000, v2
	ds_load_b64 v[4:5], v2
	ds_load_2addr_b32 v[2:3], v3 offset1:1
	s_cbranch_vccnz .LBB144_93
; %bb.90:                               ;   in Loop: Header=BB144_89 Depth=1
	v_dual_mov_b32 v6, s8 :: v_dual_mov_b32 v7, s9
	s_mov_b64 s[10:11], 0
	s_mov_b32 s1, 0
.LBB144_91:                             ;   Parent Loop BB144_89 Depth=1
                                        ; =>  This Inner Loop Header: Depth=2
	s_delay_alu instid0(SALU_CYCLE_1)
	v_mov_b32_e32 v20, s1
	s_add_u32 s10, s10, 8
	s_addc_u32 s11, s11, 0
	s_add_i32 s1, s1, 64
	s_cmp_eq_u64 s[2:3], s[10:11]
	ds_load_2addr_b64 v[8:11], v20 offset1:1
	ds_load_2addr_b64 v[12:15], v20 offset0:2 offset1:3
	ds_load_2addr_b64 v[16:19], v20 offset0:4 offset1:5
	;; [unrolled: 1-line block ×3, first 2 shown]
	s_waitcnt lgkmcnt(3)
	v_cmp_gt_i64_e32 vcc_lo, v[4:5], v[8:9]
	v_cndmask_b32_e64 v8, 0, 1, vcc_lo
	v_cmp_gt_i64_e32 vcc_lo, v[4:5], v[10:11]
	v_cndmask_b32_e64 v9, 0, 1, vcc_lo
	s_waitcnt lgkmcnt(2)
	v_cmp_gt_i64_e32 vcc_lo, v[4:5], v[12:13]
	v_cndmask_b32_e64 v10, 0, 1, vcc_lo
	v_cmp_gt_i64_e32 vcc_lo, v[4:5], v[14:15]
	v_cndmask_b32_e64 v11, 0, 1, vcc_lo
	s_waitcnt lgkmcnt(1)
	v_cmp_gt_i64_e32 vcc_lo, v[4:5], v[16:17]
	v_cndmask_b32_e64 v12, 0, 1, vcc_lo
	v_add_co_u32 v6, vcc_lo, v6, v8
	v_add_co_ci_u32_e32 v7, vcc_lo, 0, v7, vcc_lo
	v_cmp_gt_i64_e32 vcc_lo, v[4:5], v[18:19]
	s_delay_alu instid0(VALU_DEP_3) | instskip(NEXT) | instid1(VALU_DEP_1)
	v_add_co_u32 v6, s0, v6, v9
	v_add_co_ci_u32_e64 v7, s0, 0, v7, s0
	v_cndmask_b32_e64 v8, 0, 1, vcc_lo
	s_delay_alu instid0(VALU_DEP_3) | instskip(NEXT) | instid1(VALU_DEP_3)
	v_add_co_u32 v6, vcc_lo, v6, v10
	v_add_co_ci_u32_e32 v7, vcc_lo, 0, v7, vcc_lo
	s_waitcnt lgkmcnt(0)
	v_cmp_gt_i64_e32 vcc_lo, v[4:5], v[20:21]
	s_delay_alu instid0(VALU_DEP_3) | instskip(NEXT) | instid1(VALU_DEP_1)
	v_add_co_u32 v6, s0, v6, v11
	v_add_co_ci_u32_e64 v7, s0, 0, v7, s0
	v_cndmask_b32_e64 v9, 0, 1, vcc_lo
	s_delay_alu instid0(VALU_DEP_3) | instskip(NEXT) | instid1(VALU_DEP_3)
	v_add_co_u32 v6, vcc_lo, v6, v12
	v_add_co_ci_u32_e32 v7, vcc_lo, 0, v7, vcc_lo
	v_cmp_gt_i64_e32 vcc_lo, v[4:5], v[22:23]
	s_delay_alu instid0(VALU_DEP_3) | instskip(NEXT) | instid1(VALU_DEP_1)
	v_add_co_u32 v6, s0, v6, v8
	v_add_co_ci_u32_e64 v7, s0, 0, v7, s0
	v_cndmask_b32_e64 v8, 0, 1, vcc_lo
	s_delay_alu instid0(VALU_DEP_3) | instskip(NEXT) | instid1(VALU_DEP_3)
	v_add_co_u32 v6, vcc_lo, v6, v9
	v_add_co_ci_u32_e32 v7, vcc_lo, 0, v7, vcc_lo
	s_delay_alu instid0(VALU_DEP_2) | instskip(NEXT) | instid1(VALU_DEP_2)
	v_add_co_u32 v6, vcc_lo, v6, v8
	v_add_co_ci_u32_e32 v7, vcc_lo, 0, v7, vcc_lo
	s_cbranch_scc0 .LBB144_91
; %bb.92:                               ;   in Loop: Header=BB144_89 Depth=1
	s_mov_b64 s[0:1], s[2:3]
.LBB144_93:                             ;   in Loop: Header=BB144_89 Depth=1
	s_and_not1_b32 vcc_lo, exec_lo, s13
	s_cbranch_vccnz .LBB144_88
; %bb.94:                               ;   in Loop: Header=BB144_89 Depth=1
	s_lshl_b32 s0, s0, 3
	s_delay_alu instid0(SALU_CYCLE_1)
	s_add_i32 s10, s0, 0
	s_mov_b64 s[0:1], s[6:7]
.LBB144_95:                             ;   Parent Loop BB144_89 Depth=1
                                        ; =>  This Inner Loop Header: Depth=2
	v_mov_b32_e32 v8, s10
	s_add_i32 s10, s10, 8
	s_add_u32 s0, s0, -1
	s_addc_u32 s1, s1, -1
	s_delay_alu instid0(SALU_CYCLE_1) | instskip(SKIP_4) | instid1(VALU_DEP_1)
	s_cmp_lg_u64 s[0:1], 0
	ds_load_b64 v[8:9], v8
	s_waitcnt lgkmcnt(0)
	v_cmp_gt_i64_e32 vcc_lo, v[4:5], v[8:9]
	v_cndmask_b32_e64 v8, 0, 1, vcc_lo
	v_add_co_u32 v6, vcc_lo, v6, v8
	v_add_co_ci_u32_e32 v7, vcc_lo, 0, v7, vcc_lo
	s_cbranch_scc1 .LBB144_95
	s_branch .LBB144_88
.LBB144_96:
	s_nop 0
	s_sendmsg sendmsg(MSG_DEALLOC_VGPRS)
	s_endpgm
	.section	.rodata,"a",@progbits
	.p2align	6, 0x0
	.amdhsa_kernel _ZN9rocsparseL26csrgemm_fill_block_per_rowILj1024ELj64ELj4096ELj137ELj64Ell21rocsparse_complex_numIfEEEvT5_PKS3_S5_NS_24const_host_device_scalarIT6_EEPKT4_S5_PKS7_SB_S5_SD_S8_SB_S5_SD_SB_PS3_PS7_21rocsparse_index_base_SG_SG_SG_bbb
		.amdhsa_group_segment_fixed_size 0
		.amdhsa_private_segment_fixed_size 0
		.amdhsa_kernarg_size 156
		.amdhsa_user_sgpr_count 15
		.amdhsa_user_sgpr_dispatch_ptr 0
		.amdhsa_user_sgpr_queue_ptr 0
		.amdhsa_user_sgpr_kernarg_segment_ptr 1
		.amdhsa_user_sgpr_dispatch_id 0
		.amdhsa_user_sgpr_private_segment_size 0
		.amdhsa_wavefront_size32 1
		.amdhsa_uses_dynamic_stack 0
		.amdhsa_enable_private_segment 0
		.amdhsa_system_sgpr_workgroup_id_x 1
		.amdhsa_system_sgpr_workgroup_id_y 0
		.amdhsa_system_sgpr_workgroup_id_z 0
		.amdhsa_system_sgpr_workgroup_info 0
		.amdhsa_system_vgpr_workitem_id 0
		.amdhsa_next_free_vgpr 24
		.amdhsa_next_free_sgpr 48
		.amdhsa_reserve_vcc 1
		.amdhsa_float_round_mode_32 0
		.amdhsa_float_round_mode_16_64 0
		.amdhsa_float_denorm_mode_32 3
		.amdhsa_float_denorm_mode_16_64 3
		.amdhsa_dx10_clamp 1
		.amdhsa_ieee_mode 1
		.amdhsa_fp16_overflow 0
		.amdhsa_workgroup_processor_mode 1
		.amdhsa_memory_ordered 1
		.amdhsa_forward_progress 0
		.amdhsa_shared_vgpr_count 0
		.amdhsa_exception_fp_ieee_invalid_op 0
		.amdhsa_exception_fp_denorm_src 0
		.amdhsa_exception_fp_ieee_div_zero 0
		.amdhsa_exception_fp_ieee_overflow 0
		.amdhsa_exception_fp_ieee_underflow 0
		.amdhsa_exception_fp_ieee_inexact 0
		.amdhsa_exception_int_div_zero 0
	.end_amdhsa_kernel
	.section	.text._ZN9rocsparseL26csrgemm_fill_block_per_rowILj1024ELj64ELj4096ELj137ELj64Ell21rocsparse_complex_numIfEEEvT5_PKS3_S5_NS_24const_host_device_scalarIT6_EEPKT4_S5_PKS7_SB_S5_SD_S8_SB_S5_SD_SB_PS3_PS7_21rocsparse_index_base_SG_SG_SG_bbb,"axG",@progbits,_ZN9rocsparseL26csrgemm_fill_block_per_rowILj1024ELj64ELj4096ELj137ELj64Ell21rocsparse_complex_numIfEEEvT5_PKS3_S5_NS_24const_host_device_scalarIT6_EEPKT4_S5_PKS7_SB_S5_SD_S8_SB_S5_SD_SB_PS3_PS7_21rocsparse_index_base_SG_SG_SG_bbb,comdat
.Lfunc_end144:
	.size	_ZN9rocsparseL26csrgemm_fill_block_per_rowILj1024ELj64ELj4096ELj137ELj64Ell21rocsparse_complex_numIfEEEvT5_PKS3_S5_NS_24const_host_device_scalarIT6_EEPKT4_S5_PKS7_SB_S5_SD_S8_SB_S5_SD_SB_PS3_PS7_21rocsparse_index_base_SG_SG_SG_bbb, .Lfunc_end144-_ZN9rocsparseL26csrgemm_fill_block_per_rowILj1024ELj64ELj4096ELj137ELj64Ell21rocsparse_complex_numIfEEEvT5_PKS3_S5_NS_24const_host_device_scalarIT6_EEPKT4_S5_PKS7_SB_S5_SD_S8_SB_S5_SD_SB_PS3_PS7_21rocsparse_index_base_SG_SG_SG_bbb
                                        ; -- End function
	.section	.AMDGPU.csdata,"",@progbits
; Kernel info:
; codeLenInByte = 3816
; NumSgprs: 50
; NumVgprs: 24
; ScratchSize: 0
; MemoryBound: 0
; FloatMode: 240
; IeeeMode: 1
; LDSByteSize: 0 bytes/workgroup (compile time only)
; SGPRBlocks: 6
; VGPRBlocks: 2
; NumSGPRsForWavesPerEU: 50
; NumVGPRsForWavesPerEU: 24
; Occupancy: 16
; WaveLimiterHint : 1
; COMPUTE_PGM_RSRC2:SCRATCH_EN: 0
; COMPUTE_PGM_RSRC2:USER_SGPR: 15
; COMPUTE_PGM_RSRC2:TRAP_HANDLER: 0
; COMPUTE_PGM_RSRC2:TGID_X_EN: 1
; COMPUTE_PGM_RSRC2:TGID_Y_EN: 0
; COMPUTE_PGM_RSRC2:TGID_Z_EN: 0
; COMPUTE_PGM_RSRC2:TIDIG_COMP_CNT: 0
	.section	.text._ZN9rocsparseL26csrgemm_fill_block_per_rowILj1024ELj64ELj8192ELj137ELj32Ell21rocsparse_complex_numIfEEEvT5_PKS3_S5_NS_24const_host_device_scalarIT6_EEPKT4_S5_PKS7_SB_S5_SD_S8_SB_S5_SD_SB_PS3_PS7_21rocsparse_index_base_SG_SG_SG_bbb,"axG",@progbits,_ZN9rocsparseL26csrgemm_fill_block_per_rowILj1024ELj64ELj8192ELj137ELj32Ell21rocsparse_complex_numIfEEEvT5_PKS3_S5_NS_24const_host_device_scalarIT6_EEPKT4_S5_PKS7_SB_S5_SD_S8_SB_S5_SD_SB_PS3_PS7_21rocsparse_index_base_SG_SG_SG_bbb,comdat
	.globl	_ZN9rocsparseL26csrgemm_fill_block_per_rowILj1024ELj64ELj8192ELj137ELj32Ell21rocsparse_complex_numIfEEEvT5_PKS3_S5_NS_24const_host_device_scalarIT6_EEPKT4_S5_PKS7_SB_S5_SD_S8_SB_S5_SD_SB_PS3_PS7_21rocsparse_index_base_SG_SG_SG_bbb ; -- Begin function _ZN9rocsparseL26csrgemm_fill_block_per_rowILj1024ELj64ELj8192ELj137ELj32Ell21rocsparse_complex_numIfEEEvT5_PKS3_S5_NS_24const_host_device_scalarIT6_EEPKT4_S5_PKS7_SB_S5_SD_S8_SB_S5_SD_SB_PS3_PS7_21rocsparse_index_base_SG_SG_SG_bbb
	.p2align	8
	.type	_ZN9rocsparseL26csrgemm_fill_block_per_rowILj1024ELj64ELj8192ELj137ELj32Ell21rocsparse_complex_numIfEEEvT5_PKS3_S5_NS_24const_host_device_scalarIT6_EEPKT4_S5_PKS7_SB_S5_SD_S8_SB_S5_SD_SB_PS3_PS7_21rocsparse_index_base_SG_SG_SG_bbb,@function
_ZN9rocsparseL26csrgemm_fill_block_per_rowILj1024ELj64ELj8192ELj137ELj32Ell21rocsparse_complex_numIfEEEvT5_PKS3_S5_NS_24const_host_device_scalarIT6_EEPKT4_S5_PKS7_SB_S5_SD_S8_SB_S5_SD_SB_PS3_PS7_21rocsparse_index_base_SG_SG_SG_bbb: ; @_ZN9rocsparseL26csrgemm_fill_block_per_rowILj1024ELj64ELj8192ELj137ELj32Ell21rocsparse_complex_numIfEEEvT5_PKS3_S5_NS_24const_host_device_scalarIT6_EEPKT4_S5_PKS7_SB_S5_SD_S8_SB_S5_SD_SB_PS3_PS7_21rocsparse_index_base_SG_SG_SG_bbb
; %bb.0:
	s_mov_b32 s24, s15
	s_clause 0x6
	s_load_b32 s25, s[0:1], 0x98
	s_load_b256 s[36:43], s[0:1], 0x60
	s_load_b256 s[4:11], s[0:1], 0x40
	s_load_b128 s[20:23], s[0:1], 0x8
	s_load_b256 s[12:19], s[0:1], 0x20
	s_load_b64 s[34:35], s[0:1], 0x80
	s_load_b128 s[44:47], s[0:1], 0x88
	s_mov_b32 s3, 0
	s_mov_b32 s27, 0
	s_waitcnt lgkmcnt(0)
	s_bitcmp1_b32 s25, 0
	s_cselect_b32 s29, -1, 0
	s_bitcmp1_b32 s25, 16
	s_cselect_b32 s2, -1, 0
	s_delay_alu instid0(SALU_CYCLE_1) | instskip(SKIP_2) | instid1(VALU_DEP_1)
	s_xor_b32 s26, s2, -1
	s_bitcmp0_b32 s25, 0
	v_cndmask_b32_e64 v1, 0, 1, s26
	v_cmp_ne_u32_e32 vcc_lo, 1, v1
	s_cbranch_scc1 .LBB145_5
; %bb.1:
	s_load_b64 s[2:3], s[0:1], 0x18
	s_and_b32 vcc_lo, exec_lo, vcc_lo
	s_waitcnt lgkmcnt(0)
	s_mov_b32 s27, s2
	s_cbranch_vccnz .LBB145_3
; %bb.2:
	s_load_b32 s27, s[2:3], 0x0
.LBB145_3:
	s_and_not1_b32 vcc_lo, exec_lo, s26
	s_cbranch_vccnz .LBB145_5
; %bb.4:
	s_load_b32 s3, s[2:3], 0x4
.LBB145_5:
	s_bitcmp1_b32 s25, 8
	s_mov_b32 s26, 0
	s_cselect_b32 s28, -1, 0
	s_bfe_u32 s2, s25, 0x10008
	s_delay_alu instid0(SALU_CYCLE_1)
	s_cmp_eq_u32 s2, 0
	s_mov_b32 s2, 0
	s_cbranch_scc1 .LBB145_11
; %bb.6:
	v_cmp_ne_u32_e32 vcc_lo, 1, v1
	s_mov_b32 s2, s8
	s_cbranch_vccnz .LBB145_8
; %bb.7:
	s_load_b32 s2, s[8:9], 0x0
.LBB145_8:
	v_cmp_ne_u32_e32 vcc_lo, 1, v1
	s_cbranch_vccnz .LBB145_10
; %bb.9:
	s_load_b32 s9, s[8:9], 0x4
.LBB145_10:
	s_waitcnt lgkmcnt(0)
	s_mov_b32 s26, s9
.LBB145_11:
	s_load_b64 s[48:49], s[0:1], 0x0
	v_lshl_add_u32 v12, v0, 3, 0
	s_mov_b32 s25, 0
	s_delay_alu instid0(VALU_DEP_1) | instskip(SKIP_2) | instid1(VALU_DEP_2)
	v_add_nc_u32_e32 v11, 0x10000, v12
	s_waitcnt lgkmcnt(0)
	v_dual_mov_b32 v1, s48 :: v_dual_mov_b32 v2, s49
	v_dual_mov_b32 v19, 0 :: v_dual_add_nc_u32 v20, 0x2000, v11
	v_add_nc_u32_e32 v21, 0x4000, v11
	v_dual_mov_b32 v3, s48 :: v_dual_add_nc_u32 v22, 0x6000, v11
	v_dual_mov_b32 v5, s48 :: v_dual_add_nc_u32 v24, 0xa000, v11
	;; [unrolled: 1-line block ×3, first 2 shown]
	v_dual_mov_b32 v4, s49 :: v_dual_mov_b32 v9, s48
	v_mov_b32_e32 v13, s48
	v_mov_b32_e32 v15, s48
	v_dual_mov_b32 v17, s48 :: v_dual_mov_b32 v18, s49
	v_dual_mov_b32 v6, s49 :: v_dual_add_nc_u32 v23, 0x8000, v11
	v_dual_mov_b32 v8, s49 :: v_dual_add_nc_u32 v25, 0xc000, v11
	v_mov_b32_e32 v10, s49
	v_mov_b32_e32 v14, s49
	;; [unrolled: 1-line block ×3, first 2 shown]
	ds_store_2addr_b32 v11, v19, v19 offset1:1
	ds_store_2addr_b32 v20, v19, v19 offset1:1
	;; [unrolled: 1-line block ×4, first 2 shown]
	ds_store_2addr_stride64_b64 v12, v[1:2], v[3:4] offset1:16
	ds_store_2addr_stride64_b64 v12, v[5:6], v[7:8] offset0:32 offset1:48
	ds_store_2addr_stride64_b64 v12, v[9:10], v[13:14] offset0:64 offset1:80
	;; [unrolled: 1-line block ×3, first 2 shown]
	ds_store_2addr_b32 v23, v19, v19 offset1:1
	ds_store_2addr_b32 v24, v19, v19 offset1:1
	;; [unrolled: 1-line block ×4, first 2 shown]
	s_waitcnt lgkmcnt(0)
	s_barrier
	buffer_gl0_inv
	s_load_b64 s[0:1], s[20:21], 0x0
	s_waitcnt lgkmcnt(0)
	s_lshl_b64 s[0:1], s[0:1], 3
	s_delay_alu instid0(SALU_CYCLE_1) | instskip(SKIP_2) | instid1(SALU_CYCLE_1)
	s_add_u32 s8, s22, s0
	s_addc_u32 s9, s23, s1
	s_lshl_b64 s[0:1], s[24:25], 3
	s_add_u32 s0, s8, s0
	s_addc_u32 s1, s9, s1
	s_and_not1_b32 vcc_lo, exec_lo, s29
	s_load_b64 s[50:51], s[0:1], 0x0
	s_cbranch_vccnz .LBB145_31
; %bb.12:
	s_waitcnt lgkmcnt(0)
	s_lshl_b64 s[0:1], s[50:51], 3
	v_lshrrev_b32_e32 v1, 6, v0
	s_add_u32 s0, s12, s0
	s_addc_u32 s1, s13, s1
	s_mov_b32 s8, exec_lo
	s_load_b128 s[20:23], s[0:1], 0x0
	v_sub_co_u32 v1, s0, v1, s44
	s_delay_alu instid0(VALU_DEP_1) | instskip(SKIP_1) | instid1(VALU_DEP_2)
	v_sub_co_ci_u32_e64 v2, null, 0, 0, s0
	s_waitcnt lgkmcnt(0)
	v_add_co_u32 v1, vcc_lo, s20, v1
	s_delay_alu instid0(VALU_DEP_2)
	v_add_co_ci_u32_e32 v2, vcc_lo, s21, v2, vcc_lo
	s_sub_u32 s0, s22, s44
	s_subb_u32 s1, s23, 0
	s_delay_alu instid0(VALU_DEP_1) | instid1(SALU_CYCLE_1)
	v_cmpx_gt_i64_e64 s[0:1], v[1:2]
	s_cbranch_execz .LBB145_30
; %bb.13:
	v_and_b32_e32 v3, 63, v0
	s_mov_b32 s12, s45
	s_delay_alu instid0(VALU_DEP_1) | instskip(NEXT) | instid1(VALU_DEP_1)
	v_sub_co_u32 v11, s9, v3, s45
	v_sub_co_ci_u32_e64 v13, null, 0, 0, s9
	s_mov_b32 s9, 0
	s_branch .LBB145_15
.LBB145_14:                             ;   in Loop: Header=BB145_15 Depth=1
	s_or_b32 exec_lo, exec_lo, s13
	v_add_co_u32 v1, vcc_lo, v1, 16
	v_add_co_ci_u32_e32 v2, vcc_lo, 0, v2, vcc_lo
	s_delay_alu instid0(VALU_DEP_1) | instskip(SKIP_1) | instid1(SALU_CYCLE_1)
	v_cmp_le_i64_e32 vcc_lo, s[0:1], v[1:2]
	s_or_b32 s9, vcc_lo, s9
	s_and_not1_b32 exec_lo, exec_lo, s9
	s_cbranch_execz .LBB145_30
.LBB145_15:                             ; =>This Loop Header: Depth=1
                                        ;     Child Loop BB145_18 Depth 2
                                        ;       Child Loop BB145_20 Depth 3
	v_lshlrev_b64 v[7:8], 3, v[1:2]
	s_mov_b32 s13, exec_lo
	s_delay_alu instid0(VALU_DEP_1) | instskip(NEXT) | instid1(VALU_DEP_2)
	v_add_co_u32 v3, vcc_lo, s14, v7
	v_add_co_ci_u32_e32 v4, vcc_lo, s15, v8, vcc_lo
	global_load_b64 v[3:4], v[3:4], off
	s_waitcnt vmcnt(0)
	v_sub_co_u32 v3, vcc_lo, v3, s44
	v_subrev_co_ci_u32_e32 v4, vcc_lo, 0, v4, vcc_lo
	s_delay_alu instid0(VALU_DEP_1) | instskip(NEXT) | instid1(VALU_DEP_1)
	v_lshlrev_b64 v[3:4], 3, v[3:4]
	v_add_co_u32 v3, vcc_lo, s18, v3
	s_delay_alu instid0(VALU_DEP_2)
	v_add_co_ci_u32_e32 v4, vcc_lo, s19, v4, vcc_lo
	global_load_b128 v[14:17], v[3:4], off
	s_waitcnt vmcnt(0)
	v_sub_co_u32 v3, vcc_lo, v16, s12
	v_subrev_co_ci_u32_e32 v4, vcc_lo, 0, v17, vcc_lo
	v_add_co_u32 v5, vcc_lo, v14, v11
	v_add_co_ci_u32_e32 v6, vcc_lo, v15, v13, vcc_lo
	s_delay_alu instid0(VALU_DEP_1)
	v_cmpx_lt_i64_e64 v[5:6], v[3:4]
	s_cbranch_execz .LBB145_14
; %bb.16:                               ;   in Loop: Header=BB145_15 Depth=1
	v_add_co_u32 v7, vcc_lo, s16, v7
	v_add_co_ci_u32_e32 v8, vcc_lo, s17, v8, vcc_lo
	s_mov_b32 s20, 0
	global_load_b64 v[7:8], v[7:8], off
	s_waitcnt vmcnt(0)
	v_mul_f32_e64 v14, v8, -s3
	s_delay_alu instid0(VALU_DEP_1) | instskip(NEXT) | instid1(VALU_DEP_1)
	v_dual_mul_f32 v15, s27, v8 :: v_dual_fmac_f32 v14, s27, v7
	v_fmac_f32_e32 v15, s3, v7
	s_branch .LBB145_18
.LBB145_17:                             ;   in Loop: Header=BB145_18 Depth=2
	s_or_b32 exec_lo, exec_lo, s21
	v_add_co_u32 v5, vcc_lo, v5, 64
	v_add_co_ci_u32_e32 v6, vcc_lo, 0, v6, vcc_lo
	s_delay_alu instid0(VALU_DEP_1) | instskip(SKIP_1) | instid1(SALU_CYCLE_1)
	v_cmp_ge_i64_e32 vcc_lo, v[5:6], v[3:4]
	s_or_b32 s20, vcc_lo, s20
	s_and_not1_b32 exec_lo, exec_lo, s20
	s_cbranch_execz .LBB145_14
.LBB145_18:                             ;   Parent Loop BB145_15 Depth=1
                                        ; =>  This Loop Header: Depth=2
                                        ;       Child Loop BB145_20 Depth 3
	v_lshlrev_b64 v[7:8], 3, v[5:6]
	s_mov_b32 s21, 0
	s_delay_alu instid0(VALU_DEP_1) | instskip(NEXT) | instid1(VALU_DEP_2)
	v_add_co_u32 v9, vcc_lo, s4, v7
	v_add_co_ci_u32_e32 v10, vcc_lo, s5, v8, vcc_lo
	v_add_co_u32 v7, vcc_lo, s6, v7
	v_add_co_ci_u32_e32 v8, vcc_lo, s7, v8, vcc_lo
	global_load_b64 v[9:10], v[9:10], off
	global_load_b64 v[18:19], v[7:8], off
	s_waitcnt vmcnt(1)
	v_sub_co_u32 v7, vcc_lo, v9, s12
	v_subrev_co_ci_u32_e32 v8, vcc_lo, 0, v10, vcc_lo
	s_waitcnt vmcnt(0)
	v_mul_f32_e64 v16, v19, -v15
	s_delay_alu instid0(VALU_DEP_3) | instskip(SKIP_1) | instid1(VALU_DEP_3)
	v_mul_lo_u32 v9, 0x89, v7
	v_mul_f32_e32 v17, v14, v19
	v_fmac_f32_e32 v16, v14, v18
	s_delay_alu instid0(VALU_DEP_2)
	v_dual_fmac_f32 v17, v15, v18 :: v_dual_and_b32 v18, 0x1fff, v9
	s_branch .LBB145_20
.LBB145_19:                             ;   in Loop: Header=BB145_20 Depth=3
	s_or_b32 exec_lo, exec_lo, s22
	s_xor_b32 s22, s23, -1
	s_delay_alu instid0(SALU_CYCLE_1) | instskip(NEXT) | instid1(SALU_CYCLE_1)
	s_and_b32 s22, exec_lo, s22
	s_or_b32 s21, s22, s21
	s_delay_alu instid0(SALU_CYCLE_1)
	s_and_not1_b32 exec_lo, exec_lo, s21
	s_cbranch_execz .LBB145_17
.LBB145_20:                             ;   Parent Loop BB145_15 Depth=1
                                        ;     Parent Loop BB145_18 Depth=2
                                        ; =>    This Inner Loop Header: Depth=3
	s_delay_alu instid0(VALU_DEP_1)
	v_lshl_add_u32 v19, v18, 3, 0
	s_mov_b32 s22, exec_lo
                                        ; implicit-def: $sgpr23
	ds_load_b64 v[9:10], v19
	s_waitcnt lgkmcnt(0)
	v_cmpx_ne_u64_e64 v[9:10], v[7:8]
	s_xor_b32 s22, exec_lo, s22
	s_cbranch_execz .LBB145_28
; %bb.21:                               ;   in Loop: Header=BB145_20 Depth=3
	s_mov_b32 s24, exec_lo
                                        ; implicit-def: $sgpr23
	v_cmpx_ne_u64_e64 s[48:49], v[9:10]
	s_xor_b32 s24, exec_lo, s24
; %bb.22:                               ;   in Loop: Header=BB145_20 Depth=3
	v_add_nc_u32_e32 v9, 1, v18
	s_mov_b32 s23, -1
                                        ; implicit-def: $vgpr19
	s_delay_alu instid0(VALU_DEP_1)
	v_and_b32_e32 v18, 0x1fff, v9
; %bb.23:                               ;   in Loop: Header=BB145_20 Depth=3
	s_and_not1_saveexec_b32 s24, s24
	s_cbranch_execz .LBB145_27
; %bb.24:                               ;   in Loop: Header=BB145_20 Depth=3
	v_dual_mov_b32 v9, s48 :: v_dual_mov_b32 v10, s49
	s_mov_b32 s29, -1
	s_mov_b32 s25, exec_lo
	ds_cmpstore_rtn_b64 v[9:10], v19, v[7:8], v[9:10]
	s_waitcnt lgkmcnt(0)
	v_cmpx_eq_u64_e64 s[48:49], v[9:10]
	s_cbranch_execz .LBB145_26
; %bb.25:                               ;   in Loop: Header=BB145_20 Depth=3
	v_lshlrev_b32_e32 v9, 3, v18
	s_xor_b32 s29, exec_lo, -1
	s_delay_alu instid0(VALU_DEP_1)
	v_add3_u32 v9, 0, v9, 0x10000
	ds_add_f32 v9, v16
	ds_add_f32 v9, v17 offset:4
.LBB145_26:                             ;   in Loop: Header=BB145_20 Depth=3
	s_or_b32 exec_lo, exec_lo, s25
	s_delay_alu instid0(SALU_CYCLE_1) | instskip(SKIP_1) | instid1(SALU_CYCLE_1)
	s_and_not1_b32 s23, s23, exec_lo
	s_and_b32 s25, s29, exec_lo
	s_or_b32 s23, s23, s25
.LBB145_27:                             ;   in Loop: Header=BB145_20 Depth=3
	s_or_b32 exec_lo, exec_lo, s24
	s_delay_alu instid0(SALU_CYCLE_1)
	s_and_b32 s23, s23, exec_lo
.LBB145_28:                             ;   in Loop: Header=BB145_20 Depth=3
	s_and_not1_saveexec_b32 s22, s22
	s_cbranch_execz .LBB145_19
; %bb.29:                               ;   in Loop: Header=BB145_20 Depth=3
	v_lshlrev_b32_e32 v9, 3, v18
	s_and_not1_b32 s23, s23, exec_lo
	s_delay_alu instid0(VALU_DEP_1)
	v_add3_u32 v9, 0, v9, 0x10000
	ds_add_f32 v9, v16
	ds_add_f32 v9, v17 offset:4
	s_branch .LBB145_19
.LBB145_30:
	s_or_b32 exec_lo, exec_lo, s8
.LBB145_31:
	s_delay_alu instid0(SALU_CYCLE_1)
	s_and_not1_b32 vcc_lo, exec_lo, s28
	s_cbranch_vccnz .LBB145_48
; %bb.32:
	s_waitcnt lgkmcnt(0)
	s_lshl_b64 s[0:1], s[50:51], 3
	s_mov_b32 s3, 0
	s_add_u32 s0, s10, s0
	s_addc_u32 s1, s11, s1
	s_load_b128 s[4:7], s[0:1], 0x0
	v_sub_co_u32 v1, s0, v0, s47
	s_delay_alu instid0(VALU_DEP_1) | instskip(SKIP_1) | instid1(VALU_DEP_2)
	v_sub_co_ci_u32_e64 v2, null, 0, 0, s0
	s_waitcnt lgkmcnt(0)
	v_add_co_u32 v1, vcc_lo, s4, v1
	s_delay_alu instid0(VALU_DEP_2) | instskip(SKIP_3) | instid1(VALU_DEP_1)
	v_add_co_ci_u32_e32 v2, vcc_lo, s5, v2, vcc_lo
	s_sub_u32 s0, s6, s47
	s_subb_u32 s1, s7, 0
	s_mov_b32 s4, exec_lo
	v_cmpx_gt_i64_e64 s[0:1], v[1:2]
	s_cbranch_execz .LBB145_47
; %bb.33:
	s_mov_b32 s5, s47
	s_branch .LBB145_35
.LBB145_34:                             ;   in Loop: Header=BB145_35 Depth=1
	s_or_b32 exec_lo, exec_lo, s6
	v_add_co_u32 v1, vcc_lo, 0x400, v1
	v_add_co_ci_u32_e32 v2, vcc_lo, 0, v2, vcc_lo
	s_delay_alu instid0(VALU_DEP_1) | instskip(SKIP_1) | instid1(SALU_CYCLE_1)
	v_cmp_le_i64_e32 vcc_lo, s[0:1], v[1:2]
	s_or_b32 s3, vcc_lo, s3
	s_and_not1_b32 exec_lo, exec_lo, s3
	s_cbranch_execz .LBB145_47
.LBB145_35:                             ; =>This Loop Header: Depth=1
                                        ;     Child Loop BB145_37 Depth 2
	v_lshlrev_b64 v[3:4], 3, v[1:2]
	s_mov_b32 s6, 0
	s_delay_alu instid0(VALU_DEP_1) | instskip(NEXT) | instid1(VALU_DEP_2)
	v_add_co_u32 v5, vcc_lo, s36, v3
	v_add_co_ci_u32_e32 v6, vcc_lo, s37, v4, vcc_lo
	v_add_co_u32 v3, vcc_lo, s38, v3
	v_add_co_ci_u32_e32 v4, vcc_lo, s39, v4, vcc_lo
	global_load_b64 v[5:6], v[5:6], off
	global_load_b64 v[9:10], v[3:4], off
	s_waitcnt vmcnt(1)
	v_sub_co_u32 v3, vcc_lo, v5, s5
	v_subrev_co_ci_u32_e32 v4, vcc_lo, 0, v6, vcc_lo
	s_waitcnt vmcnt(0)
	v_mul_f32_e64 v7, v10, -s26
	s_delay_alu instid0(VALU_DEP_3) | instskip(NEXT) | instid1(VALU_DEP_2)
	v_mul_lo_u32 v5, 0x89, v3
	v_dual_mul_f32 v8, s2, v10 :: v_dual_fmac_f32 v7, s2, v9
	s_delay_alu instid0(VALU_DEP_1) | instskip(NEXT) | instid1(VALU_DEP_3)
	v_fmac_f32_e32 v8, s26, v9
	v_and_b32_e32 v9, 0x1fff, v5
	s_branch .LBB145_37
.LBB145_36:                             ;   in Loop: Header=BB145_37 Depth=2
	s_or_b32 exec_lo, exec_lo, s7
	s_xor_b32 s7, s8, -1
	s_delay_alu instid0(SALU_CYCLE_1) | instskip(NEXT) | instid1(SALU_CYCLE_1)
	s_and_b32 s7, exec_lo, s7
	s_or_b32 s6, s7, s6
	s_delay_alu instid0(SALU_CYCLE_1)
	s_and_not1_b32 exec_lo, exec_lo, s6
	s_cbranch_execz .LBB145_34
.LBB145_37:                             ;   Parent Loop BB145_35 Depth=1
                                        ; =>  This Inner Loop Header: Depth=2
	s_delay_alu instid0(VALU_DEP_1)
	v_lshl_add_u32 v10, v9, 3, 0
	s_mov_b32 s7, exec_lo
                                        ; implicit-def: $sgpr8
	ds_load_b64 v[5:6], v10
	s_waitcnt lgkmcnt(0)
	v_cmpx_ne_u64_e64 v[5:6], v[3:4]
	s_xor_b32 s7, exec_lo, s7
	s_cbranch_execz .LBB145_45
; %bb.38:                               ;   in Loop: Header=BB145_37 Depth=2
	s_mov_b32 s9, exec_lo
                                        ; implicit-def: $sgpr8
	v_cmpx_ne_u64_e64 s[48:49], v[5:6]
	s_xor_b32 s9, exec_lo, s9
; %bb.39:                               ;   in Loop: Header=BB145_37 Depth=2
	v_add_nc_u32_e32 v5, 1, v9
	s_mov_b32 s8, -1
                                        ; implicit-def: $vgpr10
	s_delay_alu instid0(VALU_DEP_1)
	v_and_b32_e32 v9, 0x1fff, v5
; %bb.40:                               ;   in Loop: Header=BB145_37 Depth=2
	s_and_not1_saveexec_b32 s9, s9
	s_cbranch_execz .LBB145_44
; %bb.41:                               ;   in Loop: Header=BB145_37 Depth=2
	v_dual_mov_b32 v5, s48 :: v_dual_mov_b32 v6, s49
	s_mov_b32 s11, -1
	s_mov_b32 s10, exec_lo
	ds_cmpstore_rtn_b64 v[5:6], v10, v[3:4], v[5:6]
	s_waitcnt lgkmcnt(0)
	v_cmpx_eq_u64_e64 s[48:49], v[5:6]
	s_cbranch_execz .LBB145_43
; %bb.42:                               ;   in Loop: Header=BB145_37 Depth=2
	v_lshlrev_b32_e32 v5, 3, v9
	s_xor_b32 s11, exec_lo, -1
	s_delay_alu instid0(VALU_DEP_1)
	v_add3_u32 v5, 0, v5, 0x10000
	ds_add_f32 v5, v7
	ds_add_f32 v5, v8 offset:4
.LBB145_43:                             ;   in Loop: Header=BB145_37 Depth=2
	s_or_b32 exec_lo, exec_lo, s10
	s_delay_alu instid0(SALU_CYCLE_1) | instskip(SKIP_1) | instid1(SALU_CYCLE_1)
	s_and_not1_b32 s8, s8, exec_lo
	s_and_b32 s10, s11, exec_lo
	s_or_b32 s8, s8, s10
.LBB145_44:                             ;   in Loop: Header=BB145_37 Depth=2
	s_or_b32 exec_lo, exec_lo, s9
	s_delay_alu instid0(SALU_CYCLE_1)
	s_and_b32 s8, s8, exec_lo
.LBB145_45:                             ;   in Loop: Header=BB145_37 Depth=2
	s_and_not1_saveexec_b32 s7, s7
	s_cbranch_execz .LBB145_36
; %bb.46:                               ;   in Loop: Header=BB145_37 Depth=2
	v_lshlrev_b32_e32 v5, 3, v9
	s_and_not1_b32 s8, s8, exec_lo
	s_delay_alu instid0(VALU_DEP_1)
	v_add3_u32 v5, 0, v5, 0x10000
	ds_add_f32 v5, v7
	ds_add_f32 v5, v8 offset:4
	s_branch .LBB145_36
.LBB145_47:
	s_or_b32 exec_lo, exec_lo, s4
.LBB145_48:
	v_mbcnt_lo_u32_b32 v1, -1, 0
	v_lshrrev_b32_e32 v2, 2, v0
	s_add_i32 s73, 0, 0x200f8
	v_cmp_eq_u32_e32 vcc_lo, 0x3ff, v0
	v_cmp_lt_u32_e64 s0, 31, v0
	v_xor_b32_e32 v1, 63, v1
	v_and_b32_e32 v3, 0xf8, v2
	v_cmp_lt_u32_e64 s1, 63, v0
	v_cmp_lt_u32_e64 s2, 0x5f, v0
	;; [unrolled: 1-line block ×3, first 2 shown]
	v_lshrrev_b64 v[1:2], v1, -1
	v_add3_u32 v13, 0, 0x20000, v3
	v_dual_mov_b32 v2, 0 :: v_dual_mov_b32 v5, 0
	v_cmp_lt_u32_e64 s4, 0x9f, v0
	v_cmp_lt_u32_e64 s5, 0xbf, v0
	;; [unrolled: 1-line block ×27, first 2 shown]
	v_or_b32_e32 v14, 0xfffffc00, v0
	v_mov_b32_e32 v3, 0
	v_mov_b32_e32 v15, s73
	s_mov_b32 s36, 0
	s_add_i32 s37, 0, 0x20000
	s_add_i32 s38, 0, 0x20008
	s_add_i32 s39, 0, 0x20010
	s_add_i32 s44, 0, 0x20018
	s_add_i32 s45, 0, 0x20020
	s_add_i32 s47, 0, 0x20028
	s_add_i32 s52, 0, 0x20030
	s_add_i32 s53, 0, 0x20038
	s_add_i32 s54, 0, 0x20040
	s_add_i32 s55, 0, 0x20048
	s_add_i32 s56, 0, 0x20050
	s_add_i32 s57, 0, 0x20058
	s_add_i32 s58, 0, 0x20060
	s_add_i32 s59, 0, 0x20068
	s_add_i32 s60, 0, 0x20070
	s_add_i32 s61, 0, 0x20078
	s_add_i32 s62, 0, 0x20080
	s_add_i32 s63, 0, 0x20088
	s_add_i32 s64, 0, 0x20090
	s_add_i32 s65, 0, 0x20098
	s_add_i32 s66, 0, 0x200a0
	s_add_i32 s67, 0, 0x200a8
	s_add_i32 s68, 0, 0x200b0
	s_add_i32 s69, 0, 0x200b8
	s_add_i32 s70, 0, 0x200c0
	s_add_i32 s71, 0, 0x200c8
	s_add_i32 s72, 0, 0x200d0
	s_add_i32 s74, 0, 0x200d8
	s_add_i32 s75, 0, 0x200e0
	s_add_i32 s76, 0, 0x200e8
	s_add_i32 s77, 0, 0x200f0
	s_waitcnt lgkmcnt(0)
	s_barrier
	buffer_gl0_inv
	s_branch .LBB145_50
.LBB145_49:                             ;   in Loop: Header=BB145_50 Depth=1
	s_or_b32 exec_lo, exec_lo, s31
	s_waitcnt lgkmcnt(0)
	s_barrier
	buffer_gl0_inv
	ds_load_b64 v[6:7], v15
	v_add_nc_u32_e32 v14, 0x400, v14
	v_add_nc_u32_e32 v12, 0x2000, v12
	s_delay_alu instid0(VALU_DEP_2) | instskip(NEXT) | instid1(VALU_DEP_1)
	v_cmp_lt_u32_e64 s31, 0x1bff, v14
	s_or_b32 s36, s31, s36
	s_waitcnt lgkmcnt(0)
	v_add_co_u32 v2, s33, v6, v2
	s_delay_alu instid0(VALU_DEP_1)
	v_add_co_ci_u32_e64 v3, s33, v7, v3, s33
	s_and_not1_b32 exec_lo, exec_lo, s36
	s_cbranch_execz .LBB145_116
.LBB145_50:                             ; =>This Inner Loop Header: Depth=1
	ds_load_b64 v[6:7], v12
	v_add_nc_u32_e32 v4, 0x10000, v12
	ds_load_2addr_b32 v[8:9], v4 offset1:1
	s_waitcnt lgkmcnt(0)
	s_barrier
	buffer_gl0_inv
	v_cmp_gt_i64_e64 s31, s[48:49], v[6:7]
	s_delay_alu instid0(VALU_DEP_1) | instskip(SKIP_1) | instid1(SALU_CYCLE_1)
	v_and_b32_e32 v10, s31, v1
	s_bcnt1_i32_b32 s33, s31
	v_mov_b32_e32 v4, s33
	s_delay_alu instid0(VALU_DEP_2)
	v_bcnt_u32_b32 v10, v10, 0
	ds_store_b64 v13, v[4:5]
	s_waitcnt lgkmcnt(0)
	s_barrier
	buffer_gl0_inv
	s_and_saveexec_b32 s33, s0
	s_cbranch_execnz .LBB145_83
; %bb.51:                               ;   in Loop: Header=BB145_50 Depth=1
	s_or_b32 exec_lo, exec_lo, s33
	s_and_saveexec_b32 s33, s1
	s_cbranch_execnz .LBB145_84
.LBB145_52:                             ;   in Loop: Header=BB145_50 Depth=1
	s_or_b32 exec_lo, exec_lo, s33
	s_and_saveexec_b32 s33, s2
	s_cbranch_execnz .LBB145_85
.LBB145_53:                             ;   in Loop: Header=BB145_50 Depth=1
	s_or_b32 exec_lo, exec_lo, s33
	s_and_saveexec_b32 s33, s3
	s_cbranch_execnz .LBB145_86
.LBB145_54:                             ;   in Loop: Header=BB145_50 Depth=1
	s_or_b32 exec_lo, exec_lo, s33
	s_and_saveexec_b32 s33, s4
	s_cbranch_execnz .LBB145_87
.LBB145_55:                             ;   in Loop: Header=BB145_50 Depth=1
	s_or_b32 exec_lo, exec_lo, s33
	s_and_saveexec_b32 s33, s5
	s_cbranch_execnz .LBB145_88
.LBB145_56:                             ;   in Loop: Header=BB145_50 Depth=1
	s_or_b32 exec_lo, exec_lo, s33
	s_and_saveexec_b32 s33, s6
	s_cbranch_execnz .LBB145_89
.LBB145_57:                             ;   in Loop: Header=BB145_50 Depth=1
	s_or_b32 exec_lo, exec_lo, s33
	s_and_saveexec_b32 s33, s7
	s_cbranch_execnz .LBB145_90
.LBB145_58:                             ;   in Loop: Header=BB145_50 Depth=1
	s_or_b32 exec_lo, exec_lo, s33
	s_and_saveexec_b32 s33, s8
	s_cbranch_execnz .LBB145_91
.LBB145_59:                             ;   in Loop: Header=BB145_50 Depth=1
	s_or_b32 exec_lo, exec_lo, s33
	s_and_saveexec_b32 s33, s9
	s_cbranch_execnz .LBB145_92
.LBB145_60:                             ;   in Loop: Header=BB145_50 Depth=1
	s_or_b32 exec_lo, exec_lo, s33
	s_and_saveexec_b32 s33, s10
	s_cbranch_execnz .LBB145_93
.LBB145_61:                             ;   in Loop: Header=BB145_50 Depth=1
	s_or_b32 exec_lo, exec_lo, s33
	s_and_saveexec_b32 s33, s11
	s_cbranch_execnz .LBB145_94
.LBB145_62:                             ;   in Loop: Header=BB145_50 Depth=1
	s_or_b32 exec_lo, exec_lo, s33
	s_and_saveexec_b32 s33, s12
	s_cbranch_execnz .LBB145_95
.LBB145_63:                             ;   in Loop: Header=BB145_50 Depth=1
	s_or_b32 exec_lo, exec_lo, s33
	s_and_saveexec_b32 s33, s13
	s_cbranch_execnz .LBB145_96
.LBB145_64:                             ;   in Loop: Header=BB145_50 Depth=1
	s_or_b32 exec_lo, exec_lo, s33
	s_and_saveexec_b32 s33, s14
	s_cbranch_execnz .LBB145_97
.LBB145_65:                             ;   in Loop: Header=BB145_50 Depth=1
	s_or_b32 exec_lo, exec_lo, s33
	s_and_saveexec_b32 s33, s15
	s_cbranch_execnz .LBB145_98
.LBB145_66:                             ;   in Loop: Header=BB145_50 Depth=1
	s_or_b32 exec_lo, exec_lo, s33
	s_and_saveexec_b32 s33, s16
	s_cbranch_execnz .LBB145_99
.LBB145_67:                             ;   in Loop: Header=BB145_50 Depth=1
	s_or_b32 exec_lo, exec_lo, s33
	s_and_saveexec_b32 s33, s17
	s_cbranch_execnz .LBB145_100
.LBB145_68:                             ;   in Loop: Header=BB145_50 Depth=1
	s_or_b32 exec_lo, exec_lo, s33
	s_and_saveexec_b32 s33, s18
	s_cbranch_execnz .LBB145_101
.LBB145_69:                             ;   in Loop: Header=BB145_50 Depth=1
	s_or_b32 exec_lo, exec_lo, s33
	s_and_saveexec_b32 s33, s19
	s_cbranch_execnz .LBB145_102
.LBB145_70:                             ;   in Loop: Header=BB145_50 Depth=1
	s_or_b32 exec_lo, exec_lo, s33
	s_and_saveexec_b32 s33, s20
	s_cbranch_execnz .LBB145_103
.LBB145_71:                             ;   in Loop: Header=BB145_50 Depth=1
	s_or_b32 exec_lo, exec_lo, s33
	s_and_saveexec_b32 s33, s21
	s_cbranch_execnz .LBB145_104
.LBB145_72:                             ;   in Loop: Header=BB145_50 Depth=1
	s_or_b32 exec_lo, exec_lo, s33
	s_and_saveexec_b32 s33, s22
	s_cbranch_execnz .LBB145_105
.LBB145_73:                             ;   in Loop: Header=BB145_50 Depth=1
	s_or_b32 exec_lo, exec_lo, s33
	s_and_saveexec_b32 s33, s23
	s_cbranch_execnz .LBB145_106
.LBB145_74:                             ;   in Loop: Header=BB145_50 Depth=1
	s_or_b32 exec_lo, exec_lo, s33
	s_and_saveexec_b32 s33, s24
	s_cbranch_execnz .LBB145_107
.LBB145_75:                             ;   in Loop: Header=BB145_50 Depth=1
	s_or_b32 exec_lo, exec_lo, s33
	s_and_saveexec_b32 s33, s25
	s_cbranch_execnz .LBB145_108
.LBB145_76:                             ;   in Loop: Header=BB145_50 Depth=1
	s_or_b32 exec_lo, exec_lo, s33
	s_and_saveexec_b32 s33, s26
	s_cbranch_execnz .LBB145_109
.LBB145_77:                             ;   in Loop: Header=BB145_50 Depth=1
	s_or_b32 exec_lo, exec_lo, s33
	s_and_saveexec_b32 s33, s27
	s_cbranch_execnz .LBB145_110
.LBB145_78:                             ;   in Loop: Header=BB145_50 Depth=1
	s_or_b32 exec_lo, exec_lo, s33
	s_and_saveexec_b32 s33, s28
	s_cbranch_execnz .LBB145_111
.LBB145_79:                             ;   in Loop: Header=BB145_50 Depth=1
	s_or_b32 exec_lo, exec_lo, s33
	s_and_saveexec_b32 s33, s29
	s_cbranch_execnz .LBB145_112
.LBB145_80:                             ;   in Loop: Header=BB145_50 Depth=1
	s_or_b32 exec_lo, exec_lo, s33
	s_and_saveexec_b32 s33, s30
	s_cbranch_execnz .LBB145_113
.LBB145_81:                             ;   in Loop: Header=BB145_50 Depth=1
	s_or_b32 exec_lo, exec_lo, s33
	v_ashrrev_i32_e32 v11, 31, v10
	s_and_saveexec_b32 s33, s31
	s_cbranch_execnz .LBB145_114
.LBB145_82:                             ;   in Loop: Header=BB145_50 Depth=1
	s_or_b32 exec_lo, exec_lo, s33
	s_and_saveexec_b32 s31, vcc_lo
	s_cbranch_execz .LBB145_49
	s_branch .LBB145_115
.LBB145_83:                             ;   in Loop: Header=BB145_50 Depth=1
	v_mov_b32_e32 v4, s37
	ds_load_b32 v4, v4
	s_waitcnt lgkmcnt(0)
	v_add_nc_u32_e32 v10, v4, v10
	s_or_b32 exec_lo, exec_lo, s33
	s_and_saveexec_b32 s33, s1
	s_cbranch_execz .LBB145_52
.LBB145_84:                             ;   in Loop: Header=BB145_50 Depth=1
	v_mov_b32_e32 v4, s38
	ds_load_b32 v4, v4
	s_waitcnt lgkmcnt(0)
	v_add_nc_u32_e32 v10, v10, v4
	s_or_b32 exec_lo, exec_lo, s33
	s_and_saveexec_b32 s33, s2
	s_cbranch_execz .LBB145_53
.LBB145_85:                             ;   in Loop: Header=BB145_50 Depth=1
	v_mov_b32_e32 v4, s39
	ds_load_b32 v4, v4
	s_waitcnt lgkmcnt(0)
	v_add_nc_u32_e32 v10, v10, v4
	s_or_b32 exec_lo, exec_lo, s33
	s_and_saveexec_b32 s33, s3
	s_cbranch_execz .LBB145_54
.LBB145_86:                             ;   in Loop: Header=BB145_50 Depth=1
	v_mov_b32_e32 v4, s44
	ds_load_b32 v4, v4
	s_waitcnt lgkmcnt(0)
	v_add_nc_u32_e32 v10, v10, v4
	s_or_b32 exec_lo, exec_lo, s33
	s_and_saveexec_b32 s33, s4
	s_cbranch_execz .LBB145_55
.LBB145_87:                             ;   in Loop: Header=BB145_50 Depth=1
	v_mov_b32_e32 v4, s45
	ds_load_b32 v4, v4
	s_waitcnt lgkmcnt(0)
	v_add_nc_u32_e32 v10, v10, v4
	s_or_b32 exec_lo, exec_lo, s33
	s_and_saveexec_b32 s33, s5
	s_cbranch_execz .LBB145_56
.LBB145_88:                             ;   in Loop: Header=BB145_50 Depth=1
	v_mov_b32_e32 v4, s47
	ds_load_b32 v4, v4
	s_waitcnt lgkmcnt(0)
	v_add_nc_u32_e32 v10, v10, v4
	s_or_b32 exec_lo, exec_lo, s33
	s_and_saveexec_b32 s33, s6
	s_cbranch_execz .LBB145_57
.LBB145_89:                             ;   in Loop: Header=BB145_50 Depth=1
	v_mov_b32_e32 v4, s52
	ds_load_b32 v4, v4
	s_waitcnt lgkmcnt(0)
	v_add_nc_u32_e32 v10, v10, v4
	s_or_b32 exec_lo, exec_lo, s33
	s_and_saveexec_b32 s33, s7
	s_cbranch_execz .LBB145_58
.LBB145_90:                             ;   in Loop: Header=BB145_50 Depth=1
	v_mov_b32_e32 v4, s53
	ds_load_b32 v4, v4
	s_waitcnt lgkmcnt(0)
	v_add_nc_u32_e32 v10, v10, v4
	s_or_b32 exec_lo, exec_lo, s33
	s_and_saveexec_b32 s33, s8
	s_cbranch_execz .LBB145_59
.LBB145_91:                             ;   in Loop: Header=BB145_50 Depth=1
	v_mov_b32_e32 v4, s54
	ds_load_b32 v4, v4
	s_waitcnt lgkmcnt(0)
	v_add_nc_u32_e32 v10, v10, v4
	s_or_b32 exec_lo, exec_lo, s33
	s_and_saveexec_b32 s33, s9
	s_cbranch_execz .LBB145_60
.LBB145_92:                             ;   in Loop: Header=BB145_50 Depth=1
	v_mov_b32_e32 v4, s55
	ds_load_b32 v4, v4
	s_waitcnt lgkmcnt(0)
	v_add_nc_u32_e32 v10, v10, v4
	s_or_b32 exec_lo, exec_lo, s33
	s_and_saveexec_b32 s33, s10
	s_cbranch_execz .LBB145_61
.LBB145_93:                             ;   in Loop: Header=BB145_50 Depth=1
	v_mov_b32_e32 v4, s56
	ds_load_b32 v4, v4
	s_waitcnt lgkmcnt(0)
	v_add_nc_u32_e32 v10, v10, v4
	s_or_b32 exec_lo, exec_lo, s33
	s_and_saveexec_b32 s33, s11
	s_cbranch_execz .LBB145_62
.LBB145_94:                             ;   in Loop: Header=BB145_50 Depth=1
	v_mov_b32_e32 v4, s57
	ds_load_b32 v4, v4
	s_waitcnt lgkmcnt(0)
	v_add_nc_u32_e32 v10, v10, v4
	s_or_b32 exec_lo, exec_lo, s33
	s_and_saveexec_b32 s33, s12
	s_cbranch_execz .LBB145_63
.LBB145_95:                             ;   in Loop: Header=BB145_50 Depth=1
	v_mov_b32_e32 v4, s58
	ds_load_b32 v4, v4
	s_waitcnt lgkmcnt(0)
	v_add_nc_u32_e32 v10, v10, v4
	s_or_b32 exec_lo, exec_lo, s33
	s_and_saveexec_b32 s33, s13
	s_cbranch_execz .LBB145_64
.LBB145_96:                             ;   in Loop: Header=BB145_50 Depth=1
	v_mov_b32_e32 v4, s59
	ds_load_b32 v4, v4
	s_waitcnt lgkmcnt(0)
	v_add_nc_u32_e32 v10, v10, v4
	s_or_b32 exec_lo, exec_lo, s33
	s_and_saveexec_b32 s33, s14
	s_cbranch_execz .LBB145_65
.LBB145_97:                             ;   in Loop: Header=BB145_50 Depth=1
	v_mov_b32_e32 v4, s60
	ds_load_b32 v4, v4
	s_waitcnt lgkmcnt(0)
	v_add_nc_u32_e32 v10, v10, v4
	s_or_b32 exec_lo, exec_lo, s33
	s_and_saveexec_b32 s33, s15
	s_cbranch_execz .LBB145_66
.LBB145_98:                             ;   in Loop: Header=BB145_50 Depth=1
	v_mov_b32_e32 v4, s61
	ds_load_b32 v4, v4
	s_waitcnt lgkmcnt(0)
	v_add_nc_u32_e32 v10, v10, v4
	s_or_b32 exec_lo, exec_lo, s33
	s_and_saveexec_b32 s33, s16
	s_cbranch_execz .LBB145_67
.LBB145_99:                             ;   in Loop: Header=BB145_50 Depth=1
	v_mov_b32_e32 v4, s62
	ds_load_b32 v4, v4
	s_waitcnt lgkmcnt(0)
	v_add_nc_u32_e32 v10, v10, v4
	s_or_b32 exec_lo, exec_lo, s33
	s_and_saveexec_b32 s33, s17
	s_cbranch_execz .LBB145_68
.LBB145_100:                            ;   in Loop: Header=BB145_50 Depth=1
	v_mov_b32_e32 v4, s63
	ds_load_b32 v4, v4
	s_waitcnt lgkmcnt(0)
	v_add_nc_u32_e32 v10, v10, v4
	s_or_b32 exec_lo, exec_lo, s33
	s_and_saveexec_b32 s33, s18
	s_cbranch_execz .LBB145_69
.LBB145_101:                            ;   in Loop: Header=BB145_50 Depth=1
	v_mov_b32_e32 v4, s64
	ds_load_b32 v4, v4
	s_waitcnt lgkmcnt(0)
	v_add_nc_u32_e32 v10, v10, v4
	s_or_b32 exec_lo, exec_lo, s33
	s_and_saveexec_b32 s33, s19
	s_cbranch_execz .LBB145_70
.LBB145_102:                            ;   in Loop: Header=BB145_50 Depth=1
	v_mov_b32_e32 v4, s65
	ds_load_b32 v4, v4
	s_waitcnt lgkmcnt(0)
	v_add_nc_u32_e32 v10, v10, v4
	s_or_b32 exec_lo, exec_lo, s33
	s_and_saveexec_b32 s33, s20
	s_cbranch_execz .LBB145_71
.LBB145_103:                            ;   in Loop: Header=BB145_50 Depth=1
	v_mov_b32_e32 v4, s66
	ds_load_b32 v4, v4
	s_waitcnt lgkmcnt(0)
	v_add_nc_u32_e32 v10, v10, v4
	s_or_b32 exec_lo, exec_lo, s33
	s_and_saveexec_b32 s33, s21
	s_cbranch_execz .LBB145_72
.LBB145_104:                            ;   in Loop: Header=BB145_50 Depth=1
	v_mov_b32_e32 v4, s67
	ds_load_b32 v4, v4
	s_waitcnt lgkmcnt(0)
	v_add_nc_u32_e32 v10, v10, v4
	s_or_b32 exec_lo, exec_lo, s33
	s_and_saveexec_b32 s33, s22
	s_cbranch_execz .LBB145_73
.LBB145_105:                            ;   in Loop: Header=BB145_50 Depth=1
	v_mov_b32_e32 v4, s68
	ds_load_b32 v4, v4
	s_waitcnt lgkmcnt(0)
	v_add_nc_u32_e32 v10, v10, v4
	s_or_b32 exec_lo, exec_lo, s33
	s_and_saveexec_b32 s33, s23
	s_cbranch_execz .LBB145_74
.LBB145_106:                            ;   in Loop: Header=BB145_50 Depth=1
	v_mov_b32_e32 v4, s69
	ds_load_b32 v4, v4
	s_waitcnt lgkmcnt(0)
	v_add_nc_u32_e32 v10, v10, v4
	s_or_b32 exec_lo, exec_lo, s33
	s_and_saveexec_b32 s33, s24
	s_cbranch_execz .LBB145_75
.LBB145_107:                            ;   in Loop: Header=BB145_50 Depth=1
	v_mov_b32_e32 v4, s70
	ds_load_b32 v4, v4
	s_waitcnt lgkmcnt(0)
	v_add_nc_u32_e32 v10, v10, v4
	s_or_b32 exec_lo, exec_lo, s33
	s_and_saveexec_b32 s33, s25
	s_cbranch_execz .LBB145_76
.LBB145_108:                            ;   in Loop: Header=BB145_50 Depth=1
	v_mov_b32_e32 v4, s71
	ds_load_b32 v4, v4
	s_waitcnt lgkmcnt(0)
	v_add_nc_u32_e32 v10, v10, v4
	s_or_b32 exec_lo, exec_lo, s33
	s_and_saveexec_b32 s33, s26
	s_cbranch_execz .LBB145_77
.LBB145_109:                            ;   in Loop: Header=BB145_50 Depth=1
	v_mov_b32_e32 v4, s72
	ds_load_b32 v4, v4
	s_waitcnt lgkmcnt(0)
	v_add_nc_u32_e32 v10, v10, v4
	s_or_b32 exec_lo, exec_lo, s33
	s_and_saveexec_b32 s33, s27
	s_cbranch_execz .LBB145_78
.LBB145_110:                            ;   in Loop: Header=BB145_50 Depth=1
	v_mov_b32_e32 v4, s74
	ds_load_b32 v4, v4
	s_waitcnt lgkmcnt(0)
	v_add_nc_u32_e32 v10, v10, v4
	s_or_b32 exec_lo, exec_lo, s33
	s_and_saveexec_b32 s33, s28
	s_cbranch_execz .LBB145_79
.LBB145_111:                            ;   in Loop: Header=BB145_50 Depth=1
	v_mov_b32_e32 v4, s75
	ds_load_b32 v4, v4
	s_waitcnt lgkmcnt(0)
	v_add_nc_u32_e32 v10, v10, v4
	s_or_b32 exec_lo, exec_lo, s33
	s_and_saveexec_b32 s33, s29
	s_cbranch_execz .LBB145_80
.LBB145_112:                            ;   in Loop: Header=BB145_50 Depth=1
	v_mov_b32_e32 v4, s76
	ds_load_b32 v4, v4
	s_waitcnt lgkmcnt(0)
	v_add_nc_u32_e32 v10, v10, v4
	s_or_b32 exec_lo, exec_lo, s33
	s_and_saveexec_b32 s33, s30
	s_cbranch_execz .LBB145_81
.LBB145_113:                            ;   in Loop: Header=BB145_50 Depth=1
	v_mov_b32_e32 v4, s77
	ds_load_b32 v4, v4
	s_waitcnt lgkmcnt(0)
	v_add_nc_u32_e32 v10, v10, v4
	s_or_b32 exec_lo, exec_lo, s33
	s_delay_alu instid0(VALU_DEP_1)
	v_ashrrev_i32_e32 v11, 31, v10
	s_and_saveexec_b32 s33, s31
	s_cbranch_execz .LBB145_82
.LBB145_114:                            ;   in Loop: Header=BB145_50 Depth=1
	v_add3_u32 v4, v2, -1, v10
	s_delay_alu instid0(VALU_DEP_1) | instskip(NEXT) | instid1(VALU_DEP_1)
	v_lshl_add_u32 v4, v4, 3, 0
	v_add_nc_u32_e32 v16, 0x10000, v4
	ds_store_b64 v4, v[6:7]
	ds_store_2addr_b32 v16, v8, v9 offset1:1
	s_or_b32 exec_lo, exec_lo, s33
	s_and_saveexec_b32 s31, vcc_lo
	s_cbranch_execz .LBB145_49
.LBB145_115:                            ;   in Loop: Header=BB145_50 Depth=1
	v_mov_b32_e32 v4, s73
	ds_store_b64 v4, v[10:11]
	s_branch .LBB145_49
.LBB145_116:
	s_or_b32 exec_lo, exec_lo, s36
	s_lshl_b64 s[0:1], s[50:51], 3
	v_mov_b32_e32 v1, 0
	s_add_u32 s0, s40, s0
	s_addc_u32 s1, s41, s1
	s_mov_b32 s6, exec_lo
	s_load_b128 s[0:3], s[0:1], 0x0
	s_waitcnt lgkmcnt(0)
	s_sub_u32 s4, s2, s0
	s_subb_u32 s5, s3, s1
	s_delay_alu instid0(SALU_CYCLE_1)
	v_cmpx_gt_i64_e64 s[4:5], v[0:1]
	s_cbranch_execz .LBB145_126
; %bb.117:
	s_sub_u32 s8, s0, s46
	s_subb_u32 s9, s1, 0
	s_and_b32 s6, s4, 7
	s_sub_u32 s0, s0, s2
	s_subb_u32 s1, s1, s3
	s_mov_b32 s7, 0
	v_cmp_lt_u64_e64 s12, s[0:1], -7
	s_and_b32 s2, s4, -8
	s_cmp_lg_u64 s[6:7], 0
	s_mov_b32 s3, s5
	s_cselect_b32 s13, -1, 0
	s_mov_b32 s14, s7
	s_branch .LBB145_119
.LBB145_118:                            ;   in Loop: Header=BB145_119 Depth=1
	s_waitcnt lgkmcnt(1)
	v_add_co_u32 v4, vcc_lo, v4, s46
	v_lshlrev_b64 v[6:7], 3, v[6:7]
	v_add_co_ci_u32_e32 v5, vcc_lo, 0, v5, vcc_lo
	v_add_co_u32 v0, vcc_lo, 0x400, v0
	v_add_co_ci_u32_e32 v1, vcc_lo, 0, v1, vcc_lo
	s_delay_alu instid0(VALU_DEP_4) | instskip(SKIP_1) | instid1(VALU_DEP_3)
	v_add_co_u32 v8, vcc_lo, s42, v6
	v_add_co_ci_u32_e32 v9, vcc_lo, s43, v7, vcc_lo
	v_cmp_le_i64_e32 vcc_lo, s[4:5], v[0:1]
	v_add_co_u32 v6, s0, s34, v6
	s_delay_alu instid0(VALU_DEP_1) | instskip(SKIP_4) | instid1(SALU_CYCLE_1)
	v_add_co_ci_u32_e64 v7, s0, s35, v7, s0
	global_store_b64 v[8:9], v[4:5], off
	s_waitcnt lgkmcnt(0)
	global_store_b64 v[6:7], v[2:3], off
	s_or_b32 s14, vcc_lo, s14
	s_and_not1_b32 exec_lo, exec_lo, s14
	s_cbranch_execz .LBB145_126
.LBB145_119:                            ; =>This Loop Header: Depth=1
                                        ;     Child Loop BB145_121 Depth 2
                                        ;     Child Loop BB145_125 Depth 2
	v_lshl_add_u32 v2, v0, 3, 0
	s_and_not1_b32 vcc_lo, exec_lo, s12
	s_mov_b64 s[0:1], 0
	v_dual_mov_b32 v6, s8 :: v_dual_mov_b32 v7, s9
	s_delay_alu instid0(VALU_DEP_2)
	v_add_nc_u32_e32 v3, 0x10000, v2
	ds_load_b64 v[4:5], v2
	ds_load_2addr_b32 v[2:3], v3 offset1:1
	s_cbranch_vccnz .LBB145_123
; %bb.120:                              ;   in Loop: Header=BB145_119 Depth=1
	v_dual_mov_b32 v6, s8 :: v_dual_mov_b32 v7, s9
	s_mov_b64 s[10:11], 0
	s_mov_b32 s1, 0
.LBB145_121:                            ;   Parent Loop BB145_119 Depth=1
                                        ; =>  This Inner Loop Header: Depth=2
	s_delay_alu instid0(SALU_CYCLE_1)
	v_mov_b32_e32 v20, s1
	s_add_u32 s10, s10, 8
	s_addc_u32 s11, s11, 0
	s_add_i32 s1, s1, 64
	s_cmp_eq_u64 s[2:3], s[10:11]
	ds_load_2addr_b64 v[8:11], v20 offset1:1
	ds_load_2addr_b64 v[12:15], v20 offset0:2 offset1:3
	ds_load_2addr_b64 v[16:19], v20 offset0:4 offset1:5
	;; [unrolled: 1-line block ×3, first 2 shown]
	s_waitcnt lgkmcnt(3)
	v_cmp_gt_i64_e32 vcc_lo, v[4:5], v[8:9]
	v_cndmask_b32_e64 v8, 0, 1, vcc_lo
	v_cmp_gt_i64_e32 vcc_lo, v[4:5], v[10:11]
	v_cndmask_b32_e64 v9, 0, 1, vcc_lo
	s_waitcnt lgkmcnt(2)
	v_cmp_gt_i64_e32 vcc_lo, v[4:5], v[12:13]
	v_cndmask_b32_e64 v10, 0, 1, vcc_lo
	v_cmp_gt_i64_e32 vcc_lo, v[4:5], v[14:15]
	v_cndmask_b32_e64 v11, 0, 1, vcc_lo
	s_waitcnt lgkmcnt(1)
	v_cmp_gt_i64_e32 vcc_lo, v[4:5], v[16:17]
	v_cndmask_b32_e64 v12, 0, 1, vcc_lo
	v_add_co_u32 v6, vcc_lo, v6, v8
	v_add_co_ci_u32_e32 v7, vcc_lo, 0, v7, vcc_lo
	v_cmp_gt_i64_e32 vcc_lo, v[4:5], v[18:19]
	s_delay_alu instid0(VALU_DEP_3) | instskip(NEXT) | instid1(VALU_DEP_1)
	v_add_co_u32 v6, s0, v6, v9
	v_add_co_ci_u32_e64 v7, s0, 0, v7, s0
	v_cndmask_b32_e64 v8, 0, 1, vcc_lo
	s_delay_alu instid0(VALU_DEP_3) | instskip(NEXT) | instid1(VALU_DEP_3)
	v_add_co_u32 v6, vcc_lo, v6, v10
	v_add_co_ci_u32_e32 v7, vcc_lo, 0, v7, vcc_lo
	s_waitcnt lgkmcnt(0)
	v_cmp_gt_i64_e32 vcc_lo, v[4:5], v[20:21]
	s_delay_alu instid0(VALU_DEP_3) | instskip(NEXT) | instid1(VALU_DEP_1)
	v_add_co_u32 v6, s0, v6, v11
	v_add_co_ci_u32_e64 v7, s0, 0, v7, s0
	v_cndmask_b32_e64 v9, 0, 1, vcc_lo
	s_delay_alu instid0(VALU_DEP_3) | instskip(NEXT) | instid1(VALU_DEP_3)
	v_add_co_u32 v6, vcc_lo, v6, v12
	v_add_co_ci_u32_e32 v7, vcc_lo, 0, v7, vcc_lo
	v_cmp_gt_i64_e32 vcc_lo, v[4:5], v[22:23]
	s_delay_alu instid0(VALU_DEP_3) | instskip(NEXT) | instid1(VALU_DEP_1)
	v_add_co_u32 v6, s0, v6, v8
	v_add_co_ci_u32_e64 v7, s0, 0, v7, s0
	v_cndmask_b32_e64 v8, 0, 1, vcc_lo
	s_delay_alu instid0(VALU_DEP_3) | instskip(NEXT) | instid1(VALU_DEP_3)
	v_add_co_u32 v6, vcc_lo, v6, v9
	v_add_co_ci_u32_e32 v7, vcc_lo, 0, v7, vcc_lo
	s_delay_alu instid0(VALU_DEP_2) | instskip(NEXT) | instid1(VALU_DEP_2)
	v_add_co_u32 v6, vcc_lo, v6, v8
	v_add_co_ci_u32_e32 v7, vcc_lo, 0, v7, vcc_lo
	s_cbranch_scc0 .LBB145_121
; %bb.122:                              ;   in Loop: Header=BB145_119 Depth=1
	s_mov_b64 s[0:1], s[2:3]
.LBB145_123:                            ;   in Loop: Header=BB145_119 Depth=1
	s_and_not1_b32 vcc_lo, exec_lo, s13
	s_cbranch_vccnz .LBB145_118
; %bb.124:                              ;   in Loop: Header=BB145_119 Depth=1
	s_lshl_b32 s0, s0, 3
	s_delay_alu instid0(SALU_CYCLE_1)
	s_add_i32 s10, s0, 0
	s_mov_b64 s[0:1], s[6:7]
.LBB145_125:                            ;   Parent Loop BB145_119 Depth=1
                                        ; =>  This Inner Loop Header: Depth=2
	v_mov_b32_e32 v8, s10
	s_add_i32 s10, s10, 8
	s_add_u32 s0, s0, -1
	s_addc_u32 s1, s1, -1
	s_delay_alu instid0(SALU_CYCLE_1) | instskip(SKIP_4) | instid1(VALU_DEP_1)
	s_cmp_lg_u64 s[0:1], 0
	ds_load_b64 v[8:9], v8
	s_waitcnt lgkmcnt(0)
	v_cmp_gt_i64_e32 vcc_lo, v[4:5], v[8:9]
	v_cndmask_b32_e64 v8, 0, 1, vcc_lo
	v_add_co_u32 v6, vcc_lo, v6, v8
	v_add_co_ci_u32_e32 v7, vcc_lo, 0, v7, vcc_lo
	s_cbranch_scc1 .LBB145_125
	s_branch .LBB145_118
.LBB145_126:
	s_nop 0
	s_sendmsg sendmsg(MSG_DEALLOC_VGPRS)
	s_endpgm
	.section	.rodata,"a",@progbits
	.p2align	6, 0x0
	.amdhsa_kernel _ZN9rocsparseL26csrgemm_fill_block_per_rowILj1024ELj64ELj8192ELj137ELj32Ell21rocsparse_complex_numIfEEEvT5_PKS3_S5_NS_24const_host_device_scalarIT6_EEPKT4_S5_PKS7_SB_S5_SD_S8_SB_S5_SD_SB_PS3_PS7_21rocsparse_index_base_SG_SG_SG_bbb
		.amdhsa_group_segment_fixed_size 0
		.amdhsa_private_segment_fixed_size 0
		.amdhsa_kernarg_size 156
		.amdhsa_user_sgpr_count 15
		.amdhsa_user_sgpr_dispatch_ptr 0
		.amdhsa_user_sgpr_queue_ptr 0
		.amdhsa_user_sgpr_kernarg_segment_ptr 1
		.amdhsa_user_sgpr_dispatch_id 0
		.amdhsa_user_sgpr_private_segment_size 0
		.amdhsa_wavefront_size32 1
		.amdhsa_uses_dynamic_stack 0
		.amdhsa_enable_private_segment 0
		.amdhsa_system_sgpr_workgroup_id_x 1
		.amdhsa_system_sgpr_workgroup_id_y 0
		.amdhsa_system_sgpr_workgroup_id_z 0
		.amdhsa_system_sgpr_workgroup_info 0
		.amdhsa_system_vgpr_workitem_id 0
		.amdhsa_next_free_vgpr 27
		.amdhsa_next_free_sgpr 78
		.amdhsa_reserve_vcc 1
		.amdhsa_float_round_mode_32 0
		.amdhsa_float_round_mode_16_64 0
		.amdhsa_float_denorm_mode_32 3
		.amdhsa_float_denorm_mode_16_64 3
		.amdhsa_dx10_clamp 1
		.amdhsa_ieee_mode 1
		.amdhsa_fp16_overflow 0
		.amdhsa_workgroup_processor_mode 1
		.amdhsa_memory_ordered 1
		.amdhsa_forward_progress 0
		.amdhsa_shared_vgpr_count 0
		.amdhsa_exception_fp_ieee_invalid_op 0
		.amdhsa_exception_fp_denorm_src 0
		.amdhsa_exception_fp_ieee_div_zero 0
		.amdhsa_exception_fp_ieee_overflow 0
		.amdhsa_exception_fp_ieee_underflow 0
		.amdhsa_exception_fp_ieee_inexact 0
		.amdhsa_exception_int_div_zero 0
	.end_amdhsa_kernel
	.section	.text._ZN9rocsparseL26csrgemm_fill_block_per_rowILj1024ELj64ELj8192ELj137ELj32Ell21rocsparse_complex_numIfEEEvT5_PKS3_S5_NS_24const_host_device_scalarIT6_EEPKT4_S5_PKS7_SB_S5_SD_S8_SB_S5_SD_SB_PS3_PS7_21rocsparse_index_base_SG_SG_SG_bbb,"axG",@progbits,_ZN9rocsparseL26csrgemm_fill_block_per_rowILj1024ELj64ELj8192ELj137ELj32Ell21rocsparse_complex_numIfEEEvT5_PKS3_S5_NS_24const_host_device_scalarIT6_EEPKT4_S5_PKS7_SB_S5_SD_S8_SB_S5_SD_SB_PS3_PS7_21rocsparse_index_base_SG_SG_SG_bbb,comdat
.Lfunc_end145:
	.size	_ZN9rocsparseL26csrgemm_fill_block_per_rowILj1024ELj64ELj8192ELj137ELj32Ell21rocsparse_complex_numIfEEEvT5_PKS3_S5_NS_24const_host_device_scalarIT6_EEPKT4_S5_PKS7_SB_S5_SD_S8_SB_S5_SD_SB_PS3_PS7_21rocsparse_index_base_SG_SG_SG_bbb, .Lfunc_end145-_ZN9rocsparseL26csrgemm_fill_block_per_rowILj1024ELj64ELj8192ELj137ELj32Ell21rocsparse_complex_numIfEEEvT5_PKS3_S5_NS_24const_host_device_scalarIT6_EEPKT4_S5_PKS7_SB_S5_SD_S8_SB_S5_SD_SB_PS3_PS7_21rocsparse_index_base_SG_SG_SG_bbb
                                        ; -- End function
	.section	.AMDGPU.csdata,"",@progbits
; Kernel info:
; codeLenInByte = 5056
; NumSgprs: 80
; NumVgprs: 27
; ScratchSize: 0
; MemoryBound: 0
; FloatMode: 240
; IeeeMode: 1
; LDSByteSize: 0 bytes/workgroup (compile time only)
; SGPRBlocks: 9
; VGPRBlocks: 3
; NumSGPRsForWavesPerEU: 80
; NumVGPRsForWavesPerEU: 27
; Occupancy: 16
; WaveLimiterHint : 1
; COMPUTE_PGM_RSRC2:SCRATCH_EN: 0
; COMPUTE_PGM_RSRC2:USER_SGPR: 15
; COMPUTE_PGM_RSRC2:TRAP_HANDLER: 0
; COMPUTE_PGM_RSRC2:TGID_X_EN: 1
; COMPUTE_PGM_RSRC2:TGID_Y_EN: 0
; COMPUTE_PGM_RSRC2:TGID_Z_EN: 0
; COMPUTE_PGM_RSRC2:TIDIG_COMP_CNT: 0
	.section	.text._ZN9rocsparseL26csrgemm_fill_block_per_rowILj1024ELj64ELj8192ELj137ELj64Ell21rocsparse_complex_numIfEEEvT5_PKS3_S5_NS_24const_host_device_scalarIT6_EEPKT4_S5_PKS7_SB_S5_SD_S8_SB_S5_SD_SB_PS3_PS7_21rocsparse_index_base_SG_SG_SG_bbb,"axG",@progbits,_ZN9rocsparseL26csrgemm_fill_block_per_rowILj1024ELj64ELj8192ELj137ELj64Ell21rocsparse_complex_numIfEEEvT5_PKS3_S5_NS_24const_host_device_scalarIT6_EEPKT4_S5_PKS7_SB_S5_SD_S8_SB_S5_SD_SB_PS3_PS7_21rocsparse_index_base_SG_SG_SG_bbb,comdat
	.globl	_ZN9rocsparseL26csrgemm_fill_block_per_rowILj1024ELj64ELj8192ELj137ELj64Ell21rocsparse_complex_numIfEEEvT5_PKS3_S5_NS_24const_host_device_scalarIT6_EEPKT4_S5_PKS7_SB_S5_SD_S8_SB_S5_SD_SB_PS3_PS7_21rocsparse_index_base_SG_SG_SG_bbb ; -- Begin function _ZN9rocsparseL26csrgemm_fill_block_per_rowILj1024ELj64ELj8192ELj137ELj64Ell21rocsparse_complex_numIfEEEvT5_PKS3_S5_NS_24const_host_device_scalarIT6_EEPKT4_S5_PKS7_SB_S5_SD_S8_SB_S5_SD_SB_PS3_PS7_21rocsparse_index_base_SG_SG_SG_bbb
	.p2align	8
	.type	_ZN9rocsparseL26csrgemm_fill_block_per_rowILj1024ELj64ELj8192ELj137ELj64Ell21rocsparse_complex_numIfEEEvT5_PKS3_S5_NS_24const_host_device_scalarIT6_EEPKT4_S5_PKS7_SB_S5_SD_S8_SB_S5_SD_SB_PS3_PS7_21rocsparse_index_base_SG_SG_SG_bbb,@function
_ZN9rocsparseL26csrgemm_fill_block_per_rowILj1024ELj64ELj8192ELj137ELj64Ell21rocsparse_complex_numIfEEEvT5_PKS3_S5_NS_24const_host_device_scalarIT6_EEPKT4_S5_PKS7_SB_S5_SD_S8_SB_S5_SD_SB_PS3_PS7_21rocsparse_index_base_SG_SG_SG_bbb: ; @_ZN9rocsparseL26csrgemm_fill_block_per_rowILj1024ELj64ELj8192ELj137ELj64Ell21rocsparse_complex_numIfEEEvT5_PKS3_S5_NS_24const_host_device_scalarIT6_EEPKT4_S5_PKS7_SB_S5_SD_S8_SB_S5_SD_SB_PS3_PS7_21rocsparse_index_base_SG_SG_SG_bbb
; %bb.0:
	s_mov_b32 s42, s15
	s_clause 0x6
	s_load_b32 s33, s[0:1], 0x98
	s_load_b256 s[16:23], s[0:1], 0x60
	s_load_b256 s[4:11], s[0:1], 0x40
	s_load_b128 s[12:15], s[0:1], 0x8
	s_load_b256 s[24:31], s[0:1], 0x20
	s_load_b64 s[34:35], s[0:1], 0x80
	s_load_b128 s[36:39], s[0:1], 0x88
	s_mov_b32 s3, 0
	s_mov_b32 s44, 0
	s_waitcnt lgkmcnt(0)
	s_bitcmp1_b32 s33, 0
	s_cselect_b32 s46, -1, 0
	s_bitcmp1_b32 s33, 16
	s_cselect_b32 s2, -1, 0
	s_delay_alu instid0(SALU_CYCLE_1) | instskip(SKIP_2) | instid1(VALU_DEP_1)
	s_xor_b32 s40, s2, -1
	s_bitcmp0_b32 s33, 0
	v_cndmask_b32_e64 v1, 0, 1, s40
	v_cmp_ne_u32_e32 vcc_lo, 1, v1
	s_cbranch_scc1 .LBB146_5
; %bb.1:
	s_load_b64 s[2:3], s[0:1], 0x18
	s_and_b32 vcc_lo, exec_lo, vcc_lo
	s_waitcnt lgkmcnt(0)
	s_mov_b32 s44, s2
	s_cbranch_vccnz .LBB146_3
; %bb.2:
	s_load_b32 s44, s[2:3], 0x0
.LBB146_3:
	s_and_not1_b32 vcc_lo, exec_lo, s40
	s_cbranch_vccnz .LBB146_5
; %bb.4:
	s_load_b32 s3, s[2:3], 0x4
.LBB146_5:
	s_bitcmp1_b32 s33, 8
	s_cselect_b32 s45, -1, 0
	s_bfe_u32 s2, s33, 0x10008
	s_mov_b32 s33, 0
	s_cmp_eq_u32 s2, 0
	s_mov_b32 s2, 0
	s_cbranch_scc1 .LBB146_11
; %bb.6:
	v_cmp_ne_u32_e32 vcc_lo, 1, v1
	s_mov_b32 s2, s8
	s_cbranch_vccnz .LBB146_8
; %bb.7:
	s_load_b32 s2, s[8:9], 0x0
.LBB146_8:
	v_cmp_ne_u32_e32 vcc_lo, 1, v1
	s_cbranch_vccnz .LBB146_10
; %bb.9:
	s_load_b32 s9, s[8:9], 0x4
.LBB146_10:
	s_waitcnt lgkmcnt(0)
	s_mov_b32 s33, s9
.LBB146_11:
	s_load_b64 s[40:41], s[0:1], 0x0
	v_lshl_add_u32 v12, v0, 3, 0
	s_mov_b32 s43, 0
	s_delay_alu instid0(VALU_DEP_1) | instskip(SKIP_2) | instid1(VALU_DEP_2)
	v_add_nc_u32_e32 v11, 0x10000, v12
	s_waitcnt lgkmcnt(0)
	v_dual_mov_b32 v1, s40 :: v_dual_mov_b32 v2, s41
	v_dual_mov_b32 v19, 0 :: v_dual_add_nc_u32 v20, 0x2000, v11
	v_add_nc_u32_e32 v21, 0x4000, v11
	v_dual_mov_b32 v3, s40 :: v_dual_add_nc_u32 v22, 0x6000, v11
	v_dual_mov_b32 v5, s40 :: v_dual_add_nc_u32 v24, 0xa000, v11
	;; [unrolled: 1-line block ×3, first 2 shown]
	v_dual_mov_b32 v4, s41 :: v_dual_mov_b32 v9, s40
	v_mov_b32_e32 v13, s40
	v_mov_b32_e32 v15, s40
	v_dual_mov_b32 v17, s40 :: v_dual_mov_b32 v18, s41
	v_dual_mov_b32 v6, s41 :: v_dual_add_nc_u32 v23, 0x8000, v11
	v_dual_mov_b32 v8, s41 :: v_dual_add_nc_u32 v25, 0xc000, v11
	v_mov_b32_e32 v10, s41
	v_mov_b32_e32 v14, s41
	;; [unrolled: 1-line block ×3, first 2 shown]
	ds_store_2addr_b32 v11, v19, v19 offset1:1
	ds_store_2addr_b32 v20, v19, v19 offset1:1
	;; [unrolled: 1-line block ×4, first 2 shown]
	ds_store_2addr_stride64_b64 v12, v[1:2], v[3:4] offset1:16
	ds_store_2addr_stride64_b64 v12, v[5:6], v[7:8] offset0:32 offset1:48
	ds_store_2addr_stride64_b64 v12, v[9:10], v[13:14] offset0:64 offset1:80
	;; [unrolled: 1-line block ×3, first 2 shown]
	ds_store_2addr_b32 v23, v19, v19 offset1:1
	ds_store_2addr_b32 v24, v19, v19 offset1:1
	;; [unrolled: 1-line block ×4, first 2 shown]
	s_waitcnt lgkmcnt(0)
	s_barrier
	buffer_gl0_inv
	s_load_b64 s[0:1], s[12:13], 0x0
	v_lshrrev_b32_e32 v11, 6, v0
	s_waitcnt lgkmcnt(0)
	s_lshl_b64 s[0:1], s[0:1], 3
	s_delay_alu instid0(SALU_CYCLE_1) | instskip(SKIP_2) | instid1(SALU_CYCLE_1)
	s_add_u32 s8, s14, s0
	s_addc_u32 s9, s15, s1
	s_lshl_b64 s[0:1], s[42:43], 3
	s_add_u32 s0, s8, s0
	s_addc_u32 s1, s9, s1
	s_and_not1_b32 vcc_lo, exec_lo, s46
	s_load_b64 s[42:43], s[0:1], 0x0
	s_cbranch_vccnz .LBB146_31
; %bb.12:
	s_waitcnt lgkmcnt(0)
	s_lshl_b64 s[0:1], s[42:43], 3
	s_mov_b32 s8, exec_lo
	s_add_u32 s0, s24, s0
	s_addc_u32 s1, s25, s1
	s_load_b128 s[12:15], s[0:1], 0x0
	v_sub_co_u32 v1, s0, v11, s36
	s_delay_alu instid0(VALU_DEP_1) | instskip(SKIP_1) | instid1(VALU_DEP_2)
	v_sub_co_ci_u32_e64 v2, null, 0, 0, s0
	s_waitcnt lgkmcnt(0)
	v_add_co_u32 v1, vcc_lo, s12, v1
	s_delay_alu instid0(VALU_DEP_2)
	v_add_co_ci_u32_e32 v2, vcc_lo, s13, v2, vcc_lo
	s_sub_u32 s0, s14, s36
	s_subb_u32 s1, s15, 0
	s_delay_alu instid0(VALU_DEP_1) | instid1(SALU_CYCLE_1)
	v_cmpx_gt_i64_e64 s[0:1], v[1:2]
	s_cbranch_execz .LBB146_30
; %bb.13:
	v_and_b32_e32 v3, 63, v0
	s_mov_b32 s12, s37
	s_delay_alu instid0(VALU_DEP_1) | instskip(NEXT) | instid1(VALU_DEP_1)
	v_sub_co_u32 v13, s9, v3, s37
	v_sub_co_ci_u32_e64 v14, null, 0, 0, s9
	s_mov_b32 s9, 0
	s_branch .LBB146_15
.LBB146_14:                             ;   in Loop: Header=BB146_15 Depth=1
	s_or_b32 exec_lo, exec_lo, s13
	v_add_co_u32 v1, vcc_lo, v1, 16
	v_add_co_ci_u32_e32 v2, vcc_lo, 0, v2, vcc_lo
	s_delay_alu instid0(VALU_DEP_1) | instskip(SKIP_1) | instid1(SALU_CYCLE_1)
	v_cmp_le_i64_e32 vcc_lo, s[0:1], v[1:2]
	s_or_b32 s9, vcc_lo, s9
	s_and_not1_b32 exec_lo, exec_lo, s9
	s_cbranch_execz .LBB146_30
.LBB146_15:                             ; =>This Loop Header: Depth=1
                                        ;     Child Loop BB146_18 Depth 2
                                        ;       Child Loop BB146_20 Depth 3
	v_lshlrev_b64 v[7:8], 3, v[1:2]
	s_mov_b32 s13, exec_lo
	s_delay_alu instid0(VALU_DEP_1) | instskip(NEXT) | instid1(VALU_DEP_2)
	v_add_co_u32 v3, vcc_lo, s26, v7
	v_add_co_ci_u32_e32 v4, vcc_lo, s27, v8, vcc_lo
	global_load_b64 v[3:4], v[3:4], off
	s_waitcnt vmcnt(0)
	v_sub_co_u32 v3, vcc_lo, v3, s36
	v_subrev_co_ci_u32_e32 v4, vcc_lo, 0, v4, vcc_lo
	s_delay_alu instid0(VALU_DEP_1) | instskip(NEXT) | instid1(VALU_DEP_1)
	v_lshlrev_b64 v[3:4], 3, v[3:4]
	v_add_co_u32 v3, vcc_lo, s30, v3
	s_delay_alu instid0(VALU_DEP_2)
	v_add_co_ci_u32_e32 v4, vcc_lo, s31, v4, vcc_lo
	global_load_b128 v[15:18], v[3:4], off
	s_waitcnt vmcnt(0)
	v_sub_co_u32 v3, vcc_lo, v17, s12
	v_subrev_co_ci_u32_e32 v4, vcc_lo, 0, v18, vcc_lo
	v_add_co_u32 v5, vcc_lo, v15, v13
	v_add_co_ci_u32_e32 v6, vcc_lo, v16, v14, vcc_lo
	s_delay_alu instid0(VALU_DEP_1)
	v_cmpx_lt_i64_e64 v[5:6], v[3:4]
	s_cbranch_execz .LBB146_14
; %bb.16:                               ;   in Loop: Header=BB146_15 Depth=1
	v_add_co_u32 v7, vcc_lo, s28, v7
	v_add_co_ci_u32_e32 v8, vcc_lo, s29, v8, vcc_lo
	s_mov_b32 s14, 0
	global_load_b64 v[7:8], v[7:8], off
	s_waitcnt vmcnt(0)
	v_mul_f32_e64 v15, v8, -s3
	s_delay_alu instid0(VALU_DEP_1) | instskip(NEXT) | instid1(VALU_DEP_1)
	v_dual_mul_f32 v16, s44, v8 :: v_dual_fmac_f32 v15, s44, v7
	v_fmac_f32_e32 v16, s3, v7
	s_branch .LBB146_18
.LBB146_17:                             ;   in Loop: Header=BB146_18 Depth=2
	s_or_b32 exec_lo, exec_lo, s15
	v_add_co_u32 v5, vcc_lo, v5, 64
	v_add_co_ci_u32_e32 v6, vcc_lo, 0, v6, vcc_lo
	s_delay_alu instid0(VALU_DEP_1) | instskip(SKIP_1) | instid1(SALU_CYCLE_1)
	v_cmp_ge_i64_e32 vcc_lo, v[5:6], v[3:4]
	s_or_b32 s14, vcc_lo, s14
	s_and_not1_b32 exec_lo, exec_lo, s14
	s_cbranch_execz .LBB146_14
.LBB146_18:                             ;   Parent Loop BB146_15 Depth=1
                                        ; =>  This Loop Header: Depth=2
                                        ;       Child Loop BB146_20 Depth 3
	v_lshlrev_b64 v[7:8], 3, v[5:6]
	s_mov_b32 s15, 0
	s_delay_alu instid0(VALU_DEP_1) | instskip(NEXT) | instid1(VALU_DEP_2)
	v_add_co_u32 v9, vcc_lo, s4, v7
	v_add_co_ci_u32_e32 v10, vcc_lo, s5, v8, vcc_lo
	v_add_co_u32 v7, vcc_lo, s6, v7
	v_add_co_ci_u32_e32 v8, vcc_lo, s7, v8, vcc_lo
	global_load_b64 v[9:10], v[9:10], off
	global_load_b64 v[19:20], v[7:8], off
	s_waitcnt vmcnt(1)
	v_sub_co_u32 v7, vcc_lo, v9, s12
	v_subrev_co_ci_u32_e32 v8, vcc_lo, 0, v10, vcc_lo
	s_waitcnt vmcnt(0)
	v_mul_f32_e64 v17, v20, -v16
	s_delay_alu instid0(VALU_DEP_3) | instskip(SKIP_1) | instid1(VALU_DEP_3)
	v_mul_lo_u32 v9, 0x89, v7
	v_mul_f32_e32 v18, v15, v20
	v_fmac_f32_e32 v17, v15, v19
	s_delay_alu instid0(VALU_DEP_2)
	v_dual_fmac_f32 v18, v16, v19 :: v_dual_and_b32 v19, 0x1fff, v9
	s_branch .LBB146_20
.LBB146_19:                             ;   in Loop: Header=BB146_20 Depth=3
	s_or_b32 exec_lo, exec_lo, s24
	s_xor_b32 s24, s25, -1
	s_delay_alu instid0(SALU_CYCLE_1) | instskip(NEXT) | instid1(SALU_CYCLE_1)
	s_and_b32 s24, exec_lo, s24
	s_or_b32 s15, s24, s15
	s_delay_alu instid0(SALU_CYCLE_1)
	s_and_not1_b32 exec_lo, exec_lo, s15
	s_cbranch_execz .LBB146_17
.LBB146_20:                             ;   Parent Loop BB146_15 Depth=1
                                        ;     Parent Loop BB146_18 Depth=2
                                        ; =>    This Inner Loop Header: Depth=3
	s_delay_alu instid0(VALU_DEP_1)
	v_lshl_add_u32 v20, v19, 3, 0
	s_mov_b32 s24, exec_lo
                                        ; implicit-def: $sgpr25
	ds_load_b64 v[9:10], v20
	s_waitcnt lgkmcnt(0)
	v_cmpx_ne_u64_e64 v[9:10], v[7:8]
	s_xor_b32 s24, exec_lo, s24
	s_cbranch_execz .LBB146_28
; %bb.21:                               ;   in Loop: Header=BB146_20 Depth=3
	s_mov_b32 s37, exec_lo
                                        ; implicit-def: $sgpr25
	v_cmpx_ne_u64_e64 s[40:41], v[9:10]
	s_xor_b32 s37, exec_lo, s37
; %bb.22:                               ;   in Loop: Header=BB146_20 Depth=3
	v_add_nc_u32_e32 v9, 1, v19
	s_mov_b32 s25, -1
                                        ; implicit-def: $vgpr20
	s_delay_alu instid0(VALU_DEP_1)
	v_and_b32_e32 v19, 0x1fff, v9
; %bb.23:                               ;   in Loop: Header=BB146_20 Depth=3
	s_and_not1_saveexec_b32 s37, s37
	s_cbranch_execz .LBB146_27
; %bb.24:                               ;   in Loop: Header=BB146_20 Depth=3
	v_dual_mov_b32 v9, s40 :: v_dual_mov_b32 v10, s41
	s_mov_b32 s47, -1
	s_mov_b32 s46, exec_lo
	ds_cmpstore_rtn_b64 v[9:10], v20, v[7:8], v[9:10]
	s_waitcnt lgkmcnt(0)
	v_cmpx_eq_u64_e64 s[40:41], v[9:10]
	s_cbranch_execz .LBB146_26
; %bb.25:                               ;   in Loop: Header=BB146_20 Depth=3
	v_lshlrev_b32_e32 v9, 3, v19
	s_xor_b32 s47, exec_lo, -1
	s_delay_alu instid0(VALU_DEP_1)
	v_add3_u32 v9, 0, v9, 0x10000
	ds_add_f32 v9, v17
	ds_add_f32 v9, v18 offset:4
.LBB146_26:                             ;   in Loop: Header=BB146_20 Depth=3
	s_or_b32 exec_lo, exec_lo, s46
	s_delay_alu instid0(SALU_CYCLE_1) | instskip(SKIP_1) | instid1(SALU_CYCLE_1)
	s_and_not1_b32 s25, s25, exec_lo
	s_and_b32 s46, s47, exec_lo
	s_or_b32 s25, s25, s46
.LBB146_27:                             ;   in Loop: Header=BB146_20 Depth=3
	s_or_b32 exec_lo, exec_lo, s37
	s_delay_alu instid0(SALU_CYCLE_1)
	s_and_b32 s25, s25, exec_lo
.LBB146_28:                             ;   in Loop: Header=BB146_20 Depth=3
	s_and_not1_saveexec_b32 s24, s24
	s_cbranch_execz .LBB146_19
; %bb.29:                               ;   in Loop: Header=BB146_20 Depth=3
	v_lshlrev_b32_e32 v9, 3, v19
	s_and_not1_b32 s25, s25, exec_lo
	s_delay_alu instid0(VALU_DEP_1)
	v_add3_u32 v9, 0, v9, 0x10000
	ds_add_f32 v9, v17
	ds_add_f32 v9, v18 offset:4
	s_branch .LBB146_19
.LBB146_30:
	s_or_b32 exec_lo, exec_lo, s8
.LBB146_31:
	s_delay_alu instid0(SALU_CYCLE_1)
	s_and_not1_b32 vcc_lo, exec_lo, s45
	s_cbranch_vccnz .LBB146_48
; %bb.32:
	s_waitcnt lgkmcnt(0)
	s_lshl_b64 s[0:1], s[42:43], 3
	s_mov_b32 s3, 0
	s_add_u32 s0, s10, s0
	s_addc_u32 s1, s11, s1
	s_load_b128 s[4:7], s[0:1], 0x0
	v_sub_co_u32 v1, s0, v0, s39
	s_delay_alu instid0(VALU_DEP_1) | instskip(SKIP_1) | instid1(VALU_DEP_2)
	v_sub_co_ci_u32_e64 v2, null, 0, 0, s0
	s_waitcnt lgkmcnt(0)
	v_add_co_u32 v1, vcc_lo, s4, v1
	s_delay_alu instid0(VALU_DEP_2) | instskip(SKIP_3) | instid1(VALU_DEP_1)
	v_add_co_ci_u32_e32 v2, vcc_lo, s5, v2, vcc_lo
	s_sub_u32 s0, s6, s39
	s_subb_u32 s1, s7, 0
	s_mov_b32 s4, exec_lo
	v_cmpx_gt_i64_e64 s[0:1], v[1:2]
	s_cbranch_execz .LBB146_47
; %bb.33:
	s_mov_b32 s5, s39
	s_branch .LBB146_35
.LBB146_34:                             ;   in Loop: Header=BB146_35 Depth=1
	s_or_b32 exec_lo, exec_lo, s6
	v_add_co_u32 v1, vcc_lo, 0x400, v1
	v_add_co_ci_u32_e32 v2, vcc_lo, 0, v2, vcc_lo
	s_delay_alu instid0(VALU_DEP_1) | instskip(SKIP_1) | instid1(SALU_CYCLE_1)
	v_cmp_le_i64_e32 vcc_lo, s[0:1], v[1:2]
	s_or_b32 s3, vcc_lo, s3
	s_and_not1_b32 exec_lo, exec_lo, s3
	s_cbranch_execz .LBB146_47
.LBB146_35:                             ; =>This Loop Header: Depth=1
                                        ;     Child Loop BB146_37 Depth 2
	v_lshlrev_b64 v[3:4], 3, v[1:2]
	s_mov_b32 s6, 0
	s_delay_alu instid0(VALU_DEP_1) | instskip(NEXT) | instid1(VALU_DEP_2)
	v_add_co_u32 v5, vcc_lo, s16, v3
	v_add_co_ci_u32_e32 v6, vcc_lo, s17, v4, vcc_lo
	v_add_co_u32 v3, vcc_lo, s18, v3
	v_add_co_ci_u32_e32 v4, vcc_lo, s19, v4, vcc_lo
	global_load_b64 v[5:6], v[5:6], off
	global_load_b64 v[9:10], v[3:4], off
	s_waitcnt vmcnt(1)
	v_sub_co_u32 v3, vcc_lo, v5, s5
	v_subrev_co_ci_u32_e32 v4, vcc_lo, 0, v6, vcc_lo
	s_waitcnt vmcnt(0)
	v_mul_f32_e64 v7, v10, -s33
	s_delay_alu instid0(VALU_DEP_3) | instskip(NEXT) | instid1(VALU_DEP_2)
	v_mul_lo_u32 v5, 0x89, v3
	v_dual_mul_f32 v8, s2, v10 :: v_dual_fmac_f32 v7, s2, v9
	s_delay_alu instid0(VALU_DEP_1) | instskip(NEXT) | instid1(VALU_DEP_3)
	v_fmac_f32_e32 v8, s33, v9
	v_and_b32_e32 v9, 0x1fff, v5
	s_branch .LBB146_37
.LBB146_36:                             ;   in Loop: Header=BB146_37 Depth=2
	s_or_b32 exec_lo, exec_lo, s7
	s_xor_b32 s7, s8, -1
	s_delay_alu instid0(SALU_CYCLE_1) | instskip(NEXT) | instid1(SALU_CYCLE_1)
	s_and_b32 s7, exec_lo, s7
	s_or_b32 s6, s7, s6
	s_delay_alu instid0(SALU_CYCLE_1)
	s_and_not1_b32 exec_lo, exec_lo, s6
	s_cbranch_execz .LBB146_34
.LBB146_37:                             ;   Parent Loop BB146_35 Depth=1
                                        ; =>  This Inner Loop Header: Depth=2
	s_delay_alu instid0(VALU_DEP_1)
	v_lshl_add_u32 v10, v9, 3, 0
	s_mov_b32 s7, exec_lo
                                        ; implicit-def: $sgpr8
	ds_load_b64 v[5:6], v10
	s_waitcnt lgkmcnt(0)
	v_cmpx_ne_u64_e64 v[5:6], v[3:4]
	s_xor_b32 s7, exec_lo, s7
	s_cbranch_execz .LBB146_45
; %bb.38:                               ;   in Loop: Header=BB146_37 Depth=2
	s_mov_b32 s9, exec_lo
                                        ; implicit-def: $sgpr8
	v_cmpx_ne_u64_e64 s[40:41], v[5:6]
	s_xor_b32 s9, exec_lo, s9
; %bb.39:                               ;   in Loop: Header=BB146_37 Depth=2
	v_add_nc_u32_e32 v5, 1, v9
	s_mov_b32 s8, -1
                                        ; implicit-def: $vgpr10
	s_delay_alu instid0(VALU_DEP_1)
	v_and_b32_e32 v9, 0x1fff, v5
; %bb.40:                               ;   in Loop: Header=BB146_37 Depth=2
	s_and_not1_saveexec_b32 s9, s9
	s_cbranch_execz .LBB146_44
; %bb.41:                               ;   in Loop: Header=BB146_37 Depth=2
	v_dual_mov_b32 v5, s40 :: v_dual_mov_b32 v6, s41
	s_mov_b32 s11, -1
	s_mov_b32 s10, exec_lo
	ds_cmpstore_rtn_b64 v[5:6], v10, v[3:4], v[5:6]
	s_waitcnt lgkmcnt(0)
	v_cmpx_eq_u64_e64 s[40:41], v[5:6]
	s_cbranch_execz .LBB146_43
; %bb.42:                               ;   in Loop: Header=BB146_37 Depth=2
	v_lshlrev_b32_e32 v5, 3, v9
	s_xor_b32 s11, exec_lo, -1
	s_delay_alu instid0(VALU_DEP_1)
	v_add3_u32 v5, 0, v5, 0x10000
	ds_add_f32 v5, v7
	ds_add_f32 v5, v8 offset:4
.LBB146_43:                             ;   in Loop: Header=BB146_37 Depth=2
	s_or_b32 exec_lo, exec_lo, s10
	s_delay_alu instid0(SALU_CYCLE_1) | instskip(SKIP_1) | instid1(SALU_CYCLE_1)
	s_and_not1_b32 s8, s8, exec_lo
	s_and_b32 s10, s11, exec_lo
	s_or_b32 s8, s8, s10
.LBB146_44:                             ;   in Loop: Header=BB146_37 Depth=2
	s_or_b32 exec_lo, exec_lo, s9
	s_delay_alu instid0(SALU_CYCLE_1)
	s_and_b32 s8, s8, exec_lo
.LBB146_45:                             ;   in Loop: Header=BB146_37 Depth=2
	s_and_not1_saveexec_b32 s7, s7
	s_cbranch_execz .LBB146_36
; %bb.46:                               ;   in Loop: Header=BB146_37 Depth=2
	v_lshlrev_b32_e32 v5, 3, v9
	s_and_not1_b32 s8, s8, exec_lo
	s_delay_alu instid0(VALU_DEP_1)
	v_add3_u32 v5, 0, v5, 0x10000
	ds_add_f32 v5, v7
	ds_add_f32 v5, v8 offset:4
	s_branch .LBB146_36
.LBB146_47:
	s_or_b32 exec_lo, exec_lo, s4
.LBB146_48:
	v_mbcnt_lo_u32_b32 v1, -1, 0
	v_dual_mov_b32 v5, 0 :: v_dual_lshlrev_b32 v2, 3, v11
	s_add_i32 s36, 0, 0x20078
	v_cmp_eq_u32_e32 vcc_lo, 0x3ff, v0
	s_delay_alu instid0(VALU_DEP_3) | instskip(NEXT) | instid1(VALU_DEP_3)
	v_xor_b32_e32 v1, 63, v1
	v_add3_u32 v13, 0, 0x20000, v2
	v_cmp_lt_u32_e64 s0, 63, v0
	v_cmp_lt_u32_e64 s1, 0x7f, v0
	;; [unrolled: 1-line block ×3, first 2 shown]
	v_lshrrev_b64 v[1:2], v1, -1
	v_dual_mov_b32 v2, 0 :: v_dual_mov_b32 v15, s36
	v_cmp_lt_u32_e64 s3, 0xff, v0
	v_cmp_lt_u32_e64 s4, 0x13f, v0
	;; [unrolled: 1-line block ×12, first 2 shown]
	v_or_b32_e32 v14, 0xfffffc00, v0
	v_mov_b32_e32 v3, 0
	s_mov_b32 s17, 0
	s_add_i32 s18, 0, 0x20000
	s_add_i32 s19, 0, 0x20008
	;; [unrolled: 1-line block ×15, first 2 shown]
	s_waitcnt lgkmcnt(0)
	s_barrier
	buffer_gl0_inv
	s_branch .LBB146_50
.LBB146_49:                             ;   in Loop: Header=BB146_50 Depth=1
	s_or_b32 exec_lo, exec_lo, s15
	s_waitcnt lgkmcnt(0)
	s_barrier
	buffer_gl0_inv
	ds_load_b64 v[6:7], v15
	v_add_nc_u32_e32 v14, 0x400, v14
	v_add_nc_u32_e32 v12, 0x2000, v12
	s_delay_alu instid0(VALU_DEP_2) | instskip(NEXT) | instid1(VALU_DEP_1)
	v_cmp_lt_u32_e64 s15, 0x1bff, v14
	s_or_b32 s17, s15, s17
	s_waitcnt lgkmcnt(0)
	v_add_co_u32 v2, s16, v6, v2
	s_delay_alu instid0(VALU_DEP_1)
	v_add_co_ci_u32_e64 v3, s16, v7, v3, s16
	s_and_not1_b32 exec_lo, exec_lo, s17
	s_cbranch_execz .LBB146_84
.LBB146_50:                             ; =>This Inner Loop Header: Depth=1
	ds_load_b64 v[6:7], v12
	v_add_nc_u32_e32 v4, 0x10000, v12
	ds_load_2addr_b32 v[8:9], v4 offset1:1
	s_waitcnt lgkmcnt(0)
	s_barrier
	buffer_gl0_inv
	v_cmp_gt_i64_e64 s15, s[40:41], v[6:7]
	s_delay_alu instid0(VALU_DEP_1) | instskip(SKIP_1) | instid1(SALU_CYCLE_1)
	v_and_b32_e32 v10, s15, v1
	s_bcnt1_i32_b32 s16, s15
	v_mov_b32_e32 v4, s16
	s_delay_alu instid0(VALU_DEP_2)
	v_bcnt_u32_b32 v10, v10, 0
	ds_store_b64 v13, v[4:5]
	s_waitcnt lgkmcnt(0)
	s_barrier
	buffer_gl0_inv
	s_and_saveexec_b32 s16, s0
	s_cbranch_execnz .LBB146_67
; %bb.51:                               ;   in Loop: Header=BB146_50 Depth=1
	s_or_b32 exec_lo, exec_lo, s16
	s_and_saveexec_b32 s16, s1
	s_cbranch_execnz .LBB146_68
.LBB146_52:                             ;   in Loop: Header=BB146_50 Depth=1
	s_or_b32 exec_lo, exec_lo, s16
	s_and_saveexec_b32 s16, s2
	s_cbranch_execnz .LBB146_69
.LBB146_53:                             ;   in Loop: Header=BB146_50 Depth=1
	s_or_b32 exec_lo, exec_lo, s16
	s_and_saveexec_b32 s16, s3
	s_cbranch_execnz .LBB146_70
.LBB146_54:                             ;   in Loop: Header=BB146_50 Depth=1
	s_or_b32 exec_lo, exec_lo, s16
	s_and_saveexec_b32 s16, s4
	s_cbranch_execnz .LBB146_71
.LBB146_55:                             ;   in Loop: Header=BB146_50 Depth=1
	s_or_b32 exec_lo, exec_lo, s16
	s_and_saveexec_b32 s16, s5
	s_cbranch_execnz .LBB146_72
.LBB146_56:                             ;   in Loop: Header=BB146_50 Depth=1
	s_or_b32 exec_lo, exec_lo, s16
	s_and_saveexec_b32 s16, s6
	s_cbranch_execnz .LBB146_73
.LBB146_57:                             ;   in Loop: Header=BB146_50 Depth=1
	s_or_b32 exec_lo, exec_lo, s16
	s_and_saveexec_b32 s16, s7
	s_cbranch_execnz .LBB146_74
.LBB146_58:                             ;   in Loop: Header=BB146_50 Depth=1
	s_or_b32 exec_lo, exec_lo, s16
	s_and_saveexec_b32 s16, s8
	s_cbranch_execnz .LBB146_75
.LBB146_59:                             ;   in Loop: Header=BB146_50 Depth=1
	s_or_b32 exec_lo, exec_lo, s16
	s_and_saveexec_b32 s16, s9
	s_cbranch_execnz .LBB146_76
.LBB146_60:                             ;   in Loop: Header=BB146_50 Depth=1
	s_or_b32 exec_lo, exec_lo, s16
	s_and_saveexec_b32 s16, s10
	s_cbranch_execnz .LBB146_77
.LBB146_61:                             ;   in Loop: Header=BB146_50 Depth=1
	s_or_b32 exec_lo, exec_lo, s16
	s_and_saveexec_b32 s16, s11
	s_cbranch_execnz .LBB146_78
.LBB146_62:                             ;   in Loop: Header=BB146_50 Depth=1
	s_or_b32 exec_lo, exec_lo, s16
	s_and_saveexec_b32 s16, s12
	s_cbranch_execnz .LBB146_79
.LBB146_63:                             ;   in Loop: Header=BB146_50 Depth=1
	s_or_b32 exec_lo, exec_lo, s16
	s_and_saveexec_b32 s16, s13
	s_cbranch_execnz .LBB146_80
.LBB146_64:                             ;   in Loop: Header=BB146_50 Depth=1
	s_or_b32 exec_lo, exec_lo, s16
	s_and_saveexec_b32 s16, s14
	s_cbranch_execnz .LBB146_81
.LBB146_65:                             ;   in Loop: Header=BB146_50 Depth=1
	s_or_b32 exec_lo, exec_lo, s16
	v_ashrrev_i32_e32 v11, 31, v10
	s_and_saveexec_b32 s16, s15
	s_cbranch_execnz .LBB146_82
.LBB146_66:                             ;   in Loop: Header=BB146_50 Depth=1
	s_or_b32 exec_lo, exec_lo, s16
	s_and_saveexec_b32 s15, vcc_lo
	s_cbranch_execz .LBB146_49
	s_branch .LBB146_83
.LBB146_67:                             ;   in Loop: Header=BB146_50 Depth=1
	v_mov_b32_e32 v4, s18
	ds_load_b32 v4, v4
	s_waitcnt lgkmcnt(0)
	v_add_nc_u32_e32 v10, v4, v10
	s_or_b32 exec_lo, exec_lo, s16
	s_and_saveexec_b32 s16, s1
	s_cbranch_execz .LBB146_52
.LBB146_68:                             ;   in Loop: Header=BB146_50 Depth=1
	v_mov_b32_e32 v4, s19
	ds_load_b32 v4, v4
	s_waitcnt lgkmcnt(0)
	v_add_nc_u32_e32 v10, v10, v4
	s_or_b32 exec_lo, exec_lo, s16
	s_and_saveexec_b32 s16, s2
	s_cbranch_execz .LBB146_53
.LBB146_69:                             ;   in Loop: Header=BB146_50 Depth=1
	v_mov_b32_e32 v4, s24
	ds_load_b32 v4, v4
	s_waitcnt lgkmcnt(0)
	v_add_nc_u32_e32 v10, v10, v4
	s_or_b32 exec_lo, exec_lo, s16
	s_and_saveexec_b32 s16, s3
	s_cbranch_execz .LBB146_54
.LBB146_70:                             ;   in Loop: Header=BB146_50 Depth=1
	v_mov_b32_e32 v4, s25
	ds_load_b32 v4, v4
	s_waitcnt lgkmcnt(0)
	v_add_nc_u32_e32 v10, v10, v4
	s_or_b32 exec_lo, exec_lo, s16
	s_and_saveexec_b32 s16, s4
	s_cbranch_execz .LBB146_55
.LBB146_71:                             ;   in Loop: Header=BB146_50 Depth=1
	v_mov_b32_e32 v4, s26
	ds_load_b32 v4, v4
	s_waitcnt lgkmcnt(0)
	v_add_nc_u32_e32 v10, v10, v4
	s_or_b32 exec_lo, exec_lo, s16
	s_and_saveexec_b32 s16, s5
	s_cbranch_execz .LBB146_56
.LBB146_72:                             ;   in Loop: Header=BB146_50 Depth=1
	v_mov_b32_e32 v4, s27
	ds_load_b32 v4, v4
	s_waitcnt lgkmcnt(0)
	v_add_nc_u32_e32 v10, v10, v4
	s_or_b32 exec_lo, exec_lo, s16
	s_and_saveexec_b32 s16, s6
	s_cbranch_execz .LBB146_57
.LBB146_73:                             ;   in Loop: Header=BB146_50 Depth=1
	v_mov_b32_e32 v4, s28
	ds_load_b32 v4, v4
	s_waitcnt lgkmcnt(0)
	v_add_nc_u32_e32 v10, v10, v4
	s_or_b32 exec_lo, exec_lo, s16
	s_and_saveexec_b32 s16, s7
	s_cbranch_execz .LBB146_58
.LBB146_74:                             ;   in Loop: Header=BB146_50 Depth=1
	v_mov_b32_e32 v4, s29
	ds_load_b32 v4, v4
	s_waitcnt lgkmcnt(0)
	v_add_nc_u32_e32 v10, v10, v4
	s_or_b32 exec_lo, exec_lo, s16
	s_and_saveexec_b32 s16, s8
	s_cbranch_execz .LBB146_59
.LBB146_75:                             ;   in Loop: Header=BB146_50 Depth=1
	v_mov_b32_e32 v4, s30
	ds_load_b32 v4, v4
	s_waitcnt lgkmcnt(0)
	v_add_nc_u32_e32 v10, v10, v4
	s_or_b32 exec_lo, exec_lo, s16
	s_and_saveexec_b32 s16, s9
	s_cbranch_execz .LBB146_60
.LBB146_76:                             ;   in Loop: Header=BB146_50 Depth=1
	v_mov_b32_e32 v4, s31
	ds_load_b32 v4, v4
	s_waitcnt lgkmcnt(0)
	v_add_nc_u32_e32 v10, v10, v4
	s_or_b32 exec_lo, exec_lo, s16
	s_and_saveexec_b32 s16, s10
	s_cbranch_execz .LBB146_61
.LBB146_77:                             ;   in Loop: Header=BB146_50 Depth=1
	v_mov_b32_e32 v4, s33
	ds_load_b32 v4, v4
	s_waitcnt lgkmcnt(0)
	v_add_nc_u32_e32 v10, v10, v4
	s_or_b32 exec_lo, exec_lo, s16
	s_and_saveexec_b32 s16, s11
	s_cbranch_execz .LBB146_62
.LBB146_78:                             ;   in Loop: Header=BB146_50 Depth=1
	v_mov_b32_e32 v4, s37
	ds_load_b32 v4, v4
	s_waitcnt lgkmcnt(0)
	v_add_nc_u32_e32 v10, v10, v4
	s_or_b32 exec_lo, exec_lo, s16
	s_and_saveexec_b32 s16, s12
	s_cbranch_execz .LBB146_63
.LBB146_79:                             ;   in Loop: Header=BB146_50 Depth=1
	v_mov_b32_e32 v4, s39
	ds_load_b32 v4, v4
	s_waitcnt lgkmcnt(0)
	v_add_nc_u32_e32 v10, v10, v4
	s_or_b32 exec_lo, exec_lo, s16
	s_and_saveexec_b32 s16, s13
	s_cbranch_execz .LBB146_64
.LBB146_80:                             ;   in Loop: Header=BB146_50 Depth=1
	v_mov_b32_e32 v4, s44
	ds_load_b32 v4, v4
	s_waitcnt lgkmcnt(0)
	v_add_nc_u32_e32 v10, v10, v4
	s_or_b32 exec_lo, exec_lo, s16
	s_and_saveexec_b32 s16, s14
	s_cbranch_execz .LBB146_65
.LBB146_81:                             ;   in Loop: Header=BB146_50 Depth=1
	v_mov_b32_e32 v4, s45
	ds_load_b32 v4, v4
	s_waitcnt lgkmcnt(0)
	v_add_nc_u32_e32 v10, v10, v4
	s_or_b32 exec_lo, exec_lo, s16
	s_delay_alu instid0(VALU_DEP_1)
	v_ashrrev_i32_e32 v11, 31, v10
	s_and_saveexec_b32 s16, s15
	s_cbranch_execz .LBB146_66
.LBB146_82:                             ;   in Loop: Header=BB146_50 Depth=1
	v_add3_u32 v4, v2, -1, v10
	s_delay_alu instid0(VALU_DEP_1) | instskip(NEXT) | instid1(VALU_DEP_1)
	v_lshl_add_u32 v4, v4, 3, 0
	v_add_nc_u32_e32 v16, 0x10000, v4
	ds_store_b64 v4, v[6:7]
	ds_store_2addr_b32 v16, v8, v9 offset1:1
	s_or_b32 exec_lo, exec_lo, s16
	s_and_saveexec_b32 s15, vcc_lo
	s_cbranch_execz .LBB146_49
.LBB146_83:                             ;   in Loop: Header=BB146_50 Depth=1
	v_mov_b32_e32 v4, s36
	ds_store_b64 v4, v[10:11]
	s_branch .LBB146_49
.LBB146_84:
	s_or_b32 exec_lo, exec_lo, s17
	s_lshl_b64 s[0:1], s[42:43], 3
	v_mov_b32_e32 v1, 0
	s_add_u32 s0, s20, s0
	s_addc_u32 s1, s21, s1
	s_mov_b32 s6, exec_lo
	s_load_b128 s[0:3], s[0:1], 0x0
	s_waitcnt lgkmcnt(0)
	s_sub_u32 s4, s2, s0
	s_subb_u32 s5, s3, s1
	s_delay_alu instid0(SALU_CYCLE_1)
	v_cmpx_gt_i64_e64 s[4:5], v[0:1]
	s_cbranch_execz .LBB146_94
; %bb.85:
	s_sub_u32 s8, s0, s38
	s_subb_u32 s9, s1, 0
	s_and_b32 s6, s4, 7
	s_sub_u32 s0, s0, s2
	s_subb_u32 s1, s1, s3
	s_mov_b32 s7, 0
	v_cmp_lt_u64_e64 s12, s[0:1], -7
	s_and_b32 s2, s4, -8
	s_cmp_lg_u64 s[6:7], 0
	s_mov_b32 s3, s5
	s_cselect_b32 s13, -1, 0
	s_mov_b32 s14, s7
	s_branch .LBB146_87
.LBB146_86:                             ;   in Loop: Header=BB146_87 Depth=1
	s_waitcnt lgkmcnt(1)
	v_add_co_u32 v4, vcc_lo, v4, s38
	v_lshlrev_b64 v[6:7], 3, v[6:7]
	v_add_co_ci_u32_e32 v5, vcc_lo, 0, v5, vcc_lo
	v_add_co_u32 v0, vcc_lo, 0x400, v0
	v_add_co_ci_u32_e32 v1, vcc_lo, 0, v1, vcc_lo
	s_delay_alu instid0(VALU_DEP_4) | instskip(SKIP_1) | instid1(VALU_DEP_3)
	v_add_co_u32 v8, vcc_lo, s22, v6
	v_add_co_ci_u32_e32 v9, vcc_lo, s23, v7, vcc_lo
	v_cmp_le_i64_e32 vcc_lo, s[4:5], v[0:1]
	v_add_co_u32 v6, s0, s34, v6
	s_delay_alu instid0(VALU_DEP_1) | instskip(SKIP_4) | instid1(SALU_CYCLE_1)
	v_add_co_ci_u32_e64 v7, s0, s35, v7, s0
	global_store_b64 v[8:9], v[4:5], off
	s_waitcnt lgkmcnt(0)
	global_store_b64 v[6:7], v[2:3], off
	s_or_b32 s14, vcc_lo, s14
	s_and_not1_b32 exec_lo, exec_lo, s14
	s_cbranch_execz .LBB146_94
.LBB146_87:                             ; =>This Loop Header: Depth=1
                                        ;     Child Loop BB146_89 Depth 2
                                        ;     Child Loop BB146_93 Depth 2
	v_lshl_add_u32 v2, v0, 3, 0
	s_and_not1_b32 vcc_lo, exec_lo, s12
	s_mov_b64 s[0:1], 0
	v_dual_mov_b32 v6, s8 :: v_dual_mov_b32 v7, s9
	s_delay_alu instid0(VALU_DEP_2)
	v_add_nc_u32_e32 v3, 0x10000, v2
	ds_load_b64 v[4:5], v2
	ds_load_2addr_b32 v[2:3], v3 offset1:1
	s_cbranch_vccnz .LBB146_91
; %bb.88:                               ;   in Loop: Header=BB146_87 Depth=1
	v_dual_mov_b32 v6, s8 :: v_dual_mov_b32 v7, s9
	s_mov_b64 s[10:11], 0
	s_mov_b32 s1, 0
.LBB146_89:                             ;   Parent Loop BB146_87 Depth=1
                                        ; =>  This Inner Loop Header: Depth=2
	s_delay_alu instid0(SALU_CYCLE_1)
	v_mov_b32_e32 v20, s1
	s_add_u32 s10, s10, 8
	s_addc_u32 s11, s11, 0
	s_add_i32 s1, s1, 64
	s_cmp_eq_u64 s[2:3], s[10:11]
	ds_load_2addr_b64 v[8:11], v20 offset1:1
	ds_load_2addr_b64 v[12:15], v20 offset0:2 offset1:3
	ds_load_2addr_b64 v[16:19], v20 offset0:4 offset1:5
	;; [unrolled: 1-line block ×3, first 2 shown]
	s_waitcnt lgkmcnt(3)
	v_cmp_gt_i64_e32 vcc_lo, v[4:5], v[8:9]
	v_cndmask_b32_e64 v8, 0, 1, vcc_lo
	v_cmp_gt_i64_e32 vcc_lo, v[4:5], v[10:11]
	v_cndmask_b32_e64 v9, 0, 1, vcc_lo
	s_waitcnt lgkmcnt(2)
	v_cmp_gt_i64_e32 vcc_lo, v[4:5], v[12:13]
	v_cndmask_b32_e64 v10, 0, 1, vcc_lo
	v_cmp_gt_i64_e32 vcc_lo, v[4:5], v[14:15]
	v_cndmask_b32_e64 v11, 0, 1, vcc_lo
	s_waitcnt lgkmcnt(1)
	v_cmp_gt_i64_e32 vcc_lo, v[4:5], v[16:17]
	v_cndmask_b32_e64 v12, 0, 1, vcc_lo
	v_add_co_u32 v6, vcc_lo, v6, v8
	v_add_co_ci_u32_e32 v7, vcc_lo, 0, v7, vcc_lo
	v_cmp_gt_i64_e32 vcc_lo, v[4:5], v[18:19]
	s_delay_alu instid0(VALU_DEP_3) | instskip(NEXT) | instid1(VALU_DEP_1)
	v_add_co_u32 v6, s0, v6, v9
	v_add_co_ci_u32_e64 v7, s0, 0, v7, s0
	v_cndmask_b32_e64 v8, 0, 1, vcc_lo
	s_delay_alu instid0(VALU_DEP_3) | instskip(NEXT) | instid1(VALU_DEP_3)
	v_add_co_u32 v6, vcc_lo, v6, v10
	v_add_co_ci_u32_e32 v7, vcc_lo, 0, v7, vcc_lo
	s_waitcnt lgkmcnt(0)
	v_cmp_gt_i64_e32 vcc_lo, v[4:5], v[20:21]
	s_delay_alu instid0(VALU_DEP_3) | instskip(NEXT) | instid1(VALU_DEP_1)
	v_add_co_u32 v6, s0, v6, v11
	v_add_co_ci_u32_e64 v7, s0, 0, v7, s0
	v_cndmask_b32_e64 v9, 0, 1, vcc_lo
	s_delay_alu instid0(VALU_DEP_3) | instskip(NEXT) | instid1(VALU_DEP_3)
	v_add_co_u32 v6, vcc_lo, v6, v12
	v_add_co_ci_u32_e32 v7, vcc_lo, 0, v7, vcc_lo
	v_cmp_gt_i64_e32 vcc_lo, v[4:5], v[22:23]
	s_delay_alu instid0(VALU_DEP_3) | instskip(NEXT) | instid1(VALU_DEP_1)
	v_add_co_u32 v6, s0, v6, v8
	v_add_co_ci_u32_e64 v7, s0, 0, v7, s0
	v_cndmask_b32_e64 v8, 0, 1, vcc_lo
	s_delay_alu instid0(VALU_DEP_3) | instskip(NEXT) | instid1(VALU_DEP_3)
	v_add_co_u32 v6, vcc_lo, v6, v9
	v_add_co_ci_u32_e32 v7, vcc_lo, 0, v7, vcc_lo
	s_delay_alu instid0(VALU_DEP_2) | instskip(NEXT) | instid1(VALU_DEP_2)
	v_add_co_u32 v6, vcc_lo, v6, v8
	v_add_co_ci_u32_e32 v7, vcc_lo, 0, v7, vcc_lo
	s_cbranch_scc0 .LBB146_89
; %bb.90:                               ;   in Loop: Header=BB146_87 Depth=1
	s_mov_b64 s[0:1], s[2:3]
.LBB146_91:                             ;   in Loop: Header=BB146_87 Depth=1
	s_and_not1_b32 vcc_lo, exec_lo, s13
	s_cbranch_vccnz .LBB146_86
; %bb.92:                               ;   in Loop: Header=BB146_87 Depth=1
	s_lshl_b32 s0, s0, 3
	s_delay_alu instid0(SALU_CYCLE_1)
	s_add_i32 s10, s0, 0
	s_mov_b64 s[0:1], s[6:7]
.LBB146_93:                             ;   Parent Loop BB146_87 Depth=1
                                        ; =>  This Inner Loop Header: Depth=2
	v_mov_b32_e32 v8, s10
	s_add_i32 s10, s10, 8
	s_add_u32 s0, s0, -1
	s_addc_u32 s1, s1, -1
	s_delay_alu instid0(SALU_CYCLE_1) | instskip(SKIP_4) | instid1(VALU_DEP_1)
	s_cmp_lg_u64 s[0:1], 0
	ds_load_b64 v[8:9], v8
	s_waitcnt lgkmcnt(0)
	v_cmp_gt_i64_e32 vcc_lo, v[4:5], v[8:9]
	v_cndmask_b32_e64 v8, 0, 1, vcc_lo
	v_add_co_u32 v6, vcc_lo, v6, v8
	v_add_co_ci_u32_e32 v7, vcc_lo, 0, v7, vcc_lo
	s_cbranch_scc1 .LBB146_93
	s_branch .LBB146_86
.LBB146_94:
	s_nop 0
	s_sendmsg sendmsg(MSG_DEALLOC_VGPRS)
	s_endpgm
	.section	.rodata,"a",@progbits
	.p2align	6, 0x0
	.amdhsa_kernel _ZN9rocsparseL26csrgemm_fill_block_per_rowILj1024ELj64ELj8192ELj137ELj64Ell21rocsparse_complex_numIfEEEvT5_PKS3_S5_NS_24const_host_device_scalarIT6_EEPKT4_S5_PKS7_SB_S5_SD_S8_SB_S5_SD_SB_PS3_PS7_21rocsparse_index_base_SG_SG_SG_bbb
		.amdhsa_group_segment_fixed_size 0
		.amdhsa_private_segment_fixed_size 0
		.amdhsa_kernarg_size 156
		.amdhsa_user_sgpr_count 15
		.amdhsa_user_sgpr_dispatch_ptr 0
		.amdhsa_user_sgpr_queue_ptr 0
		.amdhsa_user_sgpr_kernarg_segment_ptr 1
		.amdhsa_user_sgpr_dispatch_id 0
		.amdhsa_user_sgpr_private_segment_size 0
		.amdhsa_wavefront_size32 1
		.amdhsa_uses_dynamic_stack 0
		.amdhsa_enable_private_segment 0
		.amdhsa_system_sgpr_workgroup_id_x 1
		.amdhsa_system_sgpr_workgroup_id_y 0
		.amdhsa_system_sgpr_workgroup_id_z 0
		.amdhsa_system_sgpr_workgroup_info 0
		.amdhsa_system_vgpr_workitem_id 0
		.amdhsa_next_free_vgpr 27
		.amdhsa_next_free_sgpr 48
		.amdhsa_reserve_vcc 1
		.amdhsa_float_round_mode_32 0
		.amdhsa_float_round_mode_16_64 0
		.amdhsa_float_denorm_mode_32 3
		.amdhsa_float_denorm_mode_16_64 3
		.amdhsa_dx10_clamp 1
		.amdhsa_ieee_mode 1
		.amdhsa_fp16_overflow 0
		.amdhsa_workgroup_processor_mode 1
		.amdhsa_memory_ordered 1
		.amdhsa_forward_progress 0
		.amdhsa_shared_vgpr_count 0
		.amdhsa_exception_fp_ieee_invalid_op 0
		.amdhsa_exception_fp_denorm_src 0
		.amdhsa_exception_fp_ieee_div_zero 0
		.amdhsa_exception_fp_ieee_overflow 0
		.amdhsa_exception_fp_ieee_underflow 0
		.amdhsa_exception_fp_ieee_inexact 0
		.amdhsa_exception_int_div_zero 0
	.end_amdhsa_kernel
	.section	.text._ZN9rocsparseL26csrgemm_fill_block_per_rowILj1024ELj64ELj8192ELj137ELj64Ell21rocsparse_complex_numIfEEEvT5_PKS3_S5_NS_24const_host_device_scalarIT6_EEPKT4_S5_PKS7_SB_S5_SD_S8_SB_S5_SD_SB_PS3_PS7_21rocsparse_index_base_SG_SG_SG_bbb,"axG",@progbits,_ZN9rocsparseL26csrgemm_fill_block_per_rowILj1024ELj64ELj8192ELj137ELj64Ell21rocsparse_complex_numIfEEEvT5_PKS3_S5_NS_24const_host_device_scalarIT6_EEPKT4_S5_PKS7_SB_S5_SD_S8_SB_S5_SD_SB_PS3_PS7_21rocsparse_index_base_SG_SG_SG_bbb,comdat
.Lfunc_end146:
	.size	_ZN9rocsparseL26csrgemm_fill_block_per_rowILj1024ELj64ELj8192ELj137ELj64Ell21rocsparse_complex_numIfEEEvT5_PKS3_S5_NS_24const_host_device_scalarIT6_EEPKT4_S5_PKS7_SB_S5_SD_S8_SB_S5_SD_SB_PS3_PS7_21rocsparse_index_base_SG_SG_SG_bbb, .Lfunc_end146-_ZN9rocsparseL26csrgemm_fill_block_per_rowILj1024ELj64ELj8192ELj137ELj64Ell21rocsparse_complex_numIfEEEvT5_PKS3_S5_NS_24const_host_device_scalarIT6_EEPKT4_S5_PKS7_SB_S5_SD_S8_SB_S5_SD_SB_PS3_PS7_21rocsparse_index_base_SG_SG_SG_bbb
                                        ; -- End function
	.section	.AMDGPU.csdata,"",@progbits
; Kernel info:
; codeLenInByte = 4028
; NumSgprs: 50
; NumVgprs: 27
; ScratchSize: 0
; MemoryBound: 0
; FloatMode: 240
; IeeeMode: 1
; LDSByteSize: 0 bytes/workgroup (compile time only)
; SGPRBlocks: 6
; VGPRBlocks: 3
; NumSGPRsForWavesPerEU: 50
; NumVGPRsForWavesPerEU: 27
; Occupancy: 16
; WaveLimiterHint : 1
; COMPUTE_PGM_RSRC2:SCRATCH_EN: 0
; COMPUTE_PGM_RSRC2:USER_SGPR: 15
; COMPUTE_PGM_RSRC2:TRAP_HANDLER: 0
; COMPUTE_PGM_RSRC2:TGID_X_EN: 1
; COMPUTE_PGM_RSRC2:TGID_Y_EN: 0
; COMPUTE_PGM_RSRC2:TGID_Z_EN: 0
; COMPUTE_PGM_RSRC2:TIDIG_COMP_CNT: 0
	.section	.text._ZN9rocsparseL26csrgemm_fill_block_per_rowILj1024ELj64ELj16384ELj137ELj32Ell21rocsparse_complex_numIfEEEvT5_PKS3_S5_NS_24const_host_device_scalarIT6_EEPKT4_S5_PKS7_SB_S5_SD_S8_SB_S5_SD_SB_PS3_PS7_21rocsparse_index_base_SG_SG_SG_bbb,"axG",@progbits,_ZN9rocsparseL26csrgemm_fill_block_per_rowILj1024ELj64ELj16384ELj137ELj32Ell21rocsparse_complex_numIfEEEvT5_PKS3_S5_NS_24const_host_device_scalarIT6_EEPKT4_S5_PKS7_SB_S5_SD_S8_SB_S5_SD_SB_PS3_PS7_21rocsparse_index_base_SG_SG_SG_bbb,comdat
	.globl	_ZN9rocsparseL26csrgemm_fill_block_per_rowILj1024ELj64ELj16384ELj137ELj32Ell21rocsparse_complex_numIfEEEvT5_PKS3_S5_NS_24const_host_device_scalarIT6_EEPKT4_S5_PKS7_SB_S5_SD_S8_SB_S5_SD_SB_PS3_PS7_21rocsparse_index_base_SG_SG_SG_bbb ; -- Begin function _ZN9rocsparseL26csrgemm_fill_block_per_rowILj1024ELj64ELj16384ELj137ELj32Ell21rocsparse_complex_numIfEEEvT5_PKS3_S5_NS_24const_host_device_scalarIT6_EEPKT4_S5_PKS7_SB_S5_SD_S8_SB_S5_SD_SB_PS3_PS7_21rocsparse_index_base_SG_SG_SG_bbb
	.p2align	8
	.type	_ZN9rocsparseL26csrgemm_fill_block_per_rowILj1024ELj64ELj16384ELj137ELj32Ell21rocsparse_complex_numIfEEEvT5_PKS3_S5_NS_24const_host_device_scalarIT6_EEPKT4_S5_PKS7_SB_S5_SD_S8_SB_S5_SD_SB_PS3_PS7_21rocsparse_index_base_SG_SG_SG_bbb,@function
_ZN9rocsparseL26csrgemm_fill_block_per_rowILj1024ELj64ELj16384ELj137ELj32Ell21rocsparse_complex_numIfEEEvT5_PKS3_S5_NS_24const_host_device_scalarIT6_EEPKT4_S5_PKS7_SB_S5_SD_S8_SB_S5_SD_SB_PS3_PS7_21rocsparse_index_base_SG_SG_SG_bbb: ; @_ZN9rocsparseL26csrgemm_fill_block_per_rowILj1024ELj64ELj16384ELj137ELj32Ell21rocsparse_complex_numIfEEEvT5_PKS3_S5_NS_24const_host_device_scalarIT6_EEPKT4_S5_PKS7_SB_S5_SD_S8_SB_S5_SD_SB_PS3_PS7_21rocsparse_index_base_SG_SG_SG_bbb
; %bb.0:
	s_mov_b32 s24, s15
	s_clause 0x6
	s_load_b32 s25, s[0:1], 0x98
	s_load_b256 s[36:43], s[0:1], 0x60
	s_load_b256 s[4:11], s[0:1], 0x40
	s_load_b128 s[20:23], s[0:1], 0x8
	s_load_b256 s[12:19], s[0:1], 0x20
	s_load_b64 s[34:35], s[0:1], 0x80
	s_load_b128 s[44:47], s[0:1], 0x88
	s_mov_b32 s3, 0
	s_mov_b32 s27, 0
	s_waitcnt lgkmcnt(0)
	s_bitcmp1_b32 s25, 0
	s_cselect_b32 s29, -1, 0
	s_bitcmp1_b32 s25, 16
	s_cselect_b32 s2, -1, 0
	s_delay_alu instid0(SALU_CYCLE_1) | instskip(SKIP_2) | instid1(VALU_DEP_1)
	s_xor_b32 s26, s2, -1
	s_bitcmp0_b32 s25, 0
	v_cndmask_b32_e64 v1, 0, 1, s26
	v_cmp_ne_u32_e32 vcc_lo, 1, v1
	s_cbranch_scc1 .LBB147_5
; %bb.1:
	s_load_b64 s[2:3], s[0:1], 0x18
	s_and_b32 vcc_lo, exec_lo, vcc_lo
	s_waitcnt lgkmcnt(0)
	s_mov_b32 s27, s2
	s_cbranch_vccnz .LBB147_3
; %bb.2:
	s_load_b32 s27, s[2:3], 0x0
.LBB147_3:
	s_and_not1_b32 vcc_lo, exec_lo, s26
	s_cbranch_vccnz .LBB147_5
; %bb.4:
	s_load_b32 s3, s[2:3], 0x4
.LBB147_5:
	s_bitcmp1_b32 s25, 8
	s_mov_b32 s26, 0
	s_cselect_b32 s28, -1, 0
	s_bfe_u32 s2, s25, 0x10008
	s_delay_alu instid0(SALU_CYCLE_1)
	s_cmp_eq_u32 s2, 0
	s_mov_b32 s2, 0
	s_cbranch_scc1 .LBB147_11
; %bb.6:
	v_cmp_ne_u32_e32 vcc_lo, 1, v1
	s_mov_b32 s2, s8
	s_cbranch_vccnz .LBB147_8
; %bb.7:
	s_load_b32 s2, s[8:9], 0x0
.LBB147_8:
	v_cmp_ne_u32_e32 vcc_lo, 1, v1
	s_cbranch_vccnz .LBB147_10
; %bb.9:
	s_load_b32 s9, s[8:9], 0x4
.LBB147_10:
	s_waitcnt lgkmcnt(0)
	s_mov_b32 s26, s9
.LBB147_11:
	s_load_b64 s[48:49], s[0:1], 0x0
	v_lshl_add_u32 v12, v0, 3, 0
	v_or_b32_e32 v13, 0xfffffc00, v0
	v_mov_b32_e32 v3, 0
	s_mov_b32 s0, 0
	s_delay_alu instid0(VALU_DEP_2)
	v_dual_mov_b32 v4, v12 :: v_dual_mov_b32 v5, v13
	s_waitcnt lgkmcnt(0)
	v_dual_mov_b32 v1, s48 :: v_dual_mov_b32 v2, s49
.LBB147_12:                             ; =>This Inner Loop Header: Depth=1
	s_delay_alu instid0(VALU_DEP_2) | instskip(NEXT) | instid1(VALU_DEP_3)
	v_add_nc_u32_e32 v5, 0x400, v5
	v_add_nc_u32_e32 v6, 0x20000, v4
	ds_store_b64 v4, v[1:2]
	v_add_nc_u32_e32 v4, 0x2000, v4
	v_cmp_lt_u32_e32 vcc_lo, 0x3bff, v5
	ds_store_2addr_b32 v6, v3, v3 offset1:1
	s_or_b32 s0, vcc_lo, s0
	s_delay_alu instid0(SALU_CYCLE_1)
	s_and_not1_b32 exec_lo, exec_lo, s0
	s_cbranch_execnz .LBB147_12
; %bb.13:
	s_or_b32 exec_lo, exec_lo, s0
	s_waitcnt lgkmcnt(0)
	s_barrier
	buffer_gl0_inv
	s_load_b64 s[0:1], s[20:21], 0x0
	s_mov_b32 s25, 0
	s_waitcnt lgkmcnt(0)
	s_lshl_b64 s[0:1], s[0:1], 3
	s_delay_alu instid0(SALU_CYCLE_1) | instskip(SKIP_2) | instid1(SALU_CYCLE_1)
	s_add_u32 s8, s22, s0
	s_addc_u32 s9, s23, s1
	s_lshl_b64 s[0:1], s[24:25], 3
	s_add_u32 s0, s8, s0
	s_addc_u32 s1, s9, s1
	s_and_b32 vcc_lo, exec_lo, s29
	s_load_b64 s[50:51], s[0:1], 0x0
	s_cbranch_vccz .LBB147_33
; %bb.14:
	s_waitcnt lgkmcnt(0)
	s_lshl_b64 s[0:1], s[50:51], 3
	v_lshrrev_b32_e32 v1, 6, v0
	s_add_u32 s0, s12, s0
	s_addc_u32 s1, s13, s1
	s_mov_b32 s8, exec_lo
	s_load_b128 s[20:23], s[0:1], 0x0
	v_sub_co_u32 v1, s0, v1, s44
	s_delay_alu instid0(VALU_DEP_1) | instskip(SKIP_1) | instid1(VALU_DEP_2)
	v_sub_co_ci_u32_e64 v2, null, 0, 0, s0
	s_waitcnt lgkmcnt(0)
	v_add_co_u32 v1, vcc_lo, s20, v1
	s_delay_alu instid0(VALU_DEP_2)
	v_add_co_ci_u32_e32 v2, vcc_lo, s21, v2, vcc_lo
	s_sub_u32 s0, s22, s44
	s_subb_u32 s1, s23, 0
	s_delay_alu instid0(VALU_DEP_1) | instid1(SALU_CYCLE_1)
	v_cmpx_gt_i64_e64 s[0:1], v[1:2]
	s_cbranch_execz .LBB147_32
; %bb.15:
	v_and_b32_e32 v3, 63, v0
	s_mov_b32 s12, s45
	s_delay_alu instid0(VALU_DEP_1) | instskip(NEXT) | instid1(VALU_DEP_1)
	v_sub_co_u32 v11, s9, v3, s45
	v_sub_co_ci_u32_e64 v14, null, 0, 0, s9
	s_mov_b32 s9, 0
	s_branch .LBB147_17
.LBB147_16:                             ;   in Loop: Header=BB147_17 Depth=1
	s_or_b32 exec_lo, exec_lo, s13
	v_add_co_u32 v1, vcc_lo, v1, 16
	v_add_co_ci_u32_e32 v2, vcc_lo, 0, v2, vcc_lo
	s_delay_alu instid0(VALU_DEP_1) | instskip(SKIP_1) | instid1(SALU_CYCLE_1)
	v_cmp_le_i64_e32 vcc_lo, s[0:1], v[1:2]
	s_or_b32 s9, vcc_lo, s9
	s_and_not1_b32 exec_lo, exec_lo, s9
	s_cbranch_execz .LBB147_32
.LBB147_17:                             ; =>This Loop Header: Depth=1
                                        ;     Child Loop BB147_20 Depth 2
                                        ;       Child Loop BB147_22 Depth 3
	v_lshlrev_b64 v[7:8], 3, v[1:2]
	s_mov_b32 s13, exec_lo
	s_delay_alu instid0(VALU_DEP_1) | instskip(NEXT) | instid1(VALU_DEP_2)
	v_add_co_u32 v3, vcc_lo, s14, v7
	v_add_co_ci_u32_e32 v4, vcc_lo, s15, v8, vcc_lo
	global_load_b64 v[3:4], v[3:4], off
	s_waitcnt vmcnt(0)
	v_sub_co_u32 v3, vcc_lo, v3, s44
	v_subrev_co_ci_u32_e32 v4, vcc_lo, 0, v4, vcc_lo
	s_delay_alu instid0(VALU_DEP_1) | instskip(NEXT) | instid1(VALU_DEP_1)
	v_lshlrev_b64 v[3:4], 3, v[3:4]
	v_add_co_u32 v3, vcc_lo, s18, v3
	s_delay_alu instid0(VALU_DEP_2)
	v_add_co_ci_u32_e32 v4, vcc_lo, s19, v4, vcc_lo
	global_load_b128 v[15:18], v[3:4], off
	s_waitcnt vmcnt(0)
	v_sub_co_u32 v3, vcc_lo, v17, s12
	v_subrev_co_ci_u32_e32 v4, vcc_lo, 0, v18, vcc_lo
	v_add_co_u32 v5, vcc_lo, v15, v11
	v_add_co_ci_u32_e32 v6, vcc_lo, v16, v14, vcc_lo
	s_delay_alu instid0(VALU_DEP_1)
	v_cmpx_lt_i64_e64 v[5:6], v[3:4]
	s_cbranch_execz .LBB147_16
; %bb.18:                               ;   in Loop: Header=BB147_17 Depth=1
	v_add_co_u32 v7, vcc_lo, s16, v7
	v_add_co_ci_u32_e32 v8, vcc_lo, s17, v8, vcc_lo
	s_mov_b32 s20, 0
	global_load_b64 v[7:8], v[7:8], off
	s_waitcnt vmcnt(0)
	v_mul_f32_e64 v15, v8, -s3
	s_delay_alu instid0(VALU_DEP_1) | instskip(NEXT) | instid1(VALU_DEP_1)
	v_dual_mul_f32 v16, s27, v8 :: v_dual_fmac_f32 v15, s27, v7
	v_fmac_f32_e32 v16, s3, v7
	s_branch .LBB147_20
.LBB147_19:                             ;   in Loop: Header=BB147_20 Depth=2
	s_or_b32 exec_lo, exec_lo, s21
	v_add_co_u32 v5, vcc_lo, v5, 64
	v_add_co_ci_u32_e32 v6, vcc_lo, 0, v6, vcc_lo
	s_delay_alu instid0(VALU_DEP_1) | instskip(SKIP_1) | instid1(SALU_CYCLE_1)
	v_cmp_ge_i64_e32 vcc_lo, v[5:6], v[3:4]
	s_or_b32 s20, vcc_lo, s20
	s_and_not1_b32 exec_lo, exec_lo, s20
	s_cbranch_execz .LBB147_16
.LBB147_20:                             ;   Parent Loop BB147_17 Depth=1
                                        ; =>  This Loop Header: Depth=2
                                        ;       Child Loop BB147_22 Depth 3
	v_lshlrev_b64 v[7:8], 3, v[5:6]
	s_mov_b32 s21, 0
	s_delay_alu instid0(VALU_DEP_1) | instskip(NEXT) | instid1(VALU_DEP_2)
	v_add_co_u32 v9, vcc_lo, s4, v7
	v_add_co_ci_u32_e32 v10, vcc_lo, s5, v8, vcc_lo
	v_add_co_u32 v7, vcc_lo, s6, v7
	v_add_co_ci_u32_e32 v8, vcc_lo, s7, v8, vcc_lo
	global_load_b64 v[9:10], v[9:10], off
	global_load_b64 v[19:20], v[7:8], off
	s_waitcnt vmcnt(1)
	v_sub_co_u32 v7, vcc_lo, v9, s12
	v_subrev_co_ci_u32_e32 v8, vcc_lo, 0, v10, vcc_lo
	s_waitcnt vmcnt(0)
	v_mul_f32_e64 v17, v20, -v16
	s_delay_alu instid0(VALU_DEP_3) | instskip(SKIP_1) | instid1(VALU_DEP_3)
	v_mul_lo_u32 v9, 0x89, v7
	v_mul_f32_e32 v18, v15, v20
	v_fmac_f32_e32 v17, v15, v19
	s_delay_alu instid0(VALU_DEP_2)
	v_dual_fmac_f32 v18, v16, v19 :: v_dual_and_b32 v19, 0x3fff, v9
	s_branch .LBB147_22
.LBB147_21:                             ;   in Loop: Header=BB147_22 Depth=3
	s_or_b32 exec_lo, exec_lo, s22
	s_xor_b32 s22, s23, -1
	s_delay_alu instid0(SALU_CYCLE_1) | instskip(NEXT) | instid1(SALU_CYCLE_1)
	s_and_b32 s22, exec_lo, s22
	s_or_b32 s21, s22, s21
	s_delay_alu instid0(SALU_CYCLE_1)
	s_and_not1_b32 exec_lo, exec_lo, s21
	s_cbranch_execz .LBB147_19
.LBB147_22:                             ;   Parent Loop BB147_17 Depth=1
                                        ;     Parent Loop BB147_20 Depth=2
                                        ; =>    This Inner Loop Header: Depth=3
	s_delay_alu instid0(VALU_DEP_1)
	v_lshl_add_u32 v20, v19, 3, 0
	s_mov_b32 s22, exec_lo
                                        ; implicit-def: $sgpr23
	ds_load_b64 v[9:10], v20
	s_waitcnt lgkmcnt(0)
	v_cmpx_ne_u64_e64 v[9:10], v[7:8]
	s_xor_b32 s22, exec_lo, s22
	s_cbranch_execz .LBB147_30
; %bb.23:                               ;   in Loop: Header=BB147_22 Depth=3
	s_mov_b32 s24, exec_lo
                                        ; implicit-def: $sgpr23
	v_cmpx_ne_u64_e64 s[48:49], v[9:10]
	s_xor_b32 s24, exec_lo, s24
; %bb.24:                               ;   in Loop: Header=BB147_22 Depth=3
	v_add_nc_u32_e32 v9, 1, v19
	s_mov_b32 s23, -1
                                        ; implicit-def: $vgpr20
	s_delay_alu instid0(VALU_DEP_1)
	v_and_b32_e32 v19, 0x3fff, v9
; %bb.25:                               ;   in Loop: Header=BB147_22 Depth=3
	s_and_not1_saveexec_b32 s24, s24
	s_cbranch_execz .LBB147_29
; %bb.26:                               ;   in Loop: Header=BB147_22 Depth=3
	v_dual_mov_b32 v9, s48 :: v_dual_mov_b32 v10, s49
	s_mov_b32 s29, -1
	s_mov_b32 s25, exec_lo
	ds_cmpstore_rtn_b64 v[9:10], v20, v[7:8], v[9:10]
	s_waitcnt lgkmcnt(0)
	v_cmpx_eq_u64_e64 s[48:49], v[9:10]
	s_cbranch_execz .LBB147_28
; %bb.27:                               ;   in Loop: Header=BB147_22 Depth=3
	v_lshlrev_b32_e32 v9, 3, v19
	s_xor_b32 s29, exec_lo, -1
	s_delay_alu instid0(VALU_DEP_1)
	v_add3_u32 v9, 0, v9, 0x20000
	ds_add_f32 v9, v17
	ds_add_f32 v9, v18 offset:4
.LBB147_28:                             ;   in Loop: Header=BB147_22 Depth=3
	s_or_b32 exec_lo, exec_lo, s25
	s_delay_alu instid0(SALU_CYCLE_1) | instskip(SKIP_1) | instid1(SALU_CYCLE_1)
	s_and_not1_b32 s23, s23, exec_lo
	s_and_b32 s25, s29, exec_lo
	s_or_b32 s23, s23, s25
.LBB147_29:                             ;   in Loop: Header=BB147_22 Depth=3
	s_or_b32 exec_lo, exec_lo, s24
	s_delay_alu instid0(SALU_CYCLE_1)
	s_and_b32 s23, s23, exec_lo
.LBB147_30:                             ;   in Loop: Header=BB147_22 Depth=3
	s_and_not1_saveexec_b32 s22, s22
	s_cbranch_execz .LBB147_21
; %bb.31:                               ;   in Loop: Header=BB147_22 Depth=3
	v_lshlrev_b32_e32 v9, 3, v19
	s_and_not1_b32 s23, s23, exec_lo
	s_delay_alu instid0(VALU_DEP_1)
	v_add3_u32 v9, 0, v9, 0x20000
	ds_add_f32 v9, v17
	ds_add_f32 v9, v18 offset:4
	s_branch .LBB147_21
.LBB147_32:
	s_or_b32 exec_lo, exec_lo, s8
.LBB147_33:
	s_delay_alu instid0(SALU_CYCLE_1)
	s_and_not1_b32 vcc_lo, exec_lo, s28
	s_cbranch_vccnz .LBB147_50
; %bb.34:
	s_waitcnt lgkmcnt(0)
	s_lshl_b64 s[0:1], s[50:51], 3
	s_mov_b32 s3, 0
	s_add_u32 s0, s10, s0
	s_addc_u32 s1, s11, s1
	s_load_b128 s[4:7], s[0:1], 0x0
	v_sub_co_u32 v1, s0, v0, s47
	s_delay_alu instid0(VALU_DEP_1) | instskip(SKIP_1) | instid1(VALU_DEP_2)
	v_sub_co_ci_u32_e64 v2, null, 0, 0, s0
	s_waitcnt lgkmcnt(0)
	v_add_co_u32 v1, vcc_lo, s4, v1
	s_delay_alu instid0(VALU_DEP_2) | instskip(SKIP_3) | instid1(VALU_DEP_1)
	v_add_co_ci_u32_e32 v2, vcc_lo, s5, v2, vcc_lo
	s_sub_u32 s0, s6, s47
	s_subb_u32 s1, s7, 0
	s_mov_b32 s4, exec_lo
	v_cmpx_gt_i64_e64 s[0:1], v[1:2]
	s_cbranch_execz .LBB147_49
; %bb.35:
	s_mov_b32 s5, s47
	s_branch .LBB147_37
.LBB147_36:                             ;   in Loop: Header=BB147_37 Depth=1
	s_or_b32 exec_lo, exec_lo, s6
	v_add_co_u32 v1, vcc_lo, 0x400, v1
	v_add_co_ci_u32_e32 v2, vcc_lo, 0, v2, vcc_lo
	s_delay_alu instid0(VALU_DEP_1) | instskip(SKIP_1) | instid1(SALU_CYCLE_1)
	v_cmp_le_i64_e32 vcc_lo, s[0:1], v[1:2]
	s_or_b32 s3, vcc_lo, s3
	s_and_not1_b32 exec_lo, exec_lo, s3
	s_cbranch_execz .LBB147_49
.LBB147_37:                             ; =>This Loop Header: Depth=1
                                        ;     Child Loop BB147_39 Depth 2
	v_lshlrev_b64 v[3:4], 3, v[1:2]
	s_mov_b32 s6, 0
	s_delay_alu instid0(VALU_DEP_1) | instskip(NEXT) | instid1(VALU_DEP_2)
	v_add_co_u32 v5, vcc_lo, s36, v3
	v_add_co_ci_u32_e32 v6, vcc_lo, s37, v4, vcc_lo
	v_add_co_u32 v3, vcc_lo, s38, v3
	v_add_co_ci_u32_e32 v4, vcc_lo, s39, v4, vcc_lo
	global_load_b64 v[5:6], v[5:6], off
	global_load_b64 v[9:10], v[3:4], off
	s_waitcnt vmcnt(1)
	v_sub_co_u32 v3, vcc_lo, v5, s5
	v_subrev_co_ci_u32_e32 v4, vcc_lo, 0, v6, vcc_lo
	s_waitcnt vmcnt(0)
	v_mul_f32_e64 v7, v10, -s26
	s_delay_alu instid0(VALU_DEP_3) | instskip(NEXT) | instid1(VALU_DEP_2)
	v_mul_lo_u32 v5, 0x89, v3
	v_dual_mul_f32 v8, s2, v10 :: v_dual_fmac_f32 v7, s2, v9
	s_delay_alu instid0(VALU_DEP_1) | instskip(NEXT) | instid1(VALU_DEP_3)
	v_fmac_f32_e32 v8, s26, v9
	v_and_b32_e32 v9, 0x3fff, v5
	s_branch .LBB147_39
.LBB147_38:                             ;   in Loop: Header=BB147_39 Depth=2
	s_or_b32 exec_lo, exec_lo, s7
	s_xor_b32 s7, s8, -1
	s_delay_alu instid0(SALU_CYCLE_1) | instskip(NEXT) | instid1(SALU_CYCLE_1)
	s_and_b32 s7, exec_lo, s7
	s_or_b32 s6, s7, s6
	s_delay_alu instid0(SALU_CYCLE_1)
	s_and_not1_b32 exec_lo, exec_lo, s6
	s_cbranch_execz .LBB147_36
.LBB147_39:                             ;   Parent Loop BB147_37 Depth=1
                                        ; =>  This Inner Loop Header: Depth=2
	s_delay_alu instid0(VALU_DEP_1)
	v_lshl_add_u32 v10, v9, 3, 0
	s_mov_b32 s7, exec_lo
                                        ; implicit-def: $sgpr8
	ds_load_b64 v[5:6], v10
	s_waitcnt lgkmcnt(0)
	v_cmpx_ne_u64_e64 v[5:6], v[3:4]
	s_xor_b32 s7, exec_lo, s7
	s_cbranch_execz .LBB147_47
; %bb.40:                               ;   in Loop: Header=BB147_39 Depth=2
	s_mov_b32 s9, exec_lo
                                        ; implicit-def: $sgpr8
	v_cmpx_ne_u64_e64 s[48:49], v[5:6]
	s_xor_b32 s9, exec_lo, s9
; %bb.41:                               ;   in Loop: Header=BB147_39 Depth=2
	v_add_nc_u32_e32 v5, 1, v9
	s_mov_b32 s8, -1
                                        ; implicit-def: $vgpr10
	s_delay_alu instid0(VALU_DEP_1)
	v_and_b32_e32 v9, 0x3fff, v5
; %bb.42:                               ;   in Loop: Header=BB147_39 Depth=2
	s_and_not1_saveexec_b32 s9, s9
	s_cbranch_execz .LBB147_46
; %bb.43:                               ;   in Loop: Header=BB147_39 Depth=2
	v_dual_mov_b32 v5, s48 :: v_dual_mov_b32 v6, s49
	s_mov_b32 s11, -1
	s_mov_b32 s10, exec_lo
	ds_cmpstore_rtn_b64 v[5:6], v10, v[3:4], v[5:6]
	s_waitcnt lgkmcnt(0)
	v_cmpx_eq_u64_e64 s[48:49], v[5:6]
	s_cbranch_execz .LBB147_45
; %bb.44:                               ;   in Loop: Header=BB147_39 Depth=2
	v_lshlrev_b32_e32 v5, 3, v9
	s_xor_b32 s11, exec_lo, -1
	s_delay_alu instid0(VALU_DEP_1)
	v_add3_u32 v5, 0, v5, 0x20000
	ds_add_f32 v5, v7
	ds_add_f32 v5, v8 offset:4
.LBB147_45:                             ;   in Loop: Header=BB147_39 Depth=2
	s_or_b32 exec_lo, exec_lo, s10
	s_delay_alu instid0(SALU_CYCLE_1) | instskip(SKIP_1) | instid1(SALU_CYCLE_1)
	s_and_not1_b32 s8, s8, exec_lo
	s_and_b32 s10, s11, exec_lo
	s_or_b32 s8, s8, s10
.LBB147_46:                             ;   in Loop: Header=BB147_39 Depth=2
	s_or_b32 exec_lo, exec_lo, s9
	s_delay_alu instid0(SALU_CYCLE_1)
	s_and_b32 s8, s8, exec_lo
.LBB147_47:                             ;   in Loop: Header=BB147_39 Depth=2
	s_and_not1_saveexec_b32 s7, s7
	s_cbranch_execz .LBB147_38
; %bb.48:                               ;   in Loop: Header=BB147_39 Depth=2
	v_lshlrev_b32_e32 v5, 3, v9
	s_and_not1_b32 s8, s8, exec_lo
	s_delay_alu instid0(VALU_DEP_1)
	v_add3_u32 v5, 0, v5, 0x20000
	ds_add_f32 v5, v7
	ds_add_f32 v5, v8 offset:4
	s_branch .LBB147_38
.LBB147_49:
	s_or_b32 exec_lo, exec_lo, s4
.LBB147_50:
	v_mbcnt_lo_u32_b32 v1, -1, 0
	v_lshrrev_b32_e32 v2, 2, v0
	s_add_i32 s73, 0, 0x400f8
	v_cmp_eq_u32_e32 vcc_lo, 0x3ff, v0
	v_cmp_lt_u32_e64 s0, 31, v0
	v_xor_b32_e32 v1, 63, v1
	v_and_b32_e32 v3, 0xf8, v2
	v_cmp_lt_u32_e64 s1, 63, v0
	v_cmp_lt_u32_e64 s2, 0x5f, v0
	;; [unrolled: 1-line block ×3, first 2 shown]
	v_lshrrev_b64 v[1:2], v1, -1
	v_add3_u32 v14, 0, 0x40000, v3
	v_dual_mov_b32 v2, 0 :: v_dual_mov_b32 v5, 0
	v_cmp_lt_u32_e64 s4, 0x9f, v0
	v_cmp_lt_u32_e64 s5, 0xbf, v0
	;; [unrolled: 1-line block ×27, first 2 shown]
	v_mov_b32_e32 v3, 0
	v_mov_b32_e32 v15, s73
	s_mov_b32 s36, 0
	s_add_i32 s37, 0, 0x40000
	s_add_i32 s38, 0, 0x40008
	;; [unrolled: 1-line block ×31, first 2 shown]
	s_waitcnt lgkmcnt(0)
	s_barrier
	buffer_gl0_inv
	s_branch .LBB147_52
.LBB147_51:                             ;   in Loop: Header=BB147_52 Depth=1
	s_or_b32 exec_lo, exec_lo, s31
	s_waitcnt lgkmcnt(0)
	s_barrier
	buffer_gl0_inv
	ds_load_b64 v[6:7], v15
	v_add_nc_u32_e32 v13, 0x400, v13
	v_add_nc_u32_e32 v12, 0x2000, v12
	s_delay_alu instid0(VALU_DEP_2) | instskip(NEXT) | instid1(VALU_DEP_1)
	v_cmp_lt_u32_e64 s31, 0x3bff, v13
	s_or_b32 s36, s31, s36
	s_waitcnt lgkmcnt(0)
	v_add_co_u32 v2, s33, v6, v2
	s_delay_alu instid0(VALU_DEP_1)
	v_add_co_ci_u32_e64 v3, s33, v7, v3, s33
	s_and_not1_b32 exec_lo, exec_lo, s36
	s_cbranch_execz .LBB147_118
.LBB147_52:                             ; =>This Inner Loop Header: Depth=1
	ds_load_b64 v[6:7], v12
	v_add_nc_u32_e32 v4, 0x20000, v12
	ds_load_2addr_b32 v[8:9], v4 offset1:1
	s_waitcnt lgkmcnt(0)
	s_barrier
	buffer_gl0_inv
	v_cmp_gt_i64_e64 s31, s[48:49], v[6:7]
	s_delay_alu instid0(VALU_DEP_1) | instskip(SKIP_1) | instid1(SALU_CYCLE_1)
	v_and_b32_e32 v10, s31, v1
	s_bcnt1_i32_b32 s33, s31
	v_mov_b32_e32 v4, s33
	s_delay_alu instid0(VALU_DEP_2)
	v_bcnt_u32_b32 v10, v10, 0
	ds_store_b64 v14, v[4:5]
	s_waitcnt lgkmcnt(0)
	s_barrier
	buffer_gl0_inv
	s_and_saveexec_b32 s33, s0
	s_cbranch_execnz .LBB147_85
; %bb.53:                               ;   in Loop: Header=BB147_52 Depth=1
	s_or_b32 exec_lo, exec_lo, s33
	s_and_saveexec_b32 s33, s1
	s_cbranch_execnz .LBB147_86
.LBB147_54:                             ;   in Loop: Header=BB147_52 Depth=1
	s_or_b32 exec_lo, exec_lo, s33
	s_and_saveexec_b32 s33, s2
	s_cbranch_execnz .LBB147_87
.LBB147_55:                             ;   in Loop: Header=BB147_52 Depth=1
	s_or_b32 exec_lo, exec_lo, s33
	s_and_saveexec_b32 s33, s3
	s_cbranch_execnz .LBB147_88
.LBB147_56:                             ;   in Loop: Header=BB147_52 Depth=1
	s_or_b32 exec_lo, exec_lo, s33
	s_and_saveexec_b32 s33, s4
	s_cbranch_execnz .LBB147_89
.LBB147_57:                             ;   in Loop: Header=BB147_52 Depth=1
	s_or_b32 exec_lo, exec_lo, s33
	s_and_saveexec_b32 s33, s5
	s_cbranch_execnz .LBB147_90
.LBB147_58:                             ;   in Loop: Header=BB147_52 Depth=1
	s_or_b32 exec_lo, exec_lo, s33
	s_and_saveexec_b32 s33, s6
	s_cbranch_execnz .LBB147_91
.LBB147_59:                             ;   in Loop: Header=BB147_52 Depth=1
	s_or_b32 exec_lo, exec_lo, s33
	s_and_saveexec_b32 s33, s7
	s_cbranch_execnz .LBB147_92
.LBB147_60:                             ;   in Loop: Header=BB147_52 Depth=1
	s_or_b32 exec_lo, exec_lo, s33
	s_and_saveexec_b32 s33, s8
	s_cbranch_execnz .LBB147_93
.LBB147_61:                             ;   in Loop: Header=BB147_52 Depth=1
	s_or_b32 exec_lo, exec_lo, s33
	s_and_saveexec_b32 s33, s9
	s_cbranch_execnz .LBB147_94
.LBB147_62:                             ;   in Loop: Header=BB147_52 Depth=1
	s_or_b32 exec_lo, exec_lo, s33
	s_and_saveexec_b32 s33, s10
	s_cbranch_execnz .LBB147_95
.LBB147_63:                             ;   in Loop: Header=BB147_52 Depth=1
	s_or_b32 exec_lo, exec_lo, s33
	s_and_saveexec_b32 s33, s11
	s_cbranch_execnz .LBB147_96
.LBB147_64:                             ;   in Loop: Header=BB147_52 Depth=1
	s_or_b32 exec_lo, exec_lo, s33
	s_and_saveexec_b32 s33, s12
	s_cbranch_execnz .LBB147_97
.LBB147_65:                             ;   in Loop: Header=BB147_52 Depth=1
	s_or_b32 exec_lo, exec_lo, s33
	s_and_saveexec_b32 s33, s13
	s_cbranch_execnz .LBB147_98
.LBB147_66:                             ;   in Loop: Header=BB147_52 Depth=1
	s_or_b32 exec_lo, exec_lo, s33
	s_and_saveexec_b32 s33, s14
	s_cbranch_execnz .LBB147_99
.LBB147_67:                             ;   in Loop: Header=BB147_52 Depth=1
	s_or_b32 exec_lo, exec_lo, s33
	s_and_saveexec_b32 s33, s15
	s_cbranch_execnz .LBB147_100
.LBB147_68:                             ;   in Loop: Header=BB147_52 Depth=1
	s_or_b32 exec_lo, exec_lo, s33
	s_and_saveexec_b32 s33, s16
	s_cbranch_execnz .LBB147_101
.LBB147_69:                             ;   in Loop: Header=BB147_52 Depth=1
	s_or_b32 exec_lo, exec_lo, s33
	s_and_saveexec_b32 s33, s17
	s_cbranch_execnz .LBB147_102
.LBB147_70:                             ;   in Loop: Header=BB147_52 Depth=1
	s_or_b32 exec_lo, exec_lo, s33
	s_and_saveexec_b32 s33, s18
	s_cbranch_execnz .LBB147_103
.LBB147_71:                             ;   in Loop: Header=BB147_52 Depth=1
	s_or_b32 exec_lo, exec_lo, s33
	s_and_saveexec_b32 s33, s19
	s_cbranch_execnz .LBB147_104
.LBB147_72:                             ;   in Loop: Header=BB147_52 Depth=1
	s_or_b32 exec_lo, exec_lo, s33
	s_and_saveexec_b32 s33, s20
	s_cbranch_execnz .LBB147_105
.LBB147_73:                             ;   in Loop: Header=BB147_52 Depth=1
	s_or_b32 exec_lo, exec_lo, s33
	s_and_saveexec_b32 s33, s21
	s_cbranch_execnz .LBB147_106
.LBB147_74:                             ;   in Loop: Header=BB147_52 Depth=1
	s_or_b32 exec_lo, exec_lo, s33
	s_and_saveexec_b32 s33, s22
	s_cbranch_execnz .LBB147_107
.LBB147_75:                             ;   in Loop: Header=BB147_52 Depth=1
	s_or_b32 exec_lo, exec_lo, s33
	s_and_saveexec_b32 s33, s23
	s_cbranch_execnz .LBB147_108
.LBB147_76:                             ;   in Loop: Header=BB147_52 Depth=1
	s_or_b32 exec_lo, exec_lo, s33
	s_and_saveexec_b32 s33, s24
	s_cbranch_execnz .LBB147_109
.LBB147_77:                             ;   in Loop: Header=BB147_52 Depth=1
	s_or_b32 exec_lo, exec_lo, s33
	s_and_saveexec_b32 s33, s25
	s_cbranch_execnz .LBB147_110
.LBB147_78:                             ;   in Loop: Header=BB147_52 Depth=1
	s_or_b32 exec_lo, exec_lo, s33
	s_and_saveexec_b32 s33, s26
	s_cbranch_execnz .LBB147_111
.LBB147_79:                             ;   in Loop: Header=BB147_52 Depth=1
	s_or_b32 exec_lo, exec_lo, s33
	s_and_saveexec_b32 s33, s27
	s_cbranch_execnz .LBB147_112
.LBB147_80:                             ;   in Loop: Header=BB147_52 Depth=1
	s_or_b32 exec_lo, exec_lo, s33
	s_and_saveexec_b32 s33, s28
	s_cbranch_execnz .LBB147_113
.LBB147_81:                             ;   in Loop: Header=BB147_52 Depth=1
	s_or_b32 exec_lo, exec_lo, s33
	s_and_saveexec_b32 s33, s29
	s_cbranch_execnz .LBB147_114
.LBB147_82:                             ;   in Loop: Header=BB147_52 Depth=1
	s_or_b32 exec_lo, exec_lo, s33
	s_and_saveexec_b32 s33, s30
	s_cbranch_execnz .LBB147_115
.LBB147_83:                             ;   in Loop: Header=BB147_52 Depth=1
	s_or_b32 exec_lo, exec_lo, s33
	v_ashrrev_i32_e32 v11, 31, v10
	s_and_saveexec_b32 s33, s31
	s_cbranch_execnz .LBB147_116
.LBB147_84:                             ;   in Loop: Header=BB147_52 Depth=1
	s_or_b32 exec_lo, exec_lo, s33
	s_and_saveexec_b32 s31, vcc_lo
	s_cbranch_execz .LBB147_51
	s_branch .LBB147_117
.LBB147_85:                             ;   in Loop: Header=BB147_52 Depth=1
	v_mov_b32_e32 v4, s37
	ds_load_b32 v4, v4
	s_waitcnt lgkmcnt(0)
	v_add_nc_u32_e32 v10, v4, v10
	s_or_b32 exec_lo, exec_lo, s33
	s_and_saveexec_b32 s33, s1
	s_cbranch_execz .LBB147_54
.LBB147_86:                             ;   in Loop: Header=BB147_52 Depth=1
	v_mov_b32_e32 v4, s38
	ds_load_b32 v4, v4
	s_waitcnt lgkmcnt(0)
	v_add_nc_u32_e32 v10, v10, v4
	s_or_b32 exec_lo, exec_lo, s33
	s_and_saveexec_b32 s33, s2
	s_cbranch_execz .LBB147_55
.LBB147_87:                             ;   in Loop: Header=BB147_52 Depth=1
	v_mov_b32_e32 v4, s39
	ds_load_b32 v4, v4
	s_waitcnt lgkmcnt(0)
	v_add_nc_u32_e32 v10, v10, v4
	s_or_b32 exec_lo, exec_lo, s33
	s_and_saveexec_b32 s33, s3
	s_cbranch_execz .LBB147_56
.LBB147_88:                             ;   in Loop: Header=BB147_52 Depth=1
	v_mov_b32_e32 v4, s44
	ds_load_b32 v4, v4
	s_waitcnt lgkmcnt(0)
	v_add_nc_u32_e32 v10, v10, v4
	s_or_b32 exec_lo, exec_lo, s33
	s_and_saveexec_b32 s33, s4
	s_cbranch_execz .LBB147_57
.LBB147_89:                             ;   in Loop: Header=BB147_52 Depth=1
	v_mov_b32_e32 v4, s45
	ds_load_b32 v4, v4
	s_waitcnt lgkmcnt(0)
	v_add_nc_u32_e32 v10, v10, v4
	s_or_b32 exec_lo, exec_lo, s33
	s_and_saveexec_b32 s33, s5
	s_cbranch_execz .LBB147_58
.LBB147_90:                             ;   in Loop: Header=BB147_52 Depth=1
	v_mov_b32_e32 v4, s47
	ds_load_b32 v4, v4
	s_waitcnt lgkmcnt(0)
	v_add_nc_u32_e32 v10, v10, v4
	s_or_b32 exec_lo, exec_lo, s33
	s_and_saveexec_b32 s33, s6
	s_cbranch_execz .LBB147_59
.LBB147_91:                             ;   in Loop: Header=BB147_52 Depth=1
	v_mov_b32_e32 v4, s52
	ds_load_b32 v4, v4
	s_waitcnt lgkmcnt(0)
	v_add_nc_u32_e32 v10, v10, v4
	s_or_b32 exec_lo, exec_lo, s33
	s_and_saveexec_b32 s33, s7
	s_cbranch_execz .LBB147_60
.LBB147_92:                             ;   in Loop: Header=BB147_52 Depth=1
	v_mov_b32_e32 v4, s53
	ds_load_b32 v4, v4
	s_waitcnt lgkmcnt(0)
	v_add_nc_u32_e32 v10, v10, v4
	s_or_b32 exec_lo, exec_lo, s33
	s_and_saveexec_b32 s33, s8
	s_cbranch_execz .LBB147_61
.LBB147_93:                             ;   in Loop: Header=BB147_52 Depth=1
	v_mov_b32_e32 v4, s54
	ds_load_b32 v4, v4
	s_waitcnt lgkmcnt(0)
	v_add_nc_u32_e32 v10, v10, v4
	s_or_b32 exec_lo, exec_lo, s33
	s_and_saveexec_b32 s33, s9
	s_cbranch_execz .LBB147_62
.LBB147_94:                             ;   in Loop: Header=BB147_52 Depth=1
	v_mov_b32_e32 v4, s55
	ds_load_b32 v4, v4
	s_waitcnt lgkmcnt(0)
	v_add_nc_u32_e32 v10, v10, v4
	s_or_b32 exec_lo, exec_lo, s33
	s_and_saveexec_b32 s33, s10
	s_cbranch_execz .LBB147_63
.LBB147_95:                             ;   in Loop: Header=BB147_52 Depth=1
	v_mov_b32_e32 v4, s56
	ds_load_b32 v4, v4
	s_waitcnt lgkmcnt(0)
	v_add_nc_u32_e32 v10, v10, v4
	s_or_b32 exec_lo, exec_lo, s33
	s_and_saveexec_b32 s33, s11
	s_cbranch_execz .LBB147_64
.LBB147_96:                             ;   in Loop: Header=BB147_52 Depth=1
	v_mov_b32_e32 v4, s57
	ds_load_b32 v4, v4
	s_waitcnt lgkmcnt(0)
	v_add_nc_u32_e32 v10, v10, v4
	s_or_b32 exec_lo, exec_lo, s33
	s_and_saveexec_b32 s33, s12
	s_cbranch_execz .LBB147_65
.LBB147_97:                             ;   in Loop: Header=BB147_52 Depth=1
	v_mov_b32_e32 v4, s58
	ds_load_b32 v4, v4
	s_waitcnt lgkmcnt(0)
	v_add_nc_u32_e32 v10, v10, v4
	s_or_b32 exec_lo, exec_lo, s33
	s_and_saveexec_b32 s33, s13
	s_cbranch_execz .LBB147_66
.LBB147_98:                             ;   in Loop: Header=BB147_52 Depth=1
	v_mov_b32_e32 v4, s59
	ds_load_b32 v4, v4
	s_waitcnt lgkmcnt(0)
	v_add_nc_u32_e32 v10, v10, v4
	s_or_b32 exec_lo, exec_lo, s33
	s_and_saveexec_b32 s33, s14
	s_cbranch_execz .LBB147_67
.LBB147_99:                             ;   in Loop: Header=BB147_52 Depth=1
	v_mov_b32_e32 v4, s60
	ds_load_b32 v4, v4
	s_waitcnt lgkmcnt(0)
	v_add_nc_u32_e32 v10, v10, v4
	s_or_b32 exec_lo, exec_lo, s33
	s_and_saveexec_b32 s33, s15
	s_cbranch_execz .LBB147_68
.LBB147_100:                            ;   in Loop: Header=BB147_52 Depth=1
	v_mov_b32_e32 v4, s61
	ds_load_b32 v4, v4
	s_waitcnt lgkmcnt(0)
	v_add_nc_u32_e32 v10, v10, v4
	s_or_b32 exec_lo, exec_lo, s33
	s_and_saveexec_b32 s33, s16
	s_cbranch_execz .LBB147_69
.LBB147_101:                            ;   in Loop: Header=BB147_52 Depth=1
	v_mov_b32_e32 v4, s62
	ds_load_b32 v4, v4
	s_waitcnt lgkmcnt(0)
	v_add_nc_u32_e32 v10, v10, v4
	s_or_b32 exec_lo, exec_lo, s33
	s_and_saveexec_b32 s33, s17
	s_cbranch_execz .LBB147_70
.LBB147_102:                            ;   in Loop: Header=BB147_52 Depth=1
	v_mov_b32_e32 v4, s63
	ds_load_b32 v4, v4
	s_waitcnt lgkmcnt(0)
	v_add_nc_u32_e32 v10, v10, v4
	s_or_b32 exec_lo, exec_lo, s33
	s_and_saveexec_b32 s33, s18
	s_cbranch_execz .LBB147_71
.LBB147_103:                            ;   in Loop: Header=BB147_52 Depth=1
	v_mov_b32_e32 v4, s64
	ds_load_b32 v4, v4
	s_waitcnt lgkmcnt(0)
	v_add_nc_u32_e32 v10, v10, v4
	s_or_b32 exec_lo, exec_lo, s33
	s_and_saveexec_b32 s33, s19
	s_cbranch_execz .LBB147_72
.LBB147_104:                            ;   in Loop: Header=BB147_52 Depth=1
	v_mov_b32_e32 v4, s65
	ds_load_b32 v4, v4
	s_waitcnt lgkmcnt(0)
	v_add_nc_u32_e32 v10, v10, v4
	s_or_b32 exec_lo, exec_lo, s33
	s_and_saveexec_b32 s33, s20
	s_cbranch_execz .LBB147_73
.LBB147_105:                            ;   in Loop: Header=BB147_52 Depth=1
	v_mov_b32_e32 v4, s66
	ds_load_b32 v4, v4
	s_waitcnt lgkmcnt(0)
	v_add_nc_u32_e32 v10, v10, v4
	s_or_b32 exec_lo, exec_lo, s33
	s_and_saveexec_b32 s33, s21
	s_cbranch_execz .LBB147_74
.LBB147_106:                            ;   in Loop: Header=BB147_52 Depth=1
	v_mov_b32_e32 v4, s67
	ds_load_b32 v4, v4
	s_waitcnt lgkmcnt(0)
	v_add_nc_u32_e32 v10, v10, v4
	s_or_b32 exec_lo, exec_lo, s33
	s_and_saveexec_b32 s33, s22
	s_cbranch_execz .LBB147_75
.LBB147_107:                            ;   in Loop: Header=BB147_52 Depth=1
	v_mov_b32_e32 v4, s68
	ds_load_b32 v4, v4
	s_waitcnt lgkmcnt(0)
	v_add_nc_u32_e32 v10, v10, v4
	s_or_b32 exec_lo, exec_lo, s33
	s_and_saveexec_b32 s33, s23
	s_cbranch_execz .LBB147_76
.LBB147_108:                            ;   in Loop: Header=BB147_52 Depth=1
	v_mov_b32_e32 v4, s69
	ds_load_b32 v4, v4
	s_waitcnt lgkmcnt(0)
	v_add_nc_u32_e32 v10, v10, v4
	s_or_b32 exec_lo, exec_lo, s33
	s_and_saveexec_b32 s33, s24
	s_cbranch_execz .LBB147_77
.LBB147_109:                            ;   in Loop: Header=BB147_52 Depth=1
	v_mov_b32_e32 v4, s70
	ds_load_b32 v4, v4
	s_waitcnt lgkmcnt(0)
	v_add_nc_u32_e32 v10, v10, v4
	s_or_b32 exec_lo, exec_lo, s33
	s_and_saveexec_b32 s33, s25
	s_cbranch_execz .LBB147_78
.LBB147_110:                            ;   in Loop: Header=BB147_52 Depth=1
	v_mov_b32_e32 v4, s71
	ds_load_b32 v4, v4
	s_waitcnt lgkmcnt(0)
	v_add_nc_u32_e32 v10, v10, v4
	s_or_b32 exec_lo, exec_lo, s33
	s_and_saveexec_b32 s33, s26
	s_cbranch_execz .LBB147_79
.LBB147_111:                            ;   in Loop: Header=BB147_52 Depth=1
	v_mov_b32_e32 v4, s72
	ds_load_b32 v4, v4
	s_waitcnt lgkmcnt(0)
	v_add_nc_u32_e32 v10, v10, v4
	s_or_b32 exec_lo, exec_lo, s33
	s_and_saveexec_b32 s33, s27
	s_cbranch_execz .LBB147_80
.LBB147_112:                            ;   in Loop: Header=BB147_52 Depth=1
	v_mov_b32_e32 v4, s74
	ds_load_b32 v4, v4
	s_waitcnt lgkmcnt(0)
	v_add_nc_u32_e32 v10, v10, v4
	s_or_b32 exec_lo, exec_lo, s33
	s_and_saveexec_b32 s33, s28
	s_cbranch_execz .LBB147_81
.LBB147_113:                            ;   in Loop: Header=BB147_52 Depth=1
	v_mov_b32_e32 v4, s75
	ds_load_b32 v4, v4
	s_waitcnt lgkmcnt(0)
	v_add_nc_u32_e32 v10, v10, v4
	s_or_b32 exec_lo, exec_lo, s33
	s_and_saveexec_b32 s33, s29
	s_cbranch_execz .LBB147_82
.LBB147_114:                            ;   in Loop: Header=BB147_52 Depth=1
	v_mov_b32_e32 v4, s76
	ds_load_b32 v4, v4
	s_waitcnt lgkmcnt(0)
	v_add_nc_u32_e32 v10, v10, v4
	s_or_b32 exec_lo, exec_lo, s33
	s_and_saveexec_b32 s33, s30
	s_cbranch_execz .LBB147_83
.LBB147_115:                            ;   in Loop: Header=BB147_52 Depth=1
	v_mov_b32_e32 v4, s77
	ds_load_b32 v4, v4
	s_waitcnt lgkmcnt(0)
	v_add_nc_u32_e32 v10, v10, v4
	s_or_b32 exec_lo, exec_lo, s33
	s_delay_alu instid0(VALU_DEP_1)
	v_ashrrev_i32_e32 v11, 31, v10
	s_and_saveexec_b32 s33, s31
	s_cbranch_execz .LBB147_84
.LBB147_116:                            ;   in Loop: Header=BB147_52 Depth=1
	v_add3_u32 v4, v2, -1, v10
	s_delay_alu instid0(VALU_DEP_1) | instskip(NEXT) | instid1(VALU_DEP_1)
	v_lshl_add_u32 v4, v4, 3, 0
	v_add_nc_u32_e32 v16, 0x20000, v4
	ds_store_b64 v4, v[6:7]
	ds_store_2addr_b32 v16, v8, v9 offset1:1
	s_or_b32 exec_lo, exec_lo, s33
	s_and_saveexec_b32 s31, vcc_lo
	s_cbranch_execz .LBB147_51
.LBB147_117:                            ;   in Loop: Header=BB147_52 Depth=1
	v_mov_b32_e32 v4, s73
	ds_store_b64 v4, v[10:11]
	s_branch .LBB147_51
.LBB147_118:
	s_or_b32 exec_lo, exec_lo, s36
	s_lshl_b64 s[0:1], s[50:51], 3
	v_mov_b32_e32 v1, 0
	s_add_u32 s0, s40, s0
	s_addc_u32 s1, s41, s1
	s_mov_b32 s6, exec_lo
	s_load_b128 s[0:3], s[0:1], 0x0
	s_waitcnt lgkmcnt(0)
	s_sub_u32 s4, s2, s0
	s_subb_u32 s5, s3, s1
	s_delay_alu instid0(SALU_CYCLE_1)
	v_cmpx_gt_i64_e64 s[4:5], v[0:1]
	s_cbranch_execz .LBB147_128
; %bb.119:
	s_sub_u32 s8, s0, s46
	s_subb_u32 s9, s1, 0
	s_and_b32 s6, s4, 7
	s_sub_u32 s0, s0, s2
	s_subb_u32 s1, s1, s3
	s_mov_b32 s7, 0
	v_cmp_lt_u64_e64 s12, s[0:1], -7
	s_and_b32 s2, s4, -8
	s_cmp_lg_u64 s[6:7], 0
	s_mov_b32 s3, s5
	s_cselect_b32 s13, -1, 0
	s_mov_b32 s14, s7
	s_branch .LBB147_121
.LBB147_120:                            ;   in Loop: Header=BB147_121 Depth=1
	s_waitcnt lgkmcnt(1)
	v_add_co_u32 v4, vcc_lo, v4, s46
	v_lshlrev_b64 v[6:7], 3, v[6:7]
	v_add_co_ci_u32_e32 v5, vcc_lo, 0, v5, vcc_lo
	v_add_co_u32 v0, vcc_lo, 0x400, v0
	v_add_co_ci_u32_e32 v1, vcc_lo, 0, v1, vcc_lo
	s_delay_alu instid0(VALU_DEP_4) | instskip(SKIP_1) | instid1(VALU_DEP_3)
	v_add_co_u32 v8, vcc_lo, s42, v6
	v_add_co_ci_u32_e32 v9, vcc_lo, s43, v7, vcc_lo
	v_cmp_le_i64_e32 vcc_lo, s[4:5], v[0:1]
	v_add_co_u32 v6, s0, s34, v6
	s_delay_alu instid0(VALU_DEP_1) | instskip(SKIP_4) | instid1(SALU_CYCLE_1)
	v_add_co_ci_u32_e64 v7, s0, s35, v7, s0
	global_store_b64 v[8:9], v[4:5], off
	s_waitcnt lgkmcnt(0)
	global_store_b64 v[6:7], v[2:3], off
	s_or_b32 s14, vcc_lo, s14
	s_and_not1_b32 exec_lo, exec_lo, s14
	s_cbranch_execz .LBB147_128
.LBB147_121:                            ; =>This Loop Header: Depth=1
                                        ;     Child Loop BB147_123 Depth 2
                                        ;     Child Loop BB147_127 Depth 2
	v_lshl_add_u32 v2, v0, 3, 0
	s_and_not1_b32 vcc_lo, exec_lo, s12
	s_mov_b64 s[0:1], 0
	v_dual_mov_b32 v6, s8 :: v_dual_mov_b32 v7, s9
	s_delay_alu instid0(VALU_DEP_2)
	v_add_nc_u32_e32 v3, 0x20000, v2
	ds_load_b64 v[4:5], v2
	ds_load_2addr_b32 v[2:3], v3 offset1:1
	s_cbranch_vccnz .LBB147_125
; %bb.122:                              ;   in Loop: Header=BB147_121 Depth=1
	v_dual_mov_b32 v6, s8 :: v_dual_mov_b32 v7, s9
	s_mov_b64 s[10:11], 0
	s_mov_b32 s1, 0
.LBB147_123:                            ;   Parent Loop BB147_121 Depth=1
                                        ; =>  This Inner Loop Header: Depth=2
	s_delay_alu instid0(SALU_CYCLE_1)
	v_mov_b32_e32 v20, s1
	s_add_u32 s10, s10, 8
	s_addc_u32 s11, s11, 0
	s_add_i32 s1, s1, 64
	s_cmp_eq_u64 s[2:3], s[10:11]
	ds_load_2addr_b64 v[8:11], v20 offset1:1
	ds_load_2addr_b64 v[12:15], v20 offset0:2 offset1:3
	ds_load_2addr_b64 v[16:19], v20 offset0:4 offset1:5
	;; [unrolled: 1-line block ×3, first 2 shown]
	s_waitcnt lgkmcnt(3)
	v_cmp_gt_i64_e32 vcc_lo, v[4:5], v[8:9]
	v_cndmask_b32_e64 v8, 0, 1, vcc_lo
	v_cmp_gt_i64_e32 vcc_lo, v[4:5], v[10:11]
	v_cndmask_b32_e64 v9, 0, 1, vcc_lo
	s_waitcnt lgkmcnt(2)
	v_cmp_gt_i64_e32 vcc_lo, v[4:5], v[12:13]
	v_cndmask_b32_e64 v10, 0, 1, vcc_lo
	v_cmp_gt_i64_e32 vcc_lo, v[4:5], v[14:15]
	v_cndmask_b32_e64 v11, 0, 1, vcc_lo
	s_waitcnt lgkmcnt(1)
	v_cmp_gt_i64_e32 vcc_lo, v[4:5], v[16:17]
	v_cndmask_b32_e64 v12, 0, 1, vcc_lo
	v_add_co_u32 v6, vcc_lo, v6, v8
	v_add_co_ci_u32_e32 v7, vcc_lo, 0, v7, vcc_lo
	v_cmp_gt_i64_e32 vcc_lo, v[4:5], v[18:19]
	s_delay_alu instid0(VALU_DEP_3) | instskip(NEXT) | instid1(VALU_DEP_1)
	v_add_co_u32 v6, s0, v6, v9
	v_add_co_ci_u32_e64 v7, s0, 0, v7, s0
	v_cndmask_b32_e64 v8, 0, 1, vcc_lo
	s_delay_alu instid0(VALU_DEP_3) | instskip(NEXT) | instid1(VALU_DEP_3)
	v_add_co_u32 v6, vcc_lo, v6, v10
	v_add_co_ci_u32_e32 v7, vcc_lo, 0, v7, vcc_lo
	s_waitcnt lgkmcnt(0)
	v_cmp_gt_i64_e32 vcc_lo, v[4:5], v[20:21]
	s_delay_alu instid0(VALU_DEP_3) | instskip(NEXT) | instid1(VALU_DEP_1)
	v_add_co_u32 v6, s0, v6, v11
	v_add_co_ci_u32_e64 v7, s0, 0, v7, s0
	v_cndmask_b32_e64 v9, 0, 1, vcc_lo
	s_delay_alu instid0(VALU_DEP_3) | instskip(NEXT) | instid1(VALU_DEP_3)
	v_add_co_u32 v6, vcc_lo, v6, v12
	v_add_co_ci_u32_e32 v7, vcc_lo, 0, v7, vcc_lo
	v_cmp_gt_i64_e32 vcc_lo, v[4:5], v[22:23]
	s_delay_alu instid0(VALU_DEP_3) | instskip(NEXT) | instid1(VALU_DEP_1)
	v_add_co_u32 v6, s0, v6, v8
	v_add_co_ci_u32_e64 v7, s0, 0, v7, s0
	v_cndmask_b32_e64 v8, 0, 1, vcc_lo
	s_delay_alu instid0(VALU_DEP_3) | instskip(NEXT) | instid1(VALU_DEP_3)
	v_add_co_u32 v6, vcc_lo, v6, v9
	v_add_co_ci_u32_e32 v7, vcc_lo, 0, v7, vcc_lo
	s_delay_alu instid0(VALU_DEP_2) | instskip(NEXT) | instid1(VALU_DEP_2)
	v_add_co_u32 v6, vcc_lo, v6, v8
	v_add_co_ci_u32_e32 v7, vcc_lo, 0, v7, vcc_lo
	s_cbranch_scc0 .LBB147_123
; %bb.124:                              ;   in Loop: Header=BB147_121 Depth=1
	s_mov_b64 s[0:1], s[2:3]
.LBB147_125:                            ;   in Loop: Header=BB147_121 Depth=1
	s_and_not1_b32 vcc_lo, exec_lo, s13
	s_cbranch_vccnz .LBB147_120
; %bb.126:                              ;   in Loop: Header=BB147_121 Depth=1
	s_lshl_b32 s0, s0, 3
	s_delay_alu instid0(SALU_CYCLE_1)
	s_add_i32 s10, s0, 0
	s_mov_b64 s[0:1], s[6:7]
.LBB147_127:                            ;   Parent Loop BB147_121 Depth=1
                                        ; =>  This Inner Loop Header: Depth=2
	v_mov_b32_e32 v8, s10
	s_add_i32 s10, s10, 8
	s_add_u32 s0, s0, -1
	s_addc_u32 s1, s1, -1
	s_delay_alu instid0(SALU_CYCLE_1) | instskip(SKIP_4) | instid1(VALU_DEP_1)
	s_cmp_lg_u64 s[0:1], 0
	ds_load_b64 v[8:9], v8
	s_waitcnt lgkmcnt(0)
	v_cmp_gt_i64_e32 vcc_lo, v[4:5], v[8:9]
	v_cndmask_b32_e64 v8, 0, 1, vcc_lo
	v_add_co_u32 v6, vcc_lo, v6, v8
	v_add_co_ci_u32_e32 v7, vcc_lo, 0, v7, vcc_lo
	s_cbranch_scc1 .LBB147_127
	s_branch .LBB147_120
.LBB147_128:
	s_nop 0
	s_sendmsg sendmsg(MSG_DEALLOC_VGPRS)
	s_endpgm
	.section	.rodata,"a",@progbits
	.p2align	6, 0x0
	.amdhsa_kernel _ZN9rocsparseL26csrgemm_fill_block_per_rowILj1024ELj64ELj16384ELj137ELj32Ell21rocsparse_complex_numIfEEEvT5_PKS3_S5_NS_24const_host_device_scalarIT6_EEPKT4_S5_PKS7_SB_S5_SD_S8_SB_S5_SD_SB_PS3_PS7_21rocsparse_index_base_SG_SG_SG_bbb
		.amdhsa_group_segment_fixed_size 0
		.amdhsa_private_segment_fixed_size 0
		.amdhsa_kernarg_size 156
		.amdhsa_user_sgpr_count 15
		.amdhsa_user_sgpr_dispatch_ptr 0
		.amdhsa_user_sgpr_queue_ptr 0
		.amdhsa_user_sgpr_kernarg_segment_ptr 1
		.amdhsa_user_sgpr_dispatch_id 0
		.amdhsa_user_sgpr_private_segment_size 0
		.amdhsa_wavefront_size32 1
		.amdhsa_uses_dynamic_stack 0
		.amdhsa_enable_private_segment 0
		.amdhsa_system_sgpr_workgroup_id_x 1
		.amdhsa_system_sgpr_workgroup_id_y 0
		.amdhsa_system_sgpr_workgroup_id_z 0
		.amdhsa_system_sgpr_workgroup_info 0
		.amdhsa_system_vgpr_workitem_id 0
		.amdhsa_next_free_vgpr 24
		.amdhsa_next_free_sgpr 78
		.amdhsa_reserve_vcc 1
		.amdhsa_float_round_mode_32 0
		.amdhsa_float_round_mode_16_64 0
		.amdhsa_float_denorm_mode_32 3
		.amdhsa_float_denorm_mode_16_64 3
		.amdhsa_dx10_clamp 1
		.amdhsa_ieee_mode 1
		.amdhsa_fp16_overflow 0
		.amdhsa_workgroup_processor_mode 1
		.amdhsa_memory_ordered 1
		.amdhsa_forward_progress 0
		.amdhsa_shared_vgpr_count 0
		.amdhsa_exception_fp_ieee_invalid_op 0
		.amdhsa_exception_fp_denorm_src 0
		.amdhsa_exception_fp_ieee_div_zero 0
		.amdhsa_exception_fp_ieee_overflow 0
		.amdhsa_exception_fp_ieee_underflow 0
		.amdhsa_exception_fp_ieee_inexact 0
		.amdhsa_exception_int_div_zero 0
	.end_amdhsa_kernel
	.section	.text._ZN9rocsparseL26csrgemm_fill_block_per_rowILj1024ELj64ELj16384ELj137ELj32Ell21rocsparse_complex_numIfEEEvT5_PKS3_S5_NS_24const_host_device_scalarIT6_EEPKT4_S5_PKS7_SB_S5_SD_S8_SB_S5_SD_SB_PS3_PS7_21rocsparse_index_base_SG_SG_SG_bbb,"axG",@progbits,_ZN9rocsparseL26csrgemm_fill_block_per_rowILj1024ELj64ELj16384ELj137ELj32Ell21rocsparse_complex_numIfEEEvT5_PKS3_S5_NS_24const_host_device_scalarIT6_EEPKT4_S5_PKS7_SB_S5_SD_S8_SB_S5_SD_SB_PS3_PS7_21rocsparse_index_base_SG_SG_SG_bbb,comdat
.Lfunc_end147:
	.size	_ZN9rocsparseL26csrgemm_fill_block_per_rowILj1024ELj64ELj16384ELj137ELj32Ell21rocsparse_complex_numIfEEEvT5_PKS3_S5_NS_24const_host_device_scalarIT6_EEPKT4_S5_PKS7_SB_S5_SD_S8_SB_S5_SD_SB_PS3_PS7_21rocsparse_index_base_SG_SG_SG_bbb, .Lfunc_end147-_ZN9rocsparseL26csrgemm_fill_block_per_rowILj1024ELj64ELj16384ELj137ELj32Ell21rocsparse_complex_numIfEEEvT5_PKS3_S5_NS_24const_host_device_scalarIT6_EEPKT4_S5_PKS7_SB_S5_SD_S8_SB_S5_SD_SB_PS3_PS7_21rocsparse_index_base_SG_SG_SG_bbb
                                        ; -- End function
	.section	.AMDGPU.csdata,"",@progbits
; Kernel info:
; codeLenInByte = 4924
; NumSgprs: 80
; NumVgprs: 24
; ScratchSize: 0
; MemoryBound: 0
; FloatMode: 240
; IeeeMode: 1
; LDSByteSize: 0 bytes/workgroup (compile time only)
; SGPRBlocks: 9
; VGPRBlocks: 2
; NumSGPRsForWavesPerEU: 80
; NumVGPRsForWavesPerEU: 24
; Occupancy: 16
; WaveLimiterHint : 1
; COMPUTE_PGM_RSRC2:SCRATCH_EN: 0
; COMPUTE_PGM_RSRC2:USER_SGPR: 15
; COMPUTE_PGM_RSRC2:TRAP_HANDLER: 0
; COMPUTE_PGM_RSRC2:TGID_X_EN: 1
; COMPUTE_PGM_RSRC2:TGID_Y_EN: 0
; COMPUTE_PGM_RSRC2:TGID_Z_EN: 0
; COMPUTE_PGM_RSRC2:TIDIG_COMP_CNT: 0
	.section	.text._ZN9rocsparseL26csrgemm_fill_block_per_rowILj1024ELj64ELj16384ELj137ELj64Ell21rocsparse_complex_numIfEEEvT5_PKS3_S5_NS_24const_host_device_scalarIT6_EEPKT4_S5_PKS7_SB_S5_SD_S8_SB_S5_SD_SB_PS3_PS7_21rocsparse_index_base_SG_SG_SG_bbb,"axG",@progbits,_ZN9rocsparseL26csrgemm_fill_block_per_rowILj1024ELj64ELj16384ELj137ELj64Ell21rocsparse_complex_numIfEEEvT5_PKS3_S5_NS_24const_host_device_scalarIT6_EEPKT4_S5_PKS7_SB_S5_SD_S8_SB_S5_SD_SB_PS3_PS7_21rocsparse_index_base_SG_SG_SG_bbb,comdat
	.globl	_ZN9rocsparseL26csrgemm_fill_block_per_rowILj1024ELj64ELj16384ELj137ELj64Ell21rocsparse_complex_numIfEEEvT5_PKS3_S5_NS_24const_host_device_scalarIT6_EEPKT4_S5_PKS7_SB_S5_SD_S8_SB_S5_SD_SB_PS3_PS7_21rocsparse_index_base_SG_SG_SG_bbb ; -- Begin function _ZN9rocsparseL26csrgemm_fill_block_per_rowILj1024ELj64ELj16384ELj137ELj64Ell21rocsparse_complex_numIfEEEvT5_PKS3_S5_NS_24const_host_device_scalarIT6_EEPKT4_S5_PKS7_SB_S5_SD_S8_SB_S5_SD_SB_PS3_PS7_21rocsparse_index_base_SG_SG_SG_bbb
	.p2align	8
	.type	_ZN9rocsparseL26csrgemm_fill_block_per_rowILj1024ELj64ELj16384ELj137ELj64Ell21rocsparse_complex_numIfEEEvT5_PKS3_S5_NS_24const_host_device_scalarIT6_EEPKT4_S5_PKS7_SB_S5_SD_S8_SB_S5_SD_SB_PS3_PS7_21rocsparse_index_base_SG_SG_SG_bbb,@function
_ZN9rocsparseL26csrgemm_fill_block_per_rowILj1024ELj64ELj16384ELj137ELj64Ell21rocsparse_complex_numIfEEEvT5_PKS3_S5_NS_24const_host_device_scalarIT6_EEPKT4_S5_PKS7_SB_S5_SD_S8_SB_S5_SD_SB_PS3_PS7_21rocsparse_index_base_SG_SG_SG_bbb: ; @_ZN9rocsparseL26csrgemm_fill_block_per_rowILj1024ELj64ELj16384ELj137ELj64Ell21rocsparse_complex_numIfEEEvT5_PKS3_S5_NS_24const_host_device_scalarIT6_EEPKT4_S5_PKS7_SB_S5_SD_S8_SB_S5_SD_SB_PS3_PS7_21rocsparse_index_base_SG_SG_SG_bbb
; %bb.0:
	s_mov_b32 s42, s15
	s_clause 0x6
	s_load_b32 s33, s[0:1], 0x98
	s_load_b256 s[16:23], s[0:1], 0x60
	s_load_b256 s[4:11], s[0:1], 0x40
	s_load_b128 s[12:15], s[0:1], 0x8
	s_load_b256 s[24:31], s[0:1], 0x20
	s_load_b64 s[34:35], s[0:1], 0x80
	s_load_b128 s[36:39], s[0:1], 0x88
	s_mov_b32 s3, 0
	s_mov_b32 s44, 0
	s_waitcnt lgkmcnt(0)
	s_bitcmp1_b32 s33, 0
	s_cselect_b32 s46, -1, 0
	s_bitcmp1_b32 s33, 16
	s_cselect_b32 s2, -1, 0
	s_delay_alu instid0(SALU_CYCLE_1) | instskip(SKIP_2) | instid1(VALU_DEP_1)
	s_xor_b32 s40, s2, -1
	s_bitcmp0_b32 s33, 0
	v_cndmask_b32_e64 v1, 0, 1, s40
	v_cmp_ne_u32_e32 vcc_lo, 1, v1
	s_cbranch_scc1 .LBB148_5
; %bb.1:
	s_load_b64 s[2:3], s[0:1], 0x18
	s_and_b32 vcc_lo, exec_lo, vcc_lo
	s_waitcnt lgkmcnt(0)
	s_mov_b32 s44, s2
	s_cbranch_vccnz .LBB148_3
; %bb.2:
	s_load_b32 s44, s[2:3], 0x0
.LBB148_3:
	s_and_not1_b32 vcc_lo, exec_lo, s40
	s_cbranch_vccnz .LBB148_5
; %bb.4:
	s_load_b32 s3, s[2:3], 0x4
.LBB148_5:
	s_bitcmp1_b32 s33, 8
	s_cselect_b32 s45, -1, 0
	s_bfe_u32 s2, s33, 0x10008
	s_mov_b32 s33, 0
	s_cmp_eq_u32 s2, 0
	s_mov_b32 s2, 0
	s_cbranch_scc1 .LBB148_11
; %bb.6:
	v_cmp_ne_u32_e32 vcc_lo, 1, v1
	s_mov_b32 s2, s8
	s_cbranch_vccnz .LBB148_8
; %bb.7:
	s_load_b32 s2, s[8:9], 0x0
.LBB148_8:
	v_cmp_ne_u32_e32 vcc_lo, 1, v1
	s_cbranch_vccnz .LBB148_10
; %bb.9:
	s_load_b32 s9, s[8:9], 0x4
.LBB148_10:
	s_waitcnt lgkmcnt(0)
	s_mov_b32 s33, s9
.LBB148_11:
	s_load_b64 s[40:41], s[0:1], 0x0
	v_lshl_add_u32 v12, v0, 3, 0
	v_or_b32_e32 v13, 0xfffffc00, v0
	v_mov_b32_e32 v3, 0
	s_mov_b32 s0, 0
	s_delay_alu instid0(VALU_DEP_2)
	v_dual_mov_b32 v4, v12 :: v_dual_mov_b32 v5, v13
	s_waitcnt lgkmcnt(0)
	v_dual_mov_b32 v1, s40 :: v_dual_mov_b32 v2, s41
.LBB148_12:                             ; =>This Inner Loop Header: Depth=1
	s_delay_alu instid0(VALU_DEP_2) | instskip(NEXT) | instid1(VALU_DEP_3)
	v_add_nc_u32_e32 v5, 0x400, v5
	v_add_nc_u32_e32 v6, 0x20000, v4
	ds_store_b64 v4, v[1:2]
	v_add_nc_u32_e32 v4, 0x2000, v4
	v_cmp_lt_u32_e32 vcc_lo, 0x3bff, v5
	ds_store_2addr_b32 v6, v3, v3 offset1:1
	s_or_b32 s0, vcc_lo, s0
	s_delay_alu instid0(SALU_CYCLE_1)
	s_and_not1_b32 exec_lo, exec_lo, s0
	s_cbranch_execnz .LBB148_12
; %bb.13:
	s_or_b32 exec_lo, exec_lo, s0
	s_waitcnt lgkmcnt(0)
	s_barrier
	buffer_gl0_inv
	s_load_b64 s[0:1], s[12:13], 0x0
	s_mov_b32 s43, 0
	v_lshrrev_b32_e32 v11, 6, v0
	s_waitcnt lgkmcnt(0)
	s_lshl_b64 s[0:1], s[0:1], 3
	s_delay_alu instid0(SALU_CYCLE_1) | instskip(SKIP_2) | instid1(SALU_CYCLE_1)
	s_add_u32 s8, s14, s0
	s_addc_u32 s9, s15, s1
	s_lshl_b64 s[0:1], s[42:43], 3
	s_add_u32 s0, s8, s0
	s_addc_u32 s1, s9, s1
	s_and_b32 vcc_lo, exec_lo, s46
	s_load_b64 s[42:43], s[0:1], 0x0
	s_cbranch_vccz .LBB148_33
; %bb.14:
	s_waitcnt lgkmcnt(0)
	s_lshl_b64 s[0:1], s[42:43], 3
	s_mov_b32 s8, exec_lo
	s_add_u32 s0, s24, s0
	s_addc_u32 s1, s25, s1
	s_load_b128 s[12:15], s[0:1], 0x0
	v_sub_co_u32 v1, s0, v11, s36
	s_delay_alu instid0(VALU_DEP_1) | instskip(SKIP_1) | instid1(VALU_DEP_2)
	v_sub_co_ci_u32_e64 v2, null, 0, 0, s0
	s_waitcnt lgkmcnt(0)
	v_add_co_u32 v1, vcc_lo, s12, v1
	s_delay_alu instid0(VALU_DEP_2)
	v_add_co_ci_u32_e32 v2, vcc_lo, s13, v2, vcc_lo
	s_sub_u32 s0, s14, s36
	s_subb_u32 s1, s15, 0
	s_delay_alu instid0(VALU_DEP_1) | instid1(SALU_CYCLE_1)
	v_cmpx_gt_i64_e64 s[0:1], v[1:2]
	s_cbranch_execz .LBB148_32
; %bb.15:
	v_and_b32_e32 v3, 63, v0
	s_mov_b32 s12, s37
	s_delay_alu instid0(VALU_DEP_1) | instskip(NEXT) | instid1(VALU_DEP_1)
	v_sub_co_u32 v14, s9, v3, s37
	v_sub_co_ci_u32_e64 v15, null, 0, 0, s9
	s_mov_b32 s9, 0
	s_branch .LBB148_17
.LBB148_16:                             ;   in Loop: Header=BB148_17 Depth=1
	s_or_b32 exec_lo, exec_lo, s13
	v_add_co_u32 v1, vcc_lo, v1, 16
	v_add_co_ci_u32_e32 v2, vcc_lo, 0, v2, vcc_lo
	s_delay_alu instid0(VALU_DEP_1) | instskip(SKIP_1) | instid1(SALU_CYCLE_1)
	v_cmp_le_i64_e32 vcc_lo, s[0:1], v[1:2]
	s_or_b32 s9, vcc_lo, s9
	s_and_not1_b32 exec_lo, exec_lo, s9
	s_cbranch_execz .LBB148_32
.LBB148_17:                             ; =>This Loop Header: Depth=1
                                        ;     Child Loop BB148_20 Depth 2
                                        ;       Child Loop BB148_22 Depth 3
	v_lshlrev_b64 v[7:8], 3, v[1:2]
	s_mov_b32 s13, exec_lo
	s_delay_alu instid0(VALU_DEP_1) | instskip(NEXT) | instid1(VALU_DEP_2)
	v_add_co_u32 v3, vcc_lo, s26, v7
	v_add_co_ci_u32_e32 v4, vcc_lo, s27, v8, vcc_lo
	global_load_b64 v[3:4], v[3:4], off
	s_waitcnt vmcnt(0)
	v_sub_co_u32 v3, vcc_lo, v3, s36
	v_subrev_co_ci_u32_e32 v4, vcc_lo, 0, v4, vcc_lo
	s_delay_alu instid0(VALU_DEP_1) | instskip(NEXT) | instid1(VALU_DEP_1)
	v_lshlrev_b64 v[3:4], 3, v[3:4]
	v_add_co_u32 v3, vcc_lo, s30, v3
	s_delay_alu instid0(VALU_DEP_2)
	v_add_co_ci_u32_e32 v4, vcc_lo, s31, v4, vcc_lo
	global_load_b128 v[16:19], v[3:4], off
	s_waitcnt vmcnt(0)
	v_sub_co_u32 v3, vcc_lo, v18, s12
	v_subrev_co_ci_u32_e32 v4, vcc_lo, 0, v19, vcc_lo
	v_add_co_u32 v5, vcc_lo, v16, v14
	v_add_co_ci_u32_e32 v6, vcc_lo, v17, v15, vcc_lo
	s_delay_alu instid0(VALU_DEP_1)
	v_cmpx_lt_i64_e64 v[5:6], v[3:4]
	s_cbranch_execz .LBB148_16
; %bb.18:                               ;   in Loop: Header=BB148_17 Depth=1
	v_add_co_u32 v7, vcc_lo, s28, v7
	v_add_co_ci_u32_e32 v8, vcc_lo, s29, v8, vcc_lo
	s_mov_b32 s14, 0
	global_load_b64 v[7:8], v[7:8], off
	s_waitcnt vmcnt(0)
	v_mul_f32_e64 v16, v8, -s3
	s_delay_alu instid0(VALU_DEP_1) | instskip(NEXT) | instid1(VALU_DEP_1)
	v_dual_mul_f32 v17, s44, v8 :: v_dual_fmac_f32 v16, s44, v7
	v_fmac_f32_e32 v17, s3, v7
	s_branch .LBB148_20
.LBB148_19:                             ;   in Loop: Header=BB148_20 Depth=2
	s_or_b32 exec_lo, exec_lo, s15
	v_add_co_u32 v5, vcc_lo, v5, 64
	v_add_co_ci_u32_e32 v6, vcc_lo, 0, v6, vcc_lo
	s_delay_alu instid0(VALU_DEP_1) | instskip(SKIP_1) | instid1(SALU_CYCLE_1)
	v_cmp_ge_i64_e32 vcc_lo, v[5:6], v[3:4]
	s_or_b32 s14, vcc_lo, s14
	s_and_not1_b32 exec_lo, exec_lo, s14
	s_cbranch_execz .LBB148_16
.LBB148_20:                             ;   Parent Loop BB148_17 Depth=1
                                        ; =>  This Loop Header: Depth=2
                                        ;       Child Loop BB148_22 Depth 3
	v_lshlrev_b64 v[7:8], 3, v[5:6]
	s_mov_b32 s15, 0
	s_delay_alu instid0(VALU_DEP_1) | instskip(NEXT) | instid1(VALU_DEP_2)
	v_add_co_u32 v9, vcc_lo, s4, v7
	v_add_co_ci_u32_e32 v10, vcc_lo, s5, v8, vcc_lo
	v_add_co_u32 v7, vcc_lo, s6, v7
	v_add_co_ci_u32_e32 v8, vcc_lo, s7, v8, vcc_lo
	global_load_b64 v[9:10], v[9:10], off
	global_load_b64 v[20:21], v[7:8], off
	s_waitcnt vmcnt(1)
	v_sub_co_u32 v7, vcc_lo, v9, s12
	v_subrev_co_ci_u32_e32 v8, vcc_lo, 0, v10, vcc_lo
	s_waitcnt vmcnt(0)
	v_mul_f32_e64 v18, v21, -v17
	s_delay_alu instid0(VALU_DEP_3) | instskip(SKIP_1) | instid1(VALU_DEP_3)
	v_mul_lo_u32 v9, 0x89, v7
	v_mul_f32_e32 v19, v16, v21
	v_fmac_f32_e32 v18, v16, v20
	s_delay_alu instid0(VALU_DEP_2)
	v_dual_fmac_f32 v19, v17, v20 :: v_dual_and_b32 v20, 0x3fff, v9
	s_branch .LBB148_22
.LBB148_21:                             ;   in Loop: Header=BB148_22 Depth=3
	s_or_b32 exec_lo, exec_lo, s24
	s_xor_b32 s24, s25, -1
	s_delay_alu instid0(SALU_CYCLE_1) | instskip(NEXT) | instid1(SALU_CYCLE_1)
	s_and_b32 s24, exec_lo, s24
	s_or_b32 s15, s24, s15
	s_delay_alu instid0(SALU_CYCLE_1)
	s_and_not1_b32 exec_lo, exec_lo, s15
	s_cbranch_execz .LBB148_19
.LBB148_22:                             ;   Parent Loop BB148_17 Depth=1
                                        ;     Parent Loop BB148_20 Depth=2
                                        ; =>    This Inner Loop Header: Depth=3
	s_delay_alu instid0(VALU_DEP_1)
	v_lshl_add_u32 v21, v20, 3, 0
	s_mov_b32 s24, exec_lo
                                        ; implicit-def: $sgpr25
	ds_load_b64 v[9:10], v21
	s_waitcnt lgkmcnt(0)
	v_cmpx_ne_u64_e64 v[9:10], v[7:8]
	s_xor_b32 s24, exec_lo, s24
	s_cbranch_execz .LBB148_30
; %bb.23:                               ;   in Loop: Header=BB148_22 Depth=3
	s_mov_b32 s37, exec_lo
                                        ; implicit-def: $sgpr25
	v_cmpx_ne_u64_e64 s[40:41], v[9:10]
	s_xor_b32 s37, exec_lo, s37
; %bb.24:                               ;   in Loop: Header=BB148_22 Depth=3
	v_add_nc_u32_e32 v9, 1, v20
	s_mov_b32 s25, -1
                                        ; implicit-def: $vgpr21
	s_delay_alu instid0(VALU_DEP_1)
	v_and_b32_e32 v20, 0x3fff, v9
; %bb.25:                               ;   in Loop: Header=BB148_22 Depth=3
	s_and_not1_saveexec_b32 s37, s37
	s_cbranch_execz .LBB148_29
; %bb.26:                               ;   in Loop: Header=BB148_22 Depth=3
	v_dual_mov_b32 v9, s40 :: v_dual_mov_b32 v10, s41
	s_mov_b32 s47, -1
	s_mov_b32 s46, exec_lo
	ds_cmpstore_rtn_b64 v[9:10], v21, v[7:8], v[9:10]
	s_waitcnt lgkmcnt(0)
	v_cmpx_eq_u64_e64 s[40:41], v[9:10]
	s_cbranch_execz .LBB148_28
; %bb.27:                               ;   in Loop: Header=BB148_22 Depth=3
	v_lshlrev_b32_e32 v9, 3, v20
	s_xor_b32 s47, exec_lo, -1
	s_delay_alu instid0(VALU_DEP_1)
	v_add3_u32 v9, 0, v9, 0x20000
	ds_add_f32 v9, v18
	ds_add_f32 v9, v19 offset:4
.LBB148_28:                             ;   in Loop: Header=BB148_22 Depth=3
	s_or_b32 exec_lo, exec_lo, s46
	s_delay_alu instid0(SALU_CYCLE_1) | instskip(SKIP_1) | instid1(SALU_CYCLE_1)
	s_and_not1_b32 s25, s25, exec_lo
	s_and_b32 s46, s47, exec_lo
	s_or_b32 s25, s25, s46
.LBB148_29:                             ;   in Loop: Header=BB148_22 Depth=3
	s_or_b32 exec_lo, exec_lo, s37
	s_delay_alu instid0(SALU_CYCLE_1)
	s_and_b32 s25, s25, exec_lo
.LBB148_30:                             ;   in Loop: Header=BB148_22 Depth=3
	s_and_not1_saveexec_b32 s24, s24
	s_cbranch_execz .LBB148_21
; %bb.31:                               ;   in Loop: Header=BB148_22 Depth=3
	v_lshlrev_b32_e32 v9, 3, v20
	s_and_not1_b32 s25, s25, exec_lo
	s_delay_alu instid0(VALU_DEP_1)
	v_add3_u32 v9, 0, v9, 0x20000
	ds_add_f32 v9, v18
	ds_add_f32 v9, v19 offset:4
	s_branch .LBB148_21
.LBB148_32:
	s_or_b32 exec_lo, exec_lo, s8
.LBB148_33:
	s_delay_alu instid0(SALU_CYCLE_1)
	s_and_not1_b32 vcc_lo, exec_lo, s45
	s_cbranch_vccnz .LBB148_50
; %bb.34:
	s_waitcnt lgkmcnt(0)
	s_lshl_b64 s[0:1], s[42:43], 3
	s_mov_b32 s3, 0
	s_add_u32 s0, s10, s0
	s_addc_u32 s1, s11, s1
	s_load_b128 s[4:7], s[0:1], 0x0
	v_sub_co_u32 v1, s0, v0, s39
	s_delay_alu instid0(VALU_DEP_1) | instskip(SKIP_1) | instid1(VALU_DEP_2)
	v_sub_co_ci_u32_e64 v2, null, 0, 0, s0
	s_waitcnt lgkmcnt(0)
	v_add_co_u32 v1, vcc_lo, s4, v1
	s_delay_alu instid0(VALU_DEP_2) | instskip(SKIP_3) | instid1(VALU_DEP_1)
	v_add_co_ci_u32_e32 v2, vcc_lo, s5, v2, vcc_lo
	s_sub_u32 s0, s6, s39
	s_subb_u32 s1, s7, 0
	s_mov_b32 s4, exec_lo
	v_cmpx_gt_i64_e64 s[0:1], v[1:2]
	s_cbranch_execz .LBB148_49
; %bb.35:
	s_mov_b32 s5, s39
	s_branch .LBB148_37
.LBB148_36:                             ;   in Loop: Header=BB148_37 Depth=1
	s_or_b32 exec_lo, exec_lo, s6
	v_add_co_u32 v1, vcc_lo, 0x400, v1
	v_add_co_ci_u32_e32 v2, vcc_lo, 0, v2, vcc_lo
	s_delay_alu instid0(VALU_DEP_1) | instskip(SKIP_1) | instid1(SALU_CYCLE_1)
	v_cmp_le_i64_e32 vcc_lo, s[0:1], v[1:2]
	s_or_b32 s3, vcc_lo, s3
	s_and_not1_b32 exec_lo, exec_lo, s3
	s_cbranch_execz .LBB148_49
.LBB148_37:                             ; =>This Loop Header: Depth=1
                                        ;     Child Loop BB148_39 Depth 2
	v_lshlrev_b64 v[3:4], 3, v[1:2]
	s_mov_b32 s6, 0
	s_delay_alu instid0(VALU_DEP_1) | instskip(NEXT) | instid1(VALU_DEP_2)
	v_add_co_u32 v5, vcc_lo, s16, v3
	v_add_co_ci_u32_e32 v6, vcc_lo, s17, v4, vcc_lo
	v_add_co_u32 v3, vcc_lo, s18, v3
	v_add_co_ci_u32_e32 v4, vcc_lo, s19, v4, vcc_lo
	global_load_b64 v[5:6], v[5:6], off
	global_load_b64 v[9:10], v[3:4], off
	s_waitcnt vmcnt(1)
	v_sub_co_u32 v3, vcc_lo, v5, s5
	v_subrev_co_ci_u32_e32 v4, vcc_lo, 0, v6, vcc_lo
	s_waitcnt vmcnt(0)
	v_mul_f32_e64 v7, v10, -s33
	s_delay_alu instid0(VALU_DEP_3) | instskip(NEXT) | instid1(VALU_DEP_2)
	v_mul_lo_u32 v5, 0x89, v3
	v_dual_mul_f32 v8, s2, v10 :: v_dual_fmac_f32 v7, s2, v9
	s_delay_alu instid0(VALU_DEP_1) | instskip(NEXT) | instid1(VALU_DEP_3)
	v_fmac_f32_e32 v8, s33, v9
	v_and_b32_e32 v9, 0x3fff, v5
	s_branch .LBB148_39
.LBB148_38:                             ;   in Loop: Header=BB148_39 Depth=2
	s_or_b32 exec_lo, exec_lo, s7
	s_xor_b32 s7, s8, -1
	s_delay_alu instid0(SALU_CYCLE_1) | instskip(NEXT) | instid1(SALU_CYCLE_1)
	s_and_b32 s7, exec_lo, s7
	s_or_b32 s6, s7, s6
	s_delay_alu instid0(SALU_CYCLE_1)
	s_and_not1_b32 exec_lo, exec_lo, s6
	s_cbranch_execz .LBB148_36
.LBB148_39:                             ;   Parent Loop BB148_37 Depth=1
                                        ; =>  This Inner Loop Header: Depth=2
	s_delay_alu instid0(VALU_DEP_1)
	v_lshl_add_u32 v10, v9, 3, 0
	s_mov_b32 s7, exec_lo
                                        ; implicit-def: $sgpr8
	ds_load_b64 v[5:6], v10
	s_waitcnt lgkmcnt(0)
	v_cmpx_ne_u64_e64 v[5:6], v[3:4]
	s_xor_b32 s7, exec_lo, s7
	s_cbranch_execz .LBB148_47
; %bb.40:                               ;   in Loop: Header=BB148_39 Depth=2
	s_mov_b32 s9, exec_lo
                                        ; implicit-def: $sgpr8
	v_cmpx_ne_u64_e64 s[40:41], v[5:6]
	s_xor_b32 s9, exec_lo, s9
; %bb.41:                               ;   in Loop: Header=BB148_39 Depth=2
	v_add_nc_u32_e32 v5, 1, v9
	s_mov_b32 s8, -1
                                        ; implicit-def: $vgpr10
	s_delay_alu instid0(VALU_DEP_1)
	v_and_b32_e32 v9, 0x3fff, v5
; %bb.42:                               ;   in Loop: Header=BB148_39 Depth=2
	s_and_not1_saveexec_b32 s9, s9
	s_cbranch_execz .LBB148_46
; %bb.43:                               ;   in Loop: Header=BB148_39 Depth=2
	v_dual_mov_b32 v5, s40 :: v_dual_mov_b32 v6, s41
	s_mov_b32 s11, -1
	s_mov_b32 s10, exec_lo
	ds_cmpstore_rtn_b64 v[5:6], v10, v[3:4], v[5:6]
	s_waitcnt lgkmcnt(0)
	v_cmpx_eq_u64_e64 s[40:41], v[5:6]
	s_cbranch_execz .LBB148_45
; %bb.44:                               ;   in Loop: Header=BB148_39 Depth=2
	v_lshlrev_b32_e32 v5, 3, v9
	s_xor_b32 s11, exec_lo, -1
	s_delay_alu instid0(VALU_DEP_1)
	v_add3_u32 v5, 0, v5, 0x20000
	ds_add_f32 v5, v7
	ds_add_f32 v5, v8 offset:4
.LBB148_45:                             ;   in Loop: Header=BB148_39 Depth=2
	s_or_b32 exec_lo, exec_lo, s10
	s_delay_alu instid0(SALU_CYCLE_1) | instskip(SKIP_1) | instid1(SALU_CYCLE_1)
	s_and_not1_b32 s8, s8, exec_lo
	s_and_b32 s10, s11, exec_lo
	s_or_b32 s8, s8, s10
.LBB148_46:                             ;   in Loop: Header=BB148_39 Depth=2
	s_or_b32 exec_lo, exec_lo, s9
	s_delay_alu instid0(SALU_CYCLE_1)
	s_and_b32 s8, s8, exec_lo
.LBB148_47:                             ;   in Loop: Header=BB148_39 Depth=2
	s_and_not1_saveexec_b32 s7, s7
	s_cbranch_execz .LBB148_38
; %bb.48:                               ;   in Loop: Header=BB148_39 Depth=2
	v_lshlrev_b32_e32 v5, 3, v9
	s_and_not1_b32 s8, s8, exec_lo
	s_delay_alu instid0(VALU_DEP_1)
	v_add3_u32 v5, 0, v5, 0x20000
	ds_add_f32 v5, v7
	ds_add_f32 v5, v8 offset:4
	s_branch .LBB148_38
.LBB148_49:
	s_or_b32 exec_lo, exec_lo, s4
.LBB148_50:
	v_mbcnt_lo_u32_b32 v1, -1, 0
	v_dual_mov_b32 v5, 0 :: v_dual_lshlrev_b32 v2, 3, v11
	s_add_i32 s36, 0, 0x40078
	v_cmp_eq_u32_e32 vcc_lo, 0x3ff, v0
	s_delay_alu instid0(VALU_DEP_3) | instskip(NEXT) | instid1(VALU_DEP_3)
	v_xor_b32_e32 v1, 63, v1
	v_add3_u32 v14, 0, 0x40000, v2
	v_cmp_lt_u32_e64 s0, 63, v0
	v_cmp_lt_u32_e64 s1, 0x7f, v0
	;; [unrolled: 1-line block ×3, first 2 shown]
	v_lshrrev_b64 v[1:2], v1, -1
	v_dual_mov_b32 v2, 0 :: v_dual_mov_b32 v15, s36
	v_cmp_lt_u32_e64 s3, 0xff, v0
	v_cmp_lt_u32_e64 s4, 0x13f, v0
	;; [unrolled: 1-line block ×12, first 2 shown]
	v_mov_b32_e32 v3, 0
	s_mov_b32 s17, 0
	s_add_i32 s18, 0, 0x40000
	s_add_i32 s19, 0, 0x40008
	;; [unrolled: 1-line block ×15, first 2 shown]
	s_waitcnt lgkmcnt(0)
	s_barrier
	buffer_gl0_inv
	s_branch .LBB148_52
.LBB148_51:                             ;   in Loop: Header=BB148_52 Depth=1
	s_or_b32 exec_lo, exec_lo, s15
	s_waitcnt lgkmcnt(0)
	s_barrier
	buffer_gl0_inv
	ds_load_b64 v[6:7], v15
	v_add_nc_u32_e32 v13, 0x400, v13
	v_add_nc_u32_e32 v12, 0x2000, v12
	s_delay_alu instid0(VALU_DEP_2) | instskip(NEXT) | instid1(VALU_DEP_1)
	v_cmp_lt_u32_e64 s15, 0x3bff, v13
	s_or_b32 s17, s15, s17
	s_waitcnt lgkmcnt(0)
	v_add_co_u32 v2, s16, v6, v2
	s_delay_alu instid0(VALU_DEP_1)
	v_add_co_ci_u32_e64 v3, s16, v7, v3, s16
	s_and_not1_b32 exec_lo, exec_lo, s17
	s_cbranch_execz .LBB148_86
.LBB148_52:                             ; =>This Inner Loop Header: Depth=1
	ds_load_b64 v[6:7], v12
	v_add_nc_u32_e32 v4, 0x20000, v12
	ds_load_2addr_b32 v[8:9], v4 offset1:1
	s_waitcnt lgkmcnt(0)
	s_barrier
	buffer_gl0_inv
	v_cmp_gt_i64_e64 s15, s[40:41], v[6:7]
	s_delay_alu instid0(VALU_DEP_1) | instskip(SKIP_1) | instid1(SALU_CYCLE_1)
	v_and_b32_e32 v10, s15, v1
	s_bcnt1_i32_b32 s16, s15
	v_mov_b32_e32 v4, s16
	s_delay_alu instid0(VALU_DEP_2)
	v_bcnt_u32_b32 v10, v10, 0
	ds_store_b64 v14, v[4:5]
	s_waitcnt lgkmcnt(0)
	s_barrier
	buffer_gl0_inv
	s_and_saveexec_b32 s16, s0
	s_cbranch_execnz .LBB148_69
; %bb.53:                               ;   in Loop: Header=BB148_52 Depth=1
	s_or_b32 exec_lo, exec_lo, s16
	s_and_saveexec_b32 s16, s1
	s_cbranch_execnz .LBB148_70
.LBB148_54:                             ;   in Loop: Header=BB148_52 Depth=1
	s_or_b32 exec_lo, exec_lo, s16
	s_and_saveexec_b32 s16, s2
	s_cbranch_execnz .LBB148_71
.LBB148_55:                             ;   in Loop: Header=BB148_52 Depth=1
	s_or_b32 exec_lo, exec_lo, s16
	s_and_saveexec_b32 s16, s3
	s_cbranch_execnz .LBB148_72
.LBB148_56:                             ;   in Loop: Header=BB148_52 Depth=1
	s_or_b32 exec_lo, exec_lo, s16
	s_and_saveexec_b32 s16, s4
	s_cbranch_execnz .LBB148_73
.LBB148_57:                             ;   in Loop: Header=BB148_52 Depth=1
	s_or_b32 exec_lo, exec_lo, s16
	s_and_saveexec_b32 s16, s5
	s_cbranch_execnz .LBB148_74
.LBB148_58:                             ;   in Loop: Header=BB148_52 Depth=1
	s_or_b32 exec_lo, exec_lo, s16
	s_and_saveexec_b32 s16, s6
	s_cbranch_execnz .LBB148_75
.LBB148_59:                             ;   in Loop: Header=BB148_52 Depth=1
	s_or_b32 exec_lo, exec_lo, s16
	s_and_saveexec_b32 s16, s7
	s_cbranch_execnz .LBB148_76
.LBB148_60:                             ;   in Loop: Header=BB148_52 Depth=1
	s_or_b32 exec_lo, exec_lo, s16
	s_and_saveexec_b32 s16, s8
	s_cbranch_execnz .LBB148_77
.LBB148_61:                             ;   in Loop: Header=BB148_52 Depth=1
	s_or_b32 exec_lo, exec_lo, s16
	s_and_saveexec_b32 s16, s9
	s_cbranch_execnz .LBB148_78
.LBB148_62:                             ;   in Loop: Header=BB148_52 Depth=1
	s_or_b32 exec_lo, exec_lo, s16
	s_and_saveexec_b32 s16, s10
	s_cbranch_execnz .LBB148_79
.LBB148_63:                             ;   in Loop: Header=BB148_52 Depth=1
	s_or_b32 exec_lo, exec_lo, s16
	s_and_saveexec_b32 s16, s11
	s_cbranch_execnz .LBB148_80
.LBB148_64:                             ;   in Loop: Header=BB148_52 Depth=1
	s_or_b32 exec_lo, exec_lo, s16
	s_and_saveexec_b32 s16, s12
	s_cbranch_execnz .LBB148_81
.LBB148_65:                             ;   in Loop: Header=BB148_52 Depth=1
	s_or_b32 exec_lo, exec_lo, s16
	s_and_saveexec_b32 s16, s13
	s_cbranch_execnz .LBB148_82
.LBB148_66:                             ;   in Loop: Header=BB148_52 Depth=1
	s_or_b32 exec_lo, exec_lo, s16
	s_and_saveexec_b32 s16, s14
	s_cbranch_execnz .LBB148_83
.LBB148_67:                             ;   in Loop: Header=BB148_52 Depth=1
	s_or_b32 exec_lo, exec_lo, s16
	v_ashrrev_i32_e32 v11, 31, v10
	s_and_saveexec_b32 s16, s15
	s_cbranch_execnz .LBB148_84
.LBB148_68:                             ;   in Loop: Header=BB148_52 Depth=1
	s_or_b32 exec_lo, exec_lo, s16
	s_and_saveexec_b32 s15, vcc_lo
	s_cbranch_execz .LBB148_51
	s_branch .LBB148_85
.LBB148_69:                             ;   in Loop: Header=BB148_52 Depth=1
	v_mov_b32_e32 v4, s18
	ds_load_b32 v4, v4
	s_waitcnt lgkmcnt(0)
	v_add_nc_u32_e32 v10, v4, v10
	s_or_b32 exec_lo, exec_lo, s16
	s_and_saveexec_b32 s16, s1
	s_cbranch_execz .LBB148_54
.LBB148_70:                             ;   in Loop: Header=BB148_52 Depth=1
	v_mov_b32_e32 v4, s19
	ds_load_b32 v4, v4
	s_waitcnt lgkmcnt(0)
	v_add_nc_u32_e32 v10, v10, v4
	s_or_b32 exec_lo, exec_lo, s16
	s_and_saveexec_b32 s16, s2
	s_cbranch_execz .LBB148_55
.LBB148_71:                             ;   in Loop: Header=BB148_52 Depth=1
	v_mov_b32_e32 v4, s24
	ds_load_b32 v4, v4
	s_waitcnt lgkmcnt(0)
	v_add_nc_u32_e32 v10, v10, v4
	s_or_b32 exec_lo, exec_lo, s16
	s_and_saveexec_b32 s16, s3
	s_cbranch_execz .LBB148_56
.LBB148_72:                             ;   in Loop: Header=BB148_52 Depth=1
	v_mov_b32_e32 v4, s25
	ds_load_b32 v4, v4
	s_waitcnt lgkmcnt(0)
	v_add_nc_u32_e32 v10, v10, v4
	s_or_b32 exec_lo, exec_lo, s16
	s_and_saveexec_b32 s16, s4
	s_cbranch_execz .LBB148_57
.LBB148_73:                             ;   in Loop: Header=BB148_52 Depth=1
	v_mov_b32_e32 v4, s26
	ds_load_b32 v4, v4
	s_waitcnt lgkmcnt(0)
	v_add_nc_u32_e32 v10, v10, v4
	s_or_b32 exec_lo, exec_lo, s16
	s_and_saveexec_b32 s16, s5
	s_cbranch_execz .LBB148_58
.LBB148_74:                             ;   in Loop: Header=BB148_52 Depth=1
	v_mov_b32_e32 v4, s27
	ds_load_b32 v4, v4
	s_waitcnt lgkmcnt(0)
	v_add_nc_u32_e32 v10, v10, v4
	s_or_b32 exec_lo, exec_lo, s16
	s_and_saveexec_b32 s16, s6
	s_cbranch_execz .LBB148_59
.LBB148_75:                             ;   in Loop: Header=BB148_52 Depth=1
	v_mov_b32_e32 v4, s28
	ds_load_b32 v4, v4
	s_waitcnt lgkmcnt(0)
	v_add_nc_u32_e32 v10, v10, v4
	s_or_b32 exec_lo, exec_lo, s16
	s_and_saveexec_b32 s16, s7
	s_cbranch_execz .LBB148_60
.LBB148_76:                             ;   in Loop: Header=BB148_52 Depth=1
	v_mov_b32_e32 v4, s29
	ds_load_b32 v4, v4
	s_waitcnt lgkmcnt(0)
	v_add_nc_u32_e32 v10, v10, v4
	s_or_b32 exec_lo, exec_lo, s16
	s_and_saveexec_b32 s16, s8
	s_cbranch_execz .LBB148_61
.LBB148_77:                             ;   in Loop: Header=BB148_52 Depth=1
	v_mov_b32_e32 v4, s30
	ds_load_b32 v4, v4
	s_waitcnt lgkmcnt(0)
	v_add_nc_u32_e32 v10, v10, v4
	s_or_b32 exec_lo, exec_lo, s16
	s_and_saveexec_b32 s16, s9
	s_cbranch_execz .LBB148_62
.LBB148_78:                             ;   in Loop: Header=BB148_52 Depth=1
	v_mov_b32_e32 v4, s31
	ds_load_b32 v4, v4
	s_waitcnt lgkmcnt(0)
	v_add_nc_u32_e32 v10, v10, v4
	s_or_b32 exec_lo, exec_lo, s16
	s_and_saveexec_b32 s16, s10
	s_cbranch_execz .LBB148_63
.LBB148_79:                             ;   in Loop: Header=BB148_52 Depth=1
	v_mov_b32_e32 v4, s33
	ds_load_b32 v4, v4
	s_waitcnt lgkmcnt(0)
	v_add_nc_u32_e32 v10, v10, v4
	s_or_b32 exec_lo, exec_lo, s16
	s_and_saveexec_b32 s16, s11
	s_cbranch_execz .LBB148_64
.LBB148_80:                             ;   in Loop: Header=BB148_52 Depth=1
	v_mov_b32_e32 v4, s37
	ds_load_b32 v4, v4
	s_waitcnt lgkmcnt(0)
	v_add_nc_u32_e32 v10, v10, v4
	s_or_b32 exec_lo, exec_lo, s16
	s_and_saveexec_b32 s16, s12
	s_cbranch_execz .LBB148_65
.LBB148_81:                             ;   in Loop: Header=BB148_52 Depth=1
	v_mov_b32_e32 v4, s39
	ds_load_b32 v4, v4
	s_waitcnt lgkmcnt(0)
	v_add_nc_u32_e32 v10, v10, v4
	s_or_b32 exec_lo, exec_lo, s16
	s_and_saveexec_b32 s16, s13
	s_cbranch_execz .LBB148_66
.LBB148_82:                             ;   in Loop: Header=BB148_52 Depth=1
	v_mov_b32_e32 v4, s44
	ds_load_b32 v4, v4
	s_waitcnt lgkmcnt(0)
	v_add_nc_u32_e32 v10, v10, v4
	s_or_b32 exec_lo, exec_lo, s16
	s_and_saveexec_b32 s16, s14
	s_cbranch_execz .LBB148_67
.LBB148_83:                             ;   in Loop: Header=BB148_52 Depth=1
	v_mov_b32_e32 v4, s45
	ds_load_b32 v4, v4
	s_waitcnt lgkmcnt(0)
	v_add_nc_u32_e32 v10, v10, v4
	s_or_b32 exec_lo, exec_lo, s16
	s_delay_alu instid0(VALU_DEP_1)
	v_ashrrev_i32_e32 v11, 31, v10
	s_and_saveexec_b32 s16, s15
	s_cbranch_execz .LBB148_68
.LBB148_84:                             ;   in Loop: Header=BB148_52 Depth=1
	v_add3_u32 v4, v2, -1, v10
	s_delay_alu instid0(VALU_DEP_1) | instskip(NEXT) | instid1(VALU_DEP_1)
	v_lshl_add_u32 v4, v4, 3, 0
	v_add_nc_u32_e32 v16, 0x20000, v4
	ds_store_b64 v4, v[6:7]
	ds_store_2addr_b32 v16, v8, v9 offset1:1
	s_or_b32 exec_lo, exec_lo, s16
	s_and_saveexec_b32 s15, vcc_lo
	s_cbranch_execz .LBB148_51
.LBB148_85:                             ;   in Loop: Header=BB148_52 Depth=1
	v_mov_b32_e32 v4, s36
	ds_store_b64 v4, v[10:11]
	s_branch .LBB148_51
.LBB148_86:
	s_or_b32 exec_lo, exec_lo, s17
	s_lshl_b64 s[0:1], s[42:43], 3
	v_mov_b32_e32 v1, 0
	s_add_u32 s0, s20, s0
	s_addc_u32 s1, s21, s1
	s_mov_b32 s6, exec_lo
	s_load_b128 s[0:3], s[0:1], 0x0
	s_waitcnt lgkmcnt(0)
	s_sub_u32 s4, s2, s0
	s_subb_u32 s5, s3, s1
	s_delay_alu instid0(SALU_CYCLE_1)
	v_cmpx_gt_i64_e64 s[4:5], v[0:1]
	s_cbranch_execz .LBB148_96
; %bb.87:
	s_sub_u32 s8, s0, s38
	s_subb_u32 s9, s1, 0
	s_and_b32 s6, s4, 7
	s_sub_u32 s0, s0, s2
	s_subb_u32 s1, s1, s3
	s_mov_b32 s7, 0
	v_cmp_lt_u64_e64 s12, s[0:1], -7
	s_and_b32 s2, s4, -8
	s_cmp_lg_u64 s[6:7], 0
	s_mov_b32 s3, s5
	s_cselect_b32 s13, -1, 0
	s_mov_b32 s14, s7
	s_branch .LBB148_89
.LBB148_88:                             ;   in Loop: Header=BB148_89 Depth=1
	s_waitcnt lgkmcnt(1)
	v_add_co_u32 v4, vcc_lo, v4, s38
	v_lshlrev_b64 v[6:7], 3, v[6:7]
	v_add_co_ci_u32_e32 v5, vcc_lo, 0, v5, vcc_lo
	v_add_co_u32 v0, vcc_lo, 0x400, v0
	v_add_co_ci_u32_e32 v1, vcc_lo, 0, v1, vcc_lo
	s_delay_alu instid0(VALU_DEP_4) | instskip(SKIP_1) | instid1(VALU_DEP_3)
	v_add_co_u32 v8, vcc_lo, s22, v6
	v_add_co_ci_u32_e32 v9, vcc_lo, s23, v7, vcc_lo
	v_cmp_le_i64_e32 vcc_lo, s[4:5], v[0:1]
	v_add_co_u32 v6, s0, s34, v6
	s_delay_alu instid0(VALU_DEP_1) | instskip(SKIP_4) | instid1(SALU_CYCLE_1)
	v_add_co_ci_u32_e64 v7, s0, s35, v7, s0
	global_store_b64 v[8:9], v[4:5], off
	s_waitcnt lgkmcnt(0)
	global_store_b64 v[6:7], v[2:3], off
	s_or_b32 s14, vcc_lo, s14
	s_and_not1_b32 exec_lo, exec_lo, s14
	s_cbranch_execz .LBB148_96
.LBB148_89:                             ; =>This Loop Header: Depth=1
                                        ;     Child Loop BB148_91 Depth 2
                                        ;     Child Loop BB148_95 Depth 2
	v_lshl_add_u32 v2, v0, 3, 0
	s_and_not1_b32 vcc_lo, exec_lo, s12
	s_mov_b64 s[0:1], 0
	v_dual_mov_b32 v6, s8 :: v_dual_mov_b32 v7, s9
	s_delay_alu instid0(VALU_DEP_2)
	v_add_nc_u32_e32 v3, 0x20000, v2
	ds_load_b64 v[4:5], v2
	ds_load_2addr_b32 v[2:3], v3 offset1:1
	s_cbranch_vccnz .LBB148_93
; %bb.90:                               ;   in Loop: Header=BB148_89 Depth=1
	v_dual_mov_b32 v6, s8 :: v_dual_mov_b32 v7, s9
	s_mov_b64 s[10:11], 0
	s_mov_b32 s1, 0
.LBB148_91:                             ;   Parent Loop BB148_89 Depth=1
                                        ; =>  This Inner Loop Header: Depth=2
	s_delay_alu instid0(SALU_CYCLE_1)
	v_mov_b32_e32 v20, s1
	s_add_u32 s10, s10, 8
	s_addc_u32 s11, s11, 0
	s_add_i32 s1, s1, 64
	s_cmp_eq_u64 s[2:3], s[10:11]
	ds_load_2addr_b64 v[8:11], v20 offset1:1
	ds_load_2addr_b64 v[12:15], v20 offset0:2 offset1:3
	ds_load_2addr_b64 v[16:19], v20 offset0:4 offset1:5
	ds_load_2addr_b64 v[20:23], v20 offset0:6 offset1:7
	s_waitcnt lgkmcnt(3)
	v_cmp_gt_i64_e32 vcc_lo, v[4:5], v[8:9]
	v_cndmask_b32_e64 v8, 0, 1, vcc_lo
	v_cmp_gt_i64_e32 vcc_lo, v[4:5], v[10:11]
	v_cndmask_b32_e64 v9, 0, 1, vcc_lo
	s_waitcnt lgkmcnt(2)
	v_cmp_gt_i64_e32 vcc_lo, v[4:5], v[12:13]
	v_cndmask_b32_e64 v10, 0, 1, vcc_lo
	v_cmp_gt_i64_e32 vcc_lo, v[4:5], v[14:15]
	v_cndmask_b32_e64 v11, 0, 1, vcc_lo
	s_waitcnt lgkmcnt(1)
	v_cmp_gt_i64_e32 vcc_lo, v[4:5], v[16:17]
	v_cndmask_b32_e64 v12, 0, 1, vcc_lo
	v_add_co_u32 v6, vcc_lo, v6, v8
	v_add_co_ci_u32_e32 v7, vcc_lo, 0, v7, vcc_lo
	v_cmp_gt_i64_e32 vcc_lo, v[4:5], v[18:19]
	s_delay_alu instid0(VALU_DEP_3) | instskip(NEXT) | instid1(VALU_DEP_1)
	v_add_co_u32 v6, s0, v6, v9
	v_add_co_ci_u32_e64 v7, s0, 0, v7, s0
	v_cndmask_b32_e64 v8, 0, 1, vcc_lo
	s_delay_alu instid0(VALU_DEP_3) | instskip(NEXT) | instid1(VALU_DEP_3)
	v_add_co_u32 v6, vcc_lo, v6, v10
	v_add_co_ci_u32_e32 v7, vcc_lo, 0, v7, vcc_lo
	s_waitcnt lgkmcnt(0)
	v_cmp_gt_i64_e32 vcc_lo, v[4:5], v[20:21]
	s_delay_alu instid0(VALU_DEP_3) | instskip(NEXT) | instid1(VALU_DEP_1)
	v_add_co_u32 v6, s0, v6, v11
	v_add_co_ci_u32_e64 v7, s0, 0, v7, s0
	v_cndmask_b32_e64 v9, 0, 1, vcc_lo
	s_delay_alu instid0(VALU_DEP_3) | instskip(NEXT) | instid1(VALU_DEP_3)
	v_add_co_u32 v6, vcc_lo, v6, v12
	v_add_co_ci_u32_e32 v7, vcc_lo, 0, v7, vcc_lo
	v_cmp_gt_i64_e32 vcc_lo, v[4:5], v[22:23]
	s_delay_alu instid0(VALU_DEP_3) | instskip(NEXT) | instid1(VALU_DEP_1)
	v_add_co_u32 v6, s0, v6, v8
	v_add_co_ci_u32_e64 v7, s0, 0, v7, s0
	v_cndmask_b32_e64 v8, 0, 1, vcc_lo
	s_delay_alu instid0(VALU_DEP_3) | instskip(NEXT) | instid1(VALU_DEP_3)
	v_add_co_u32 v6, vcc_lo, v6, v9
	v_add_co_ci_u32_e32 v7, vcc_lo, 0, v7, vcc_lo
	s_delay_alu instid0(VALU_DEP_2) | instskip(NEXT) | instid1(VALU_DEP_2)
	v_add_co_u32 v6, vcc_lo, v6, v8
	v_add_co_ci_u32_e32 v7, vcc_lo, 0, v7, vcc_lo
	s_cbranch_scc0 .LBB148_91
; %bb.92:                               ;   in Loop: Header=BB148_89 Depth=1
	s_mov_b64 s[0:1], s[2:3]
.LBB148_93:                             ;   in Loop: Header=BB148_89 Depth=1
	s_and_not1_b32 vcc_lo, exec_lo, s13
	s_cbranch_vccnz .LBB148_88
; %bb.94:                               ;   in Loop: Header=BB148_89 Depth=1
	s_lshl_b32 s0, s0, 3
	s_delay_alu instid0(SALU_CYCLE_1)
	s_add_i32 s10, s0, 0
	s_mov_b64 s[0:1], s[6:7]
.LBB148_95:                             ;   Parent Loop BB148_89 Depth=1
                                        ; =>  This Inner Loop Header: Depth=2
	v_mov_b32_e32 v8, s10
	s_add_i32 s10, s10, 8
	s_add_u32 s0, s0, -1
	s_addc_u32 s1, s1, -1
	s_delay_alu instid0(SALU_CYCLE_1) | instskip(SKIP_4) | instid1(VALU_DEP_1)
	s_cmp_lg_u64 s[0:1], 0
	ds_load_b64 v[8:9], v8
	s_waitcnt lgkmcnt(0)
	v_cmp_gt_i64_e32 vcc_lo, v[4:5], v[8:9]
	v_cndmask_b32_e64 v8, 0, 1, vcc_lo
	v_add_co_u32 v6, vcc_lo, v6, v8
	v_add_co_ci_u32_e32 v7, vcc_lo, 0, v7, vcc_lo
	s_cbranch_scc1 .LBB148_95
	s_branch .LBB148_88
.LBB148_96:
	s_nop 0
	s_sendmsg sendmsg(MSG_DEALLOC_VGPRS)
	s_endpgm
	.section	.rodata,"a",@progbits
	.p2align	6, 0x0
	.amdhsa_kernel _ZN9rocsparseL26csrgemm_fill_block_per_rowILj1024ELj64ELj16384ELj137ELj64Ell21rocsparse_complex_numIfEEEvT5_PKS3_S5_NS_24const_host_device_scalarIT6_EEPKT4_S5_PKS7_SB_S5_SD_S8_SB_S5_SD_SB_PS3_PS7_21rocsparse_index_base_SG_SG_SG_bbb
		.amdhsa_group_segment_fixed_size 0
		.amdhsa_private_segment_fixed_size 0
		.amdhsa_kernarg_size 156
		.amdhsa_user_sgpr_count 15
		.amdhsa_user_sgpr_dispatch_ptr 0
		.amdhsa_user_sgpr_queue_ptr 0
		.amdhsa_user_sgpr_kernarg_segment_ptr 1
		.amdhsa_user_sgpr_dispatch_id 0
		.amdhsa_user_sgpr_private_segment_size 0
		.amdhsa_wavefront_size32 1
		.amdhsa_uses_dynamic_stack 0
		.amdhsa_enable_private_segment 0
		.amdhsa_system_sgpr_workgroup_id_x 1
		.amdhsa_system_sgpr_workgroup_id_y 0
		.amdhsa_system_sgpr_workgroup_id_z 0
		.amdhsa_system_sgpr_workgroup_info 0
		.amdhsa_system_vgpr_workitem_id 0
		.amdhsa_next_free_vgpr 24
		.amdhsa_next_free_sgpr 48
		.amdhsa_reserve_vcc 1
		.amdhsa_float_round_mode_32 0
		.amdhsa_float_round_mode_16_64 0
		.amdhsa_float_denorm_mode_32 3
		.amdhsa_float_denorm_mode_16_64 3
		.amdhsa_dx10_clamp 1
		.amdhsa_ieee_mode 1
		.amdhsa_fp16_overflow 0
		.amdhsa_workgroup_processor_mode 1
		.amdhsa_memory_ordered 1
		.amdhsa_forward_progress 0
		.amdhsa_shared_vgpr_count 0
		.amdhsa_exception_fp_ieee_invalid_op 0
		.amdhsa_exception_fp_denorm_src 0
		.amdhsa_exception_fp_ieee_div_zero 0
		.amdhsa_exception_fp_ieee_overflow 0
		.amdhsa_exception_fp_ieee_underflow 0
		.amdhsa_exception_fp_ieee_inexact 0
		.amdhsa_exception_int_div_zero 0
	.end_amdhsa_kernel
	.section	.text._ZN9rocsparseL26csrgemm_fill_block_per_rowILj1024ELj64ELj16384ELj137ELj64Ell21rocsparse_complex_numIfEEEvT5_PKS3_S5_NS_24const_host_device_scalarIT6_EEPKT4_S5_PKS7_SB_S5_SD_S8_SB_S5_SD_SB_PS3_PS7_21rocsparse_index_base_SG_SG_SG_bbb,"axG",@progbits,_ZN9rocsparseL26csrgemm_fill_block_per_rowILj1024ELj64ELj16384ELj137ELj64Ell21rocsparse_complex_numIfEEEvT5_PKS3_S5_NS_24const_host_device_scalarIT6_EEPKT4_S5_PKS7_SB_S5_SD_S8_SB_S5_SD_SB_PS3_PS7_21rocsparse_index_base_SG_SG_SG_bbb,comdat
.Lfunc_end148:
	.size	_ZN9rocsparseL26csrgemm_fill_block_per_rowILj1024ELj64ELj16384ELj137ELj64Ell21rocsparse_complex_numIfEEEvT5_PKS3_S5_NS_24const_host_device_scalarIT6_EEPKT4_S5_PKS7_SB_S5_SD_S8_SB_S5_SD_SB_PS3_PS7_21rocsparse_index_base_SG_SG_SG_bbb, .Lfunc_end148-_ZN9rocsparseL26csrgemm_fill_block_per_rowILj1024ELj64ELj16384ELj137ELj64Ell21rocsparse_complex_numIfEEEvT5_PKS3_S5_NS_24const_host_device_scalarIT6_EEPKT4_S5_PKS7_SB_S5_SD_S8_SB_S5_SD_SB_PS3_PS7_21rocsparse_index_base_SG_SG_SG_bbb
                                        ; -- End function
	.section	.AMDGPU.csdata,"",@progbits
; Kernel info:
; codeLenInByte = 3896
; NumSgprs: 50
; NumVgprs: 24
; ScratchSize: 0
; MemoryBound: 0
; FloatMode: 240
; IeeeMode: 1
; LDSByteSize: 0 bytes/workgroup (compile time only)
; SGPRBlocks: 6
; VGPRBlocks: 2
; NumSGPRsForWavesPerEU: 50
; NumVGPRsForWavesPerEU: 24
; Occupancy: 16
; WaveLimiterHint : 1
; COMPUTE_PGM_RSRC2:SCRATCH_EN: 0
; COMPUTE_PGM_RSRC2:USER_SGPR: 15
; COMPUTE_PGM_RSRC2:TRAP_HANDLER: 0
; COMPUTE_PGM_RSRC2:TGID_X_EN: 1
; COMPUTE_PGM_RSRC2:TGID_Y_EN: 0
; COMPUTE_PGM_RSRC2:TGID_Z_EN: 0
; COMPUTE_PGM_RSRC2:TIDIG_COMP_CNT: 0
	.section	.text._ZN9rocsparseL26csrgemm_fill_block_per_rowILj1024ELj64ELj32768ELj137ELj32Ell21rocsparse_complex_numIfEEEvT5_PKS3_S5_NS_24const_host_device_scalarIT6_EEPKT4_S5_PKS7_SB_S5_SD_S8_SB_S5_SD_SB_PS3_PS7_21rocsparse_index_base_SG_SG_SG_bbb,"axG",@progbits,_ZN9rocsparseL26csrgemm_fill_block_per_rowILj1024ELj64ELj32768ELj137ELj32Ell21rocsparse_complex_numIfEEEvT5_PKS3_S5_NS_24const_host_device_scalarIT6_EEPKT4_S5_PKS7_SB_S5_SD_S8_SB_S5_SD_SB_PS3_PS7_21rocsparse_index_base_SG_SG_SG_bbb,comdat
	.globl	_ZN9rocsparseL26csrgemm_fill_block_per_rowILj1024ELj64ELj32768ELj137ELj32Ell21rocsparse_complex_numIfEEEvT5_PKS3_S5_NS_24const_host_device_scalarIT6_EEPKT4_S5_PKS7_SB_S5_SD_S8_SB_S5_SD_SB_PS3_PS7_21rocsparse_index_base_SG_SG_SG_bbb ; -- Begin function _ZN9rocsparseL26csrgemm_fill_block_per_rowILj1024ELj64ELj32768ELj137ELj32Ell21rocsparse_complex_numIfEEEvT5_PKS3_S5_NS_24const_host_device_scalarIT6_EEPKT4_S5_PKS7_SB_S5_SD_S8_SB_S5_SD_SB_PS3_PS7_21rocsparse_index_base_SG_SG_SG_bbb
	.p2align	8
	.type	_ZN9rocsparseL26csrgemm_fill_block_per_rowILj1024ELj64ELj32768ELj137ELj32Ell21rocsparse_complex_numIfEEEvT5_PKS3_S5_NS_24const_host_device_scalarIT6_EEPKT4_S5_PKS7_SB_S5_SD_S8_SB_S5_SD_SB_PS3_PS7_21rocsparse_index_base_SG_SG_SG_bbb,@function
_ZN9rocsparseL26csrgemm_fill_block_per_rowILj1024ELj64ELj32768ELj137ELj32Ell21rocsparse_complex_numIfEEEvT5_PKS3_S5_NS_24const_host_device_scalarIT6_EEPKT4_S5_PKS7_SB_S5_SD_S8_SB_S5_SD_SB_PS3_PS7_21rocsparse_index_base_SG_SG_SG_bbb: ; @_ZN9rocsparseL26csrgemm_fill_block_per_rowILj1024ELj64ELj32768ELj137ELj32Ell21rocsparse_complex_numIfEEEvT5_PKS3_S5_NS_24const_host_device_scalarIT6_EEPKT4_S5_PKS7_SB_S5_SD_S8_SB_S5_SD_SB_PS3_PS7_21rocsparse_index_base_SG_SG_SG_bbb
; %bb.0:
	s_mov_b32 s24, s15
	s_clause 0x6
	s_load_b32 s25, s[0:1], 0x98
	s_load_b256 s[36:43], s[0:1], 0x60
	s_load_b256 s[4:11], s[0:1], 0x40
	s_load_b128 s[20:23], s[0:1], 0x8
	s_load_b256 s[12:19], s[0:1], 0x20
	s_load_b64 s[34:35], s[0:1], 0x80
	s_load_b128 s[44:47], s[0:1], 0x88
	s_mov_b32 s3, 0
	s_mov_b32 s27, 0
	s_waitcnt lgkmcnt(0)
	s_bitcmp1_b32 s25, 0
	s_cselect_b32 s29, -1, 0
	s_bitcmp1_b32 s25, 16
	s_cselect_b32 s2, -1, 0
	s_delay_alu instid0(SALU_CYCLE_1) | instskip(SKIP_2) | instid1(VALU_DEP_1)
	s_xor_b32 s26, s2, -1
	s_bitcmp0_b32 s25, 0
	v_cndmask_b32_e64 v1, 0, 1, s26
	v_cmp_ne_u32_e32 vcc_lo, 1, v1
	s_cbranch_scc1 .LBB149_5
; %bb.1:
	s_load_b64 s[2:3], s[0:1], 0x18
	s_and_b32 vcc_lo, exec_lo, vcc_lo
	s_waitcnt lgkmcnt(0)
	s_mov_b32 s27, s2
	s_cbranch_vccnz .LBB149_3
; %bb.2:
	s_load_b32 s27, s[2:3], 0x0
.LBB149_3:
	s_and_not1_b32 vcc_lo, exec_lo, s26
	s_cbranch_vccnz .LBB149_5
; %bb.4:
	s_load_b32 s3, s[2:3], 0x4
.LBB149_5:
	s_bitcmp1_b32 s25, 8
	s_mov_b32 s26, 0
	s_cselect_b32 s28, -1, 0
	s_bfe_u32 s2, s25, 0x10008
	s_delay_alu instid0(SALU_CYCLE_1)
	s_cmp_eq_u32 s2, 0
	s_mov_b32 s2, 0
	s_cbranch_scc1 .LBB149_11
; %bb.6:
	v_cmp_ne_u32_e32 vcc_lo, 1, v1
	s_mov_b32 s2, s8
	s_cbranch_vccnz .LBB149_8
; %bb.7:
	s_load_b32 s2, s[8:9], 0x0
.LBB149_8:
	v_cmp_ne_u32_e32 vcc_lo, 1, v1
	s_cbranch_vccnz .LBB149_10
; %bb.9:
	s_load_b32 s9, s[8:9], 0x4
.LBB149_10:
	s_waitcnt lgkmcnt(0)
	s_mov_b32 s26, s9
.LBB149_11:
	s_load_b64 s[48:49], s[0:1], 0x0
	v_lshl_add_u32 v12, v0, 3, 0
	v_or_b32_e32 v13, 0xfffffc00, v0
	v_mov_b32_e32 v3, 0
	s_mov_b32 s0, 0
	s_delay_alu instid0(VALU_DEP_2)
	v_dual_mov_b32 v4, v12 :: v_dual_mov_b32 v5, v13
	s_waitcnt lgkmcnt(0)
	v_dual_mov_b32 v1, s48 :: v_dual_mov_b32 v2, s49
.LBB149_12:                             ; =>This Inner Loop Header: Depth=1
	s_delay_alu instid0(VALU_DEP_2) | instskip(NEXT) | instid1(VALU_DEP_3)
	v_add_nc_u32_e32 v5, 0x400, v5
	v_add_nc_u32_e32 v6, 0x40000, v4
	ds_store_b64 v4, v[1:2]
	v_add_nc_u32_e32 v4, 0x2000, v4
	v_cmp_lt_u32_e32 vcc_lo, 0x7bff, v5
	ds_store_2addr_b32 v6, v3, v3 offset1:1
	s_or_b32 s0, vcc_lo, s0
	s_delay_alu instid0(SALU_CYCLE_1)
	s_and_not1_b32 exec_lo, exec_lo, s0
	s_cbranch_execnz .LBB149_12
; %bb.13:
	s_or_b32 exec_lo, exec_lo, s0
	s_waitcnt lgkmcnt(0)
	s_barrier
	buffer_gl0_inv
	s_load_b64 s[0:1], s[20:21], 0x0
	s_mov_b32 s25, 0
	s_waitcnt lgkmcnt(0)
	s_lshl_b64 s[0:1], s[0:1], 3
	s_delay_alu instid0(SALU_CYCLE_1) | instskip(SKIP_2) | instid1(SALU_CYCLE_1)
	s_add_u32 s8, s22, s0
	s_addc_u32 s9, s23, s1
	s_lshl_b64 s[0:1], s[24:25], 3
	s_add_u32 s0, s8, s0
	s_addc_u32 s1, s9, s1
	s_and_b32 vcc_lo, exec_lo, s29
	s_load_b64 s[50:51], s[0:1], 0x0
	s_cbranch_vccz .LBB149_33
; %bb.14:
	s_waitcnt lgkmcnt(0)
	s_lshl_b64 s[0:1], s[50:51], 3
	v_lshrrev_b32_e32 v1, 6, v0
	s_add_u32 s0, s12, s0
	s_addc_u32 s1, s13, s1
	s_mov_b32 s8, exec_lo
	s_load_b128 s[20:23], s[0:1], 0x0
	v_sub_co_u32 v1, s0, v1, s44
	s_delay_alu instid0(VALU_DEP_1) | instskip(SKIP_1) | instid1(VALU_DEP_2)
	v_sub_co_ci_u32_e64 v2, null, 0, 0, s0
	s_waitcnt lgkmcnt(0)
	v_add_co_u32 v1, vcc_lo, s20, v1
	s_delay_alu instid0(VALU_DEP_2)
	v_add_co_ci_u32_e32 v2, vcc_lo, s21, v2, vcc_lo
	s_sub_u32 s0, s22, s44
	s_subb_u32 s1, s23, 0
	s_delay_alu instid0(VALU_DEP_1) | instid1(SALU_CYCLE_1)
	v_cmpx_gt_i64_e64 s[0:1], v[1:2]
	s_cbranch_execz .LBB149_32
; %bb.15:
	v_and_b32_e32 v3, 63, v0
	s_mov_b32 s12, s45
	s_delay_alu instid0(VALU_DEP_1) | instskip(NEXT) | instid1(VALU_DEP_1)
	v_sub_co_u32 v11, s9, v3, s45
	v_sub_co_ci_u32_e64 v14, null, 0, 0, s9
	s_mov_b32 s9, 0
	s_branch .LBB149_17
.LBB149_16:                             ;   in Loop: Header=BB149_17 Depth=1
	s_or_b32 exec_lo, exec_lo, s13
	v_add_co_u32 v1, vcc_lo, v1, 16
	v_add_co_ci_u32_e32 v2, vcc_lo, 0, v2, vcc_lo
	s_delay_alu instid0(VALU_DEP_1) | instskip(SKIP_1) | instid1(SALU_CYCLE_1)
	v_cmp_le_i64_e32 vcc_lo, s[0:1], v[1:2]
	s_or_b32 s9, vcc_lo, s9
	s_and_not1_b32 exec_lo, exec_lo, s9
	s_cbranch_execz .LBB149_32
.LBB149_17:                             ; =>This Loop Header: Depth=1
                                        ;     Child Loop BB149_20 Depth 2
                                        ;       Child Loop BB149_22 Depth 3
	v_lshlrev_b64 v[7:8], 3, v[1:2]
	s_mov_b32 s13, exec_lo
	s_delay_alu instid0(VALU_DEP_1) | instskip(NEXT) | instid1(VALU_DEP_2)
	v_add_co_u32 v3, vcc_lo, s14, v7
	v_add_co_ci_u32_e32 v4, vcc_lo, s15, v8, vcc_lo
	global_load_b64 v[3:4], v[3:4], off
	s_waitcnt vmcnt(0)
	v_sub_co_u32 v3, vcc_lo, v3, s44
	v_subrev_co_ci_u32_e32 v4, vcc_lo, 0, v4, vcc_lo
	s_delay_alu instid0(VALU_DEP_1) | instskip(NEXT) | instid1(VALU_DEP_1)
	v_lshlrev_b64 v[3:4], 3, v[3:4]
	v_add_co_u32 v3, vcc_lo, s18, v3
	s_delay_alu instid0(VALU_DEP_2)
	v_add_co_ci_u32_e32 v4, vcc_lo, s19, v4, vcc_lo
	global_load_b128 v[15:18], v[3:4], off
	s_waitcnt vmcnt(0)
	v_sub_co_u32 v3, vcc_lo, v17, s12
	v_subrev_co_ci_u32_e32 v4, vcc_lo, 0, v18, vcc_lo
	v_add_co_u32 v5, vcc_lo, v15, v11
	v_add_co_ci_u32_e32 v6, vcc_lo, v16, v14, vcc_lo
	s_delay_alu instid0(VALU_DEP_1)
	v_cmpx_lt_i64_e64 v[5:6], v[3:4]
	s_cbranch_execz .LBB149_16
; %bb.18:                               ;   in Loop: Header=BB149_17 Depth=1
	v_add_co_u32 v7, vcc_lo, s16, v7
	v_add_co_ci_u32_e32 v8, vcc_lo, s17, v8, vcc_lo
	s_mov_b32 s20, 0
	global_load_b64 v[7:8], v[7:8], off
	s_waitcnt vmcnt(0)
	v_mul_f32_e64 v15, v8, -s3
	s_delay_alu instid0(VALU_DEP_1) | instskip(NEXT) | instid1(VALU_DEP_1)
	v_dual_mul_f32 v16, s27, v8 :: v_dual_fmac_f32 v15, s27, v7
	v_fmac_f32_e32 v16, s3, v7
	s_branch .LBB149_20
.LBB149_19:                             ;   in Loop: Header=BB149_20 Depth=2
	s_or_b32 exec_lo, exec_lo, s21
	v_add_co_u32 v5, vcc_lo, v5, 64
	v_add_co_ci_u32_e32 v6, vcc_lo, 0, v6, vcc_lo
	s_delay_alu instid0(VALU_DEP_1) | instskip(SKIP_1) | instid1(SALU_CYCLE_1)
	v_cmp_ge_i64_e32 vcc_lo, v[5:6], v[3:4]
	s_or_b32 s20, vcc_lo, s20
	s_and_not1_b32 exec_lo, exec_lo, s20
	s_cbranch_execz .LBB149_16
.LBB149_20:                             ;   Parent Loop BB149_17 Depth=1
                                        ; =>  This Loop Header: Depth=2
                                        ;       Child Loop BB149_22 Depth 3
	v_lshlrev_b64 v[7:8], 3, v[5:6]
	s_mov_b32 s21, 0
	s_delay_alu instid0(VALU_DEP_1) | instskip(NEXT) | instid1(VALU_DEP_2)
	v_add_co_u32 v9, vcc_lo, s4, v7
	v_add_co_ci_u32_e32 v10, vcc_lo, s5, v8, vcc_lo
	v_add_co_u32 v7, vcc_lo, s6, v7
	v_add_co_ci_u32_e32 v8, vcc_lo, s7, v8, vcc_lo
	global_load_b64 v[9:10], v[9:10], off
	global_load_b64 v[19:20], v[7:8], off
	s_waitcnt vmcnt(1)
	v_sub_co_u32 v7, vcc_lo, v9, s12
	v_subrev_co_ci_u32_e32 v8, vcc_lo, 0, v10, vcc_lo
	s_waitcnt vmcnt(0)
	v_mul_f32_e64 v17, v20, -v16
	s_delay_alu instid0(VALU_DEP_3) | instskip(SKIP_1) | instid1(VALU_DEP_3)
	v_mul_lo_u32 v9, 0x89, v7
	v_mul_f32_e32 v18, v15, v20
	v_fmac_f32_e32 v17, v15, v19
	s_delay_alu instid0(VALU_DEP_2)
	v_dual_fmac_f32 v18, v16, v19 :: v_dual_and_b32 v19, 0x7fff, v9
	s_branch .LBB149_22
.LBB149_21:                             ;   in Loop: Header=BB149_22 Depth=3
	s_or_b32 exec_lo, exec_lo, s22
	s_xor_b32 s22, s23, -1
	s_delay_alu instid0(SALU_CYCLE_1) | instskip(NEXT) | instid1(SALU_CYCLE_1)
	s_and_b32 s22, exec_lo, s22
	s_or_b32 s21, s22, s21
	s_delay_alu instid0(SALU_CYCLE_1)
	s_and_not1_b32 exec_lo, exec_lo, s21
	s_cbranch_execz .LBB149_19
.LBB149_22:                             ;   Parent Loop BB149_17 Depth=1
                                        ;     Parent Loop BB149_20 Depth=2
                                        ; =>    This Inner Loop Header: Depth=3
	s_delay_alu instid0(VALU_DEP_1)
	v_lshl_add_u32 v20, v19, 3, 0
	s_mov_b32 s22, exec_lo
                                        ; implicit-def: $sgpr23
	ds_load_b64 v[9:10], v20
	s_waitcnt lgkmcnt(0)
	v_cmpx_ne_u64_e64 v[9:10], v[7:8]
	s_xor_b32 s22, exec_lo, s22
	s_cbranch_execz .LBB149_30
; %bb.23:                               ;   in Loop: Header=BB149_22 Depth=3
	s_mov_b32 s24, exec_lo
                                        ; implicit-def: $sgpr23
	v_cmpx_ne_u64_e64 s[48:49], v[9:10]
	s_xor_b32 s24, exec_lo, s24
; %bb.24:                               ;   in Loop: Header=BB149_22 Depth=3
	v_add_nc_u32_e32 v9, 1, v19
	s_mov_b32 s23, -1
                                        ; implicit-def: $vgpr20
	s_delay_alu instid0(VALU_DEP_1)
	v_and_b32_e32 v19, 0x7fff, v9
; %bb.25:                               ;   in Loop: Header=BB149_22 Depth=3
	s_and_not1_saveexec_b32 s24, s24
	s_cbranch_execz .LBB149_29
; %bb.26:                               ;   in Loop: Header=BB149_22 Depth=3
	v_dual_mov_b32 v9, s48 :: v_dual_mov_b32 v10, s49
	s_mov_b32 s29, -1
	s_mov_b32 s25, exec_lo
	ds_cmpstore_rtn_b64 v[9:10], v20, v[7:8], v[9:10]
	s_waitcnt lgkmcnt(0)
	v_cmpx_eq_u64_e64 s[48:49], v[9:10]
	s_cbranch_execz .LBB149_28
; %bb.27:                               ;   in Loop: Header=BB149_22 Depth=3
	v_lshlrev_b32_e32 v9, 3, v19
	s_xor_b32 s29, exec_lo, -1
	s_delay_alu instid0(VALU_DEP_1)
	v_add3_u32 v9, 0, v9, 0x40000
	ds_add_f32 v9, v17
	ds_add_f32 v9, v18 offset:4
.LBB149_28:                             ;   in Loop: Header=BB149_22 Depth=3
	s_or_b32 exec_lo, exec_lo, s25
	s_delay_alu instid0(SALU_CYCLE_1) | instskip(SKIP_1) | instid1(SALU_CYCLE_1)
	s_and_not1_b32 s23, s23, exec_lo
	s_and_b32 s25, s29, exec_lo
	s_or_b32 s23, s23, s25
.LBB149_29:                             ;   in Loop: Header=BB149_22 Depth=3
	s_or_b32 exec_lo, exec_lo, s24
	s_delay_alu instid0(SALU_CYCLE_1)
	s_and_b32 s23, s23, exec_lo
.LBB149_30:                             ;   in Loop: Header=BB149_22 Depth=3
	s_and_not1_saveexec_b32 s22, s22
	s_cbranch_execz .LBB149_21
; %bb.31:                               ;   in Loop: Header=BB149_22 Depth=3
	v_lshlrev_b32_e32 v9, 3, v19
	s_and_not1_b32 s23, s23, exec_lo
	s_delay_alu instid0(VALU_DEP_1)
	v_add3_u32 v9, 0, v9, 0x40000
	ds_add_f32 v9, v17
	ds_add_f32 v9, v18 offset:4
	s_branch .LBB149_21
.LBB149_32:
	s_or_b32 exec_lo, exec_lo, s8
.LBB149_33:
	s_delay_alu instid0(SALU_CYCLE_1)
	s_and_not1_b32 vcc_lo, exec_lo, s28
	s_cbranch_vccnz .LBB149_50
; %bb.34:
	s_waitcnt lgkmcnt(0)
	s_lshl_b64 s[0:1], s[50:51], 3
	s_mov_b32 s3, 0
	s_add_u32 s0, s10, s0
	s_addc_u32 s1, s11, s1
	s_load_b128 s[4:7], s[0:1], 0x0
	v_sub_co_u32 v1, s0, v0, s47
	s_delay_alu instid0(VALU_DEP_1) | instskip(SKIP_1) | instid1(VALU_DEP_2)
	v_sub_co_ci_u32_e64 v2, null, 0, 0, s0
	s_waitcnt lgkmcnt(0)
	v_add_co_u32 v1, vcc_lo, s4, v1
	s_delay_alu instid0(VALU_DEP_2) | instskip(SKIP_3) | instid1(VALU_DEP_1)
	v_add_co_ci_u32_e32 v2, vcc_lo, s5, v2, vcc_lo
	s_sub_u32 s0, s6, s47
	s_subb_u32 s1, s7, 0
	s_mov_b32 s4, exec_lo
	v_cmpx_gt_i64_e64 s[0:1], v[1:2]
	s_cbranch_execz .LBB149_49
; %bb.35:
	s_mov_b32 s5, s47
	s_branch .LBB149_37
.LBB149_36:                             ;   in Loop: Header=BB149_37 Depth=1
	s_or_b32 exec_lo, exec_lo, s6
	v_add_co_u32 v1, vcc_lo, 0x400, v1
	v_add_co_ci_u32_e32 v2, vcc_lo, 0, v2, vcc_lo
	s_delay_alu instid0(VALU_DEP_1) | instskip(SKIP_1) | instid1(SALU_CYCLE_1)
	v_cmp_le_i64_e32 vcc_lo, s[0:1], v[1:2]
	s_or_b32 s3, vcc_lo, s3
	s_and_not1_b32 exec_lo, exec_lo, s3
	s_cbranch_execz .LBB149_49
.LBB149_37:                             ; =>This Loop Header: Depth=1
                                        ;     Child Loop BB149_39 Depth 2
	v_lshlrev_b64 v[3:4], 3, v[1:2]
	s_mov_b32 s6, 0
	s_delay_alu instid0(VALU_DEP_1) | instskip(NEXT) | instid1(VALU_DEP_2)
	v_add_co_u32 v5, vcc_lo, s36, v3
	v_add_co_ci_u32_e32 v6, vcc_lo, s37, v4, vcc_lo
	v_add_co_u32 v3, vcc_lo, s38, v3
	v_add_co_ci_u32_e32 v4, vcc_lo, s39, v4, vcc_lo
	global_load_b64 v[5:6], v[5:6], off
	global_load_b64 v[9:10], v[3:4], off
	s_waitcnt vmcnt(1)
	v_sub_co_u32 v3, vcc_lo, v5, s5
	v_subrev_co_ci_u32_e32 v4, vcc_lo, 0, v6, vcc_lo
	s_waitcnt vmcnt(0)
	v_mul_f32_e64 v7, v10, -s26
	s_delay_alu instid0(VALU_DEP_3) | instskip(NEXT) | instid1(VALU_DEP_2)
	v_mul_lo_u32 v5, 0x89, v3
	v_dual_mul_f32 v8, s2, v10 :: v_dual_fmac_f32 v7, s2, v9
	s_delay_alu instid0(VALU_DEP_1) | instskip(NEXT) | instid1(VALU_DEP_3)
	v_fmac_f32_e32 v8, s26, v9
	v_and_b32_e32 v9, 0x7fff, v5
	s_branch .LBB149_39
.LBB149_38:                             ;   in Loop: Header=BB149_39 Depth=2
	s_or_b32 exec_lo, exec_lo, s7
	s_xor_b32 s7, s8, -1
	s_delay_alu instid0(SALU_CYCLE_1) | instskip(NEXT) | instid1(SALU_CYCLE_1)
	s_and_b32 s7, exec_lo, s7
	s_or_b32 s6, s7, s6
	s_delay_alu instid0(SALU_CYCLE_1)
	s_and_not1_b32 exec_lo, exec_lo, s6
	s_cbranch_execz .LBB149_36
.LBB149_39:                             ;   Parent Loop BB149_37 Depth=1
                                        ; =>  This Inner Loop Header: Depth=2
	s_delay_alu instid0(VALU_DEP_1)
	v_lshl_add_u32 v10, v9, 3, 0
	s_mov_b32 s7, exec_lo
                                        ; implicit-def: $sgpr8
	ds_load_b64 v[5:6], v10
	s_waitcnt lgkmcnt(0)
	v_cmpx_ne_u64_e64 v[5:6], v[3:4]
	s_xor_b32 s7, exec_lo, s7
	s_cbranch_execz .LBB149_47
; %bb.40:                               ;   in Loop: Header=BB149_39 Depth=2
	s_mov_b32 s9, exec_lo
                                        ; implicit-def: $sgpr8
	v_cmpx_ne_u64_e64 s[48:49], v[5:6]
	s_xor_b32 s9, exec_lo, s9
; %bb.41:                               ;   in Loop: Header=BB149_39 Depth=2
	v_add_nc_u32_e32 v5, 1, v9
	s_mov_b32 s8, -1
                                        ; implicit-def: $vgpr10
	s_delay_alu instid0(VALU_DEP_1)
	v_and_b32_e32 v9, 0x7fff, v5
; %bb.42:                               ;   in Loop: Header=BB149_39 Depth=2
	s_and_not1_saveexec_b32 s9, s9
	s_cbranch_execz .LBB149_46
; %bb.43:                               ;   in Loop: Header=BB149_39 Depth=2
	v_dual_mov_b32 v5, s48 :: v_dual_mov_b32 v6, s49
	s_mov_b32 s11, -1
	s_mov_b32 s10, exec_lo
	ds_cmpstore_rtn_b64 v[5:6], v10, v[3:4], v[5:6]
	s_waitcnt lgkmcnt(0)
	v_cmpx_eq_u64_e64 s[48:49], v[5:6]
	s_cbranch_execz .LBB149_45
; %bb.44:                               ;   in Loop: Header=BB149_39 Depth=2
	v_lshlrev_b32_e32 v5, 3, v9
	s_xor_b32 s11, exec_lo, -1
	s_delay_alu instid0(VALU_DEP_1)
	v_add3_u32 v5, 0, v5, 0x40000
	ds_add_f32 v5, v7
	ds_add_f32 v5, v8 offset:4
.LBB149_45:                             ;   in Loop: Header=BB149_39 Depth=2
	s_or_b32 exec_lo, exec_lo, s10
	s_delay_alu instid0(SALU_CYCLE_1) | instskip(SKIP_1) | instid1(SALU_CYCLE_1)
	s_and_not1_b32 s8, s8, exec_lo
	s_and_b32 s10, s11, exec_lo
	s_or_b32 s8, s8, s10
.LBB149_46:                             ;   in Loop: Header=BB149_39 Depth=2
	s_or_b32 exec_lo, exec_lo, s9
	s_delay_alu instid0(SALU_CYCLE_1)
	s_and_b32 s8, s8, exec_lo
.LBB149_47:                             ;   in Loop: Header=BB149_39 Depth=2
	s_and_not1_saveexec_b32 s7, s7
	s_cbranch_execz .LBB149_38
; %bb.48:                               ;   in Loop: Header=BB149_39 Depth=2
	v_lshlrev_b32_e32 v5, 3, v9
	s_and_not1_b32 s8, s8, exec_lo
	s_delay_alu instid0(VALU_DEP_1)
	v_add3_u32 v5, 0, v5, 0x40000
	ds_add_f32 v5, v7
	ds_add_f32 v5, v8 offset:4
	s_branch .LBB149_38
.LBB149_49:
	s_or_b32 exec_lo, exec_lo, s4
.LBB149_50:
	v_mbcnt_lo_u32_b32 v1, -1, 0
	v_lshrrev_b32_e32 v2, 2, v0
	s_add_i32 s73, 0, 0x800f8
	v_cmp_eq_u32_e32 vcc_lo, 0x3ff, v0
	v_cmp_lt_u32_e64 s0, 31, v0
	v_xor_b32_e32 v1, 63, v1
	v_and_b32_e32 v3, 0xf8, v2
	v_cmp_lt_u32_e64 s1, 63, v0
	v_cmp_lt_u32_e64 s2, 0x5f, v0
	v_cmp_lt_u32_e64 s3, 0x7f, v0
	v_lshrrev_b64 v[1:2], v1, -1
	v_add3_u32 v14, 0, 0x80000, v3
	v_dual_mov_b32 v2, 0 :: v_dual_mov_b32 v5, 0
	v_cmp_lt_u32_e64 s4, 0x9f, v0
	v_cmp_lt_u32_e64 s5, 0xbf, v0
	;; [unrolled: 1-line block ×27, first 2 shown]
	v_mov_b32_e32 v3, 0
	v_mov_b32_e32 v15, s73
	s_mov_b32 s36, 0
	s_add_i32 s37, 0, 0x80000
	s_add_i32 s38, 0, 0x80008
	;; [unrolled: 1-line block ×31, first 2 shown]
	s_waitcnt lgkmcnt(0)
	s_barrier
	buffer_gl0_inv
	s_branch .LBB149_52
.LBB149_51:                             ;   in Loop: Header=BB149_52 Depth=1
	s_or_b32 exec_lo, exec_lo, s31
	s_waitcnt lgkmcnt(0)
	s_barrier
	buffer_gl0_inv
	ds_load_b64 v[6:7], v15
	v_add_nc_u32_e32 v13, 0x400, v13
	v_add_nc_u32_e32 v12, 0x2000, v12
	s_delay_alu instid0(VALU_DEP_2) | instskip(NEXT) | instid1(VALU_DEP_1)
	v_cmp_lt_u32_e64 s31, 0x7bff, v13
	s_or_b32 s36, s31, s36
	s_waitcnt lgkmcnt(0)
	v_add_co_u32 v2, s33, v6, v2
	s_delay_alu instid0(VALU_DEP_1)
	v_add_co_ci_u32_e64 v3, s33, v7, v3, s33
	s_and_not1_b32 exec_lo, exec_lo, s36
	s_cbranch_execz .LBB149_118
.LBB149_52:                             ; =>This Inner Loop Header: Depth=1
	ds_load_b64 v[6:7], v12
	v_add_nc_u32_e32 v4, 0x40000, v12
	ds_load_2addr_b32 v[8:9], v4 offset1:1
	s_waitcnt lgkmcnt(0)
	s_barrier
	buffer_gl0_inv
	v_cmp_gt_i64_e64 s31, s[48:49], v[6:7]
	s_delay_alu instid0(VALU_DEP_1) | instskip(SKIP_1) | instid1(SALU_CYCLE_1)
	v_and_b32_e32 v10, s31, v1
	s_bcnt1_i32_b32 s33, s31
	v_mov_b32_e32 v4, s33
	s_delay_alu instid0(VALU_DEP_2)
	v_bcnt_u32_b32 v10, v10, 0
	ds_store_b64 v14, v[4:5]
	s_waitcnt lgkmcnt(0)
	s_barrier
	buffer_gl0_inv
	s_and_saveexec_b32 s33, s0
	s_cbranch_execnz .LBB149_85
; %bb.53:                               ;   in Loop: Header=BB149_52 Depth=1
	s_or_b32 exec_lo, exec_lo, s33
	s_and_saveexec_b32 s33, s1
	s_cbranch_execnz .LBB149_86
.LBB149_54:                             ;   in Loop: Header=BB149_52 Depth=1
	s_or_b32 exec_lo, exec_lo, s33
	s_and_saveexec_b32 s33, s2
	s_cbranch_execnz .LBB149_87
.LBB149_55:                             ;   in Loop: Header=BB149_52 Depth=1
	s_or_b32 exec_lo, exec_lo, s33
	s_and_saveexec_b32 s33, s3
	s_cbranch_execnz .LBB149_88
.LBB149_56:                             ;   in Loop: Header=BB149_52 Depth=1
	s_or_b32 exec_lo, exec_lo, s33
	s_and_saveexec_b32 s33, s4
	s_cbranch_execnz .LBB149_89
.LBB149_57:                             ;   in Loop: Header=BB149_52 Depth=1
	s_or_b32 exec_lo, exec_lo, s33
	s_and_saveexec_b32 s33, s5
	s_cbranch_execnz .LBB149_90
.LBB149_58:                             ;   in Loop: Header=BB149_52 Depth=1
	s_or_b32 exec_lo, exec_lo, s33
	s_and_saveexec_b32 s33, s6
	s_cbranch_execnz .LBB149_91
.LBB149_59:                             ;   in Loop: Header=BB149_52 Depth=1
	s_or_b32 exec_lo, exec_lo, s33
	s_and_saveexec_b32 s33, s7
	s_cbranch_execnz .LBB149_92
.LBB149_60:                             ;   in Loop: Header=BB149_52 Depth=1
	s_or_b32 exec_lo, exec_lo, s33
	s_and_saveexec_b32 s33, s8
	s_cbranch_execnz .LBB149_93
.LBB149_61:                             ;   in Loop: Header=BB149_52 Depth=1
	s_or_b32 exec_lo, exec_lo, s33
	s_and_saveexec_b32 s33, s9
	s_cbranch_execnz .LBB149_94
.LBB149_62:                             ;   in Loop: Header=BB149_52 Depth=1
	s_or_b32 exec_lo, exec_lo, s33
	s_and_saveexec_b32 s33, s10
	s_cbranch_execnz .LBB149_95
.LBB149_63:                             ;   in Loop: Header=BB149_52 Depth=1
	s_or_b32 exec_lo, exec_lo, s33
	s_and_saveexec_b32 s33, s11
	s_cbranch_execnz .LBB149_96
.LBB149_64:                             ;   in Loop: Header=BB149_52 Depth=1
	s_or_b32 exec_lo, exec_lo, s33
	s_and_saveexec_b32 s33, s12
	s_cbranch_execnz .LBB149_97
.LBB149_65:                             ;   in Loop: Header=BB149_52 Depth=1
	s_or_b32 exec_lo, exec_lo, s33
	s_and_saveexec_b32 s33, s13
	s_cbranch_execnz .LBB149_98
.LBB149_66:                             ;   in Loop: Header=BB149_52 Depth=1
	s_or_b32 exec_lo, exec_lo, s33
	s_and_saveexec_b32 s33, s14
	s_cbranch_execnz .LBB149_99
.LBB149_67:                             ;   in Loop: Header=BB149_52 Depth=1
	s_or_b32 exec_lo, exec_lo, s33
	s_and_saveexec_b32 s33, s15
	s_cbranch_execnz .LBB149_100
.LBB149_68:                             ;   in Loop: Header=BB149_52 Depth=1
	s_or_b32 exec_lo, exec_lo, s33
	s_and_saveexec_b32 s33, s16
	s_cbranch_execnz .LBB149_101
.LBB149_69:                             ;   in Loop: Header=BB149_52 Depth=1
	s_or_b32 exec_lo, exec_lo, s33
	s_and_saveexec_b32 s33, s17
	s_cbranch_execnz .LBB149_102
.LBB149_70:                             ;   in Loop: Header=BB149_52 Depth=1
	s_or_b32 exec_lo, exec_lo, s33
	s_and_saveexec_b32 s33, s18
	s_cbranch_execnz .LBB149_103
.LBB149_71:                             ;   in Loop: Header=BB149_52 Depth=1
	s_or_b32 exec_lo, exec_lo, s33
	s_and_saveexec_b32 s33, s19
	s_cbranch_execnz .LBB149_104
.LBB149_72:                             ;   in Loop: Header=BB149_52 Depth=1
	s_or_b32 exec_lo, exec_lo, s33
	s_and_saveexec_b32 s33, s20
	s_cbranch_execnz .LBB149_105
.LBB149_73:                             ;   in Loop: Header=BB149_52 Depth=1
	s_or_b32 exec_lo, exec_lo, s33
	s_and_saveexec_b32 s33, s21
	s_cbranch_execnz .LBB149_106
.LBB149_74:                             ;   in Loop: Header=BB149_52 Depth=1
	s_or_b32 exec_lo, exec_lo, s33
	s_and_saveexec_b32 s33, s22
	s_cbranch_execnz .LBB149_107
.LBB149_75:                             ;   in Loop: Header=BB149_52 Depth=1
	s_or_b32 exec_lo, exec_lo, s33
	s_and_saveexec_b32 s33, s23
	s_cbranch_execnz .LBB149_108
.LBB149_76:                             ;   in Loop: Header=BB149_52 Depth=1
	s_or_b32 exec_lo, exec_lo, s33
	s_and_saveexec_b32 s33, s24
	s_cbranch_execnz .LBB149_109
.LBB149_77:                             ;   in Loop: Header=BB149_52 Depth=1
	s_or_b32 exec_lo, exec_lo, s33
	s_and_saveexec_b32 s33, s25
	s_cbranch_execnz .LBB149_110
.LBB149_78:                             ;   in Loop: Header=BB149_52 Depth=1
	s_or_b32 exec_lo, exec_lo, s33
	s_and_saveexec_b32 s33, s26
	s_cbranch_execnz .LBB149_111
.LBB149_79:                             ;   in Loop: Header=BB149_52 Depth=1
	s_or_b32 exec_lo, exec_lo, s33
	s_and_saveexec_b32 s33, s27
	s_cbranch_execnz .LBB149_112
.LBB149_80:                             ;   in Loop: Header=BB149_52 Depth=1
	s_or_b32 exec_lo, exec_lo, s33
	s_and_saveexec_b32 s33, s28
	s_cbranch_execnz .LBB149_113
.LBB149_81:                             ;   in Loop: Header=BB149_52 Depth=1
	s_or_b32 exec_lo, exec_lo, s33
	s_and_saveexec_b32 s33, s29
	s_cbranch_execnz .LBB149_114
.LBB149_82:                             ;   in Loop: Header=BB149_52 Depth=1
	s_or_b32 exec_lo, exec_lo, s33
	s_and_saveexec_b32 s33, s30
	s_cbranch_execnz .LBB149_115
.LBB149_83:                             ;   in Loop: Header=BB149_52 Depth=1
	s_or_b32 exec_lo, exec_lo, s33
	v_ashrrev_i32_e32 v11, 31, v10
	s_and_saveexec_b32 s33, s31
	s_cbranch_execnz .LBB149_116
.LBB149_84:                             ;   in Loop: Header=BB149_52 Depth=1
	s_or_b32 exec_lo, exec_lo, s33
	s_and_saveexec_b32 s31, vcc_lo
	s_cbranch_execz .LBB149_51
	s_branch .LBB149_117
.LBB149_85:                             ;   in Loop: Header=BB149_52 Depth=1
	v_mov_b32_e32 v4, s37
	ds_load_b32 v4, v4
	s_waitcnt lgkmcnt(0)
	v_add_nc_u32_e32 v10, v4, v10
	s_or_b32 exec_lo, exec_lo, s33
	s_and_saveexec_b32 s33, s1
	s_cbranch_execz .LBB149_54
.LBB149_86:                             ;   in Loop: Header=BB149_52 Depth=1
	v_mov_b32_e32 v4, s38
	ds_load_b32 v4, v4
	s_waitcnt lgkmcnt(0)
	v_add_nc_u32_e32 v10, v10, v4
	s_or_b32 exec_lo, exec_lo, s33
	s_and_saveexec_b32 s33, s2
	s_cbranch_execz .LBB149_55
.LBB149_87:                             ;   in Loop: Header=BB149_52 Depth=1
	v_mov_b32_e32 v4, s39
	ds_load_b32 v4, v4
	s_waitcnt lgkmcnt(0)
	v_add_nc_u32_e32 v10, v10, v4
	s_or_b32 exec_lo, exec_lo, s33
	s_and_saveexec_b32 s33, s3
	s_cbranch_execz .LBB149_56
.LBB149_88:                             ;   in Loop: Header=BB149_52 Depth=1
	v_mov_b32_e32 v4, s44
	ds_load_b32 v4, v4
	s_waitcnt lgkmcnt(0)
	v_add_nc_u32_e32 v10, v10, v4
	s_or_b32 exec_lo, exec_lo, s33
	s_and_saveexec_b32 s33, s4
	s_cbranch_execz .LBB149_57
.LBB149_89:                             ;   in Loop: Header=BB149_52 Depth=1
	v_mov_b32_e32 v4, s45
	ds_load_b32 v4, v4
	s_waitcnt lgkmcnt(0)
	v_add_nc_u32_e32 v10, v10, v4
	s_or_b32 exec_lo, exec_lo, s33
	s_and_saveexec_b32 s33, s5
	s_cbranch_execz .LBB149_58
.LBB149_90:                             ;   in Loop: Header=BB149_52 Depth=1
	v_mov_b32_e32 v4, s47
	ds_load_b32 v4, v4
	s_waitcnt lgkmcnt(0)
	v_add_nc_u32_e32 v10, v10, v4
	s_or_b32 exec_lo, exec_lo, s33
	s_and_saveexec_b32 s33, s6
	s_cbranch_execz .LBB149_59
.LBB149_91:                             ;   in Loop: Header=BB149_52 Depth=1
	v_mov_b32_e32 v4, s52
	ds_load_b32 v4, v4
	s_waitcnt lgkmcnt(0)
	v_add_nc_u32_e32 v10, v10, v4
	s_or_b32 exec_lo, exec_lo, s33
	s_and_saveexec_b32 s33, s7
	s_cbranch_execz .LBB149_60
.LBB149_92:                             ;   in Loop: Header=BB149_52 Depth=1
	v_mov_b32_e32 v4, s53
	ds_load_b32 v4, v4
	s_waitcnt lgkmcnt(0)
	v_add_nc_u32_e32 v10, v10, v4
	s_or_b32 exec_lo, exec_lo, s33
	s_and_saveexec_b32 s33, s8
	s_cbranch_execz .LBB149_61
.LBB149_93:                             ;   in Loop: Header=BB149_52 Depth=1
	v_mov_b32_e32 v4, s54
	ds_load_b32 v4, v4
	s_waitcnt lgkmcnt(0)
	v_add_nc_u32_e32 v10, v10, v4
	s_or_b32 exec_lo, exec_lo, s33
	s_and_saveexec_b32 s33, s9
	s_cbranch_execz .LBB149_62
.LBB149_94:                             ;   in Loop: Header=BB149_52 Depth=1
	v_mov_b32_e32 v4, s55
	ds_load_b32 v4, v4
	s_waitcnt lgkmcnt(0)
	v_add_nc_u32_e32 v10, v10, v4
	s_or_b32 exec_lo, exec_lo, s33
	s_and_saveexec_b32 s33, s10
	s_cbranch_execz .LBB149_63
.LBB149_95:                             ;   in Loop: Header=BB149_52 Depth=1
	v_mov_b32_e32 v4, s56
	ds_load_b32 v4, v4
	s_waitcnt lgkmcnt(0)
	v_add_nc_u32_e32 v10, v10, v4
	s_or_b32 exec_lo, exec_lo, s33
	s_and_saveexec_b32 s33, s11
	s_cbranch_execz .LBB149_64
.LBB149_96:                             ;   in Loop: Header=BB149_52 Depth=1
	v_mov_b32_e32 v4, s57
	ds_load_b32 v4, v4
	s_waitcnt lgkmcnt(0)
	v_add_nc_u32_e32 v10, v10, v4
	s_or_b32 exec_lo, exec_lo, s33
	s_and_saveexec_b32 s33, s12
	s_cbranch_execz .LBB149_65
.LBB149_97:                             ;   in Loop: Header=BB149_52 Depth=1
	v_mov_b32_e32 v4, s58
	ds_load_b32 v4, v4
	s_waitcnt lgkmcnt(0)
	v_add_nc_u32_e32 v10, v10, v4
	s_or_b32 exec_lo, exec_lo, s33
	s_and_saveexec_b32 s33, s13
	s_cbranch_execz .LBB149_66
.LBB149_98:                             ;   in Loop: Header=BB149_52 Depth=1
	v_mov_b32_e32 v4, s59
	ds_load_b32 v4, v4
	s_waitcnt lgkmcnt(0)
	v_add_nc_u32_e32 v10, v10, v4
	s_or_b32 exec_lo, exec_lo, s33
	s_and_saveexec_b32 s33, s14
	s_cbranch_execz .LBB149_67
.LBB149_99:                             ;   in Loop: Header=BB149_52 Depth=1
	v_mov_b32_e32 v4, s60
	ds_load_b32 v4, v4
	s_waitcnt lgkmcnt(0)
	v_add_nc_u32_e32 v10, v10, v4
	s_or_b32 exec_lo, exec_lo, s33
	s_and_saveexec_b32 s33, s15
	s_cbranch_execz .LBB149_68
.LBB149_100:                            ;   in Loop: Header=BB149_52 Depth=1
	v_mov_b32_e32 v4, s61
	ds_load_b32 v4, v4
	s_waitcnt lgkmcnt(0)
	v_add_nc_u32_e32 v10, v10, v4
	s_or_b32 exec_lo, exec_lo, s33
	s_and_saveexec_b32 s33, s16
	s_cbranch_execz .LBB149_69
.LBB149_101:                            ;   in Loop: Header=BB149_52 Depth=1
	v_mov_b32_e32 v4, s62
	ds_load_b32 v4, v4
	s_waitcnt lgkmcnt(0)
	v_add_nc_u32_e32 v10, v10, v4
	s_or_b32 exec_lo, exec_lo, s33
	s_and_saveexec_b32 s33, s17
	s_cbranch_execz .LBB149_70
.LBB149_102:                            ;   in Loop: Header=BB149_52 Depth=1
	v_mov_b32_e32 v4, s63
	ds_load_b32 v4, v4
	s_waitcnt lgkmcnt(0)
	v_add_nc_u32_e32 v10, v10, v4
	s_or_b32 exec_lo, exec_lo, s33
	s_and_saveexec_b32 s33, s18
	s_cbranch_execz .LBB149_71
.LBB149_103:                            ;   in Loop: Header=BB149_52 Depth=1
	v_mov_b32_e32 v4, s64
	ds_load_b32 v4, v4
	s_waitcnt lgkmcnt(0)
	v_add_nc_u32_e32 v10, v10, v4
	s_or_b32 exec_lo, exec_lo, s33
	s_and_saveexec_b32 s33, s19
	s_cbranch_execz .LBB149_72
.LBB149_104:                            ;   in Loop: Header=BB149_52 Depth=1
	v_mov_b32_e32 v4, s65
	ds_load_b32 v4, v4
	s_waitcnt lgkmcnt(0)
	v_add_nc_u32_e32 v10, v10, v4
	s_or_b32 exec_lo, exec_lo, s33
	s_and_saveexec_b32 s33, s20
	s_cbranch_execz .LBB149_73
.LBB149_105:                            ;   in Loop: Header=BB149_52 Depth=1
	v_mov_b32_e32 v4, s66
	ds_load_b32 v4, v4
	s_waitcnt lgkmcnt(0)
	v_add_nc_u32_e32 v10, v10, v4
	s_or_b32 exec_lo, exec_lo, s33
	s_and_saveexec_b32 s33, s21
	s_cbranch_execz .LBB149_74
.LBB149_106:                            ;   in Loop: Header=BB149_52 Depth=1
	v_mov_b32_e32 v4, s67
	ds_load_b32 v4, v4
	s_waitcnt lgkmcnt(0)
	v_add_nc_u32_e32 v10, v10, v4
	s_or_b32 exec_lo, exec_lo, s33
	s_and_saveexec_b32 s33, s22
	s_cbranch_execz .LBB149_75
.LBB149_107:                            ;   in Loop: Header=BB149_52 Depth=1
	v_mov_b32_e32 v4, s68
	ds_load_b32 v4, v4
	s_waitcnt lgkmcnt(0)
	v_add_nc_u32_e32 v10, v10, v4
	s_or_b32 exec_lo, exec_lo, s33
	s_and_saveexec_b32 s33, s23
	s_cbranch_execz .LBB149_76
.LBB149_108:                            ;   in Loop: Header=BB149_52 Depth=1
	v_mov_b32_e32 v4, s69
	ds_load_b32 v4, v4
	s_waitcnt lgkmcnt(0)
	v_add_nc_u32_e32 v10, v10, v4
	s_or_b32 exec_lo, exec_lo, s33
	s_and_saveexec_b32 s33, s24
	s_cbranch_execz .LBB149_77
.LBB149_109:                            ;   in Loop: Header=BB149_52 Depth=1
	v_mov_b32_e32 v4, s70
	ds_load_b32 v4, v4
	s_waitcnt lgkmcnt(0)
	v_add_nc_u32_e32 v10, v10, v4
	s_or_b32 exec_lo, exec_lo, s33
	s_and_saveexec_b32 s33, s25
	s_cbranch_execz .LBB149_78
.LBB149_110:                            ;   in Loop: Header=BB149_52 Depth=1
	v_mov_b32_e32 v4, s71
	ds_load_b32 v4, v4
	s_waitcnt lgkmcnt(0)
	v_add_nc_u32_e32 v10, v10, v4
	s_or_b32 exec_lo, exec_lo, s33
	s_and_saveexec_b32 s33, s26
	s_cbranch_execz .LBB149_79
.LBB149_111:                            ;   in Loop: Header=BB149_52 Depth=1
	v_mov_b32_e32 v4, s72
	ds_load_b32 v4, v4
	s_waitcnt lgkmcnt(0)
	v_add_nc_u32_e32 v10, v10, v4
	s_or_b32 exec_lo, exec_lo, s33
	s_and_saveexec_b32 s33, s27
	s_cbranch_execz .LBB149_80
.LBB149_112:                            ;   in Loop: Header=BB149_52 Depth=1
	v_mov_b32_e32 v4, s74
	ds_load_b32 v4, v4
	s_waitcnt lgkmcnt(0)
	v_add_nc_u32_e32 v10, v10, v4
	s_or_b32 exec_lo, exec_lo, s33
	s_and_saveexec_b32 s33, s28
	s_cbranch_execz .LBB149_81
.LBB149_113:                            ;   in Loop: Header=BB149_52 Depth=1
	v_mov_b32_e32 v4, s75
	ds_load_b32 v4, v4
	s_waitcnt lgkmcnt(0)
	v_add_nc_u32_e32 v10, v10, v4
	s_or_b32 exec_lo, exec_lo, s33
	s_and_saveexec_b32 s33, s29
	s_cbranch_execz .LBB149_82
.LBB149_114:                            ;   in Loop: Header=BB149_52 Depth=1
	v_mov_b32_e32 v4, s76
	ds_load_b32 v4, v4
	s_waitcnt lgkmcnt(0)
	v_add_nc_u32_e32 v10, v10, v4
	s_or_b32 exec_lo, exec_lo, s33
	s_and_saveexec_b32 s33, s30
	s_cbranch_execz .LBB149_83
.LBB149_115:                            ;   in Loop: Header=BB149_52 Depth=1
	v_mov_b32_e32 v4, s77
	ds_load_b32 v4, v4
	s_waitcnt lgkmcnt(0)
	v_add_nc_u32_e32 v10, v10, v4
	s_or_b32 exec_lo, exec_lo, s33
	s_delay_alu instid0(VALU_DEP_1)
	v_ashrrev_i32_e32 v11, 31, v10
	s_and_saveexec_b32 s33, s31
	s_cbranch_execz .LBB149_84
.LBB149_116:                            ;   in Loop: Header=BB149_52 Depth=1
	v_add3_u32 v4, v2, -1, v10
	s_delay_alu instid0(VALU_DEP_1) | instskip(NEXT) | instid1(VALU_DEP_1)
	v_lshl_add_u32 v4, v4, 3, 0
	v_add_nc_u32_e32 v16, 0x40000, v4
	ds_store_b64 v4, v[6:7]
	ds_store_2addr_b32 v16, v8, v9 offset1:1
	s_or_b32 exec_lo, exec_lo, s33
	s_and_saveexec_b32 s31, vcc_lo
	s_cbranch_execz .LBB149_51
.LBB149_117:                            ;   in Loop: Header=BB149_52 Depth=1
	v_mov_b32_e32 v4, s73
	ds_store_b64 v4, v[10:11]
	s_branch .LBB149_51
.LBB149_118:
	s_or_b32 exec_lo, exec_lo, s36
	s_lshl_b64 s[0:1], s[50:51], 3
	v_mov_b32_e32 v1, 0
	s_add_u32 s0, s40, s0
	s_addc_u32 s1, s41, s1
	s_mov_b32 s6, exec_lo
	s_load_b128 s[0:3], s[0:1], 0x0
	s_waitcnt lgkmcnt(0)
	s_sub_u32 s4, s2, s0
	s_subb_u32 s5, s3, s1
	s_delay_alu instid0(SALU_CYCLE_1)
	v_cmpx_gt_i64_e64 s[4:5], v[0:1]
	s_cbranch_execz .LBB149_128
; %bb.119:
	s_sub_u32 s8, s0, s46
	s_subb_u32 s9, s1, 0
	s_and_b32 s6, s4, 7
	s_sub_u32 s0, s0, s2
	s_subb_u32 s1, s1, s3
	s_mov_b32 s7, 0
	v_cmp_lt_u64_e64 s12, s[0:1], -7
	s_and_b32 s2, s4, -8
	s_cmp_lg_u64 s[6:7], 0
	s_mov_b32 s3, s5
	s_cselect_b32 s13, -1, 0
	s_mov_b32 s14, s7
	s_branch .LBB149_121
.LBB149_120:                            ;   in Loop: Header=BB149_121 Depth=1
	s_waitcnt lgkmcnt(1)
	v_add_co_u32 v4, vcc_lo, v4, s46
	v_lshlrev_b64 v[6:7], 3, v[6:7]
	v_add_co_ci_u32_e32 v5, vcc_lo, 0, v5, vcc_lo
	v_add_co_u32 v0, vcc_lo, 0x400, v0
	v_add_co_ci_u32_e32 v1, vcc_lo, 0, v1, vcc_lo
	s_delay_alu instid0(VALU_DEP_4) | instskip(SKIP_1) | instid1(VALU_DEP_3)
	v_add_co_u32 v8, vcc_lo, s42, v6
	v_add_co_ci_u32_e32 v9, vcc_lo, s43, v7, vcc_lo
	v_cmp_le_i64_e32 vcc_lo, s[4:5], v[0:1]
	v_add_co_u32 v6, s0, s34, v6
	s_delay_alu instid0(VALU_DEP_1) | instskip(SKIP_4) | instid1(SALU_CYCLE_1)
	v_add_co_ci_u32_e64 v7, s0, s35, v7, s0
	global_store_b64 v[8:9], v[4:5], off
	s_waitcnt lgkmcnt(0)
	global_store_b64 v[6:7], v[2:3], off
	s_or_b32 s14, vcc_lo, s14
	s_and_not1_b32 exec_lo, exec_lo, s14
	s_cbranch_execz .LBB149_128
.LBB149_121:                            ; =>This Loop Header: Depth=1
                                        ;     Child Loop BB149_123 Depth 2
                                        ;     Child Loop BB149_127 Depth 2
	v_lshl_add_u32 v2, v0, 3, 0
	s_and_not1_b32 vcc_lo, exec_lo, s12
	s_mov_b64 s[0:1], 0
	v_dual_mov_b32 v6, s8 :: v_dual_mov_b32 v7, s9
	s_delay_alu instid0(VALU_DEP_2)
	v_add_nc_u32_e32 v3, 0x40000, v2
	ds_load_b64 v[4:5], v2
	ds_load_2addr_b32 v[2:3], v3 offset1:1
	s_cbranch_vccnz .LBB149_125
; %bb.122:                              ;   in Loop: Header=BB149_121 Depth=1
	v_dual_mov_b32 v6, s8 :: v_dual_mov_b32 v7, s9
	s_mov_b64 s[10:11], 0
	s_mov_b32 s1, 0
.LBB149_123:                            ;   Parent Loop BB149_121 Depth=1
                                        ; =>  This Inner Loop Header: Depth=2
	s_delay_alu instid0(SALU_CYCLE_1)
	v_mov_b32_e32 v20, s1
	s_add_u32 s10, s10, 8
	s_addc_u32 s11, s11, 0
	s_add_i32 s1, s1, 64
	s_cmp_eq_u64 s[2:3], s[10:11]
	ds_load_2addr_b64 v[8:11], v20 offset1:1
	ds_load_2addr_b64 v[12:15], v20 offset0:2 offset1:3
	ds_load_2addr_b64 v[16:19], v20 offset0:4 offset1:5
	;; [unrolled: 1-line block ×3, first 2 shown]
	s_waitcnt lgkmcnt(3)
	v_cmp_gt_i64_e32 vcc_lo, v[4:5], v[8:9]
	v_cndmask_b32_e64 v8, 0, 1, vcc_lo
	v_cmp_gt_i64_e32 vcc_lo, v[4:5], v[10:11]
	v_cndmask_b32_e64 v9, 0, 1, vcc_lo
	s_waitcnt lgkmcnt(2)
	v_cmp_gt_i64_e32 vcc_lo, v[4:5], v[12:13]
	v_cndmask_b32_e64 v10, 0, 1, vcc_lo
	v_cmp_gt_i64_e32 vcc_lo, v[4:5], v[14:15]
	v_cndmask_b32_e64 v11, 0, 1, vcc_lo
	s_waitcnt lgkmcnt(1)
	v_cmp_gt_i64_e32 vcc_lo, v[4:5], v[16:17]
	v_cndmask_b32_e64 v12, 0, 1, vcc_lo
	v_add_co_u32 v6, vcc_lo, v6, v8
	v_add_co_ci_u32_e32 v7, vcc_lo, 0, v7, vcc_lo
	v_cmp_gt_i64_e32 vcc_lo, v[4:5], v[18:19]
	s_delay_alu instid0(VALU_DEP_3) | instskip(NEXT) | instid1(VALU_DEP_1)
	v_add_co_u32 v6, s0, v6, v9
	v_add_co_ci_u32_e64 v7, s0, 0, v7, s0
	v_cndmask_b32_e64 v8, 0, 1, vcc_lo
	s_delay_alu instid0(VALU_DEP_3) | instskip(NEXT) | instid1(VALU_DEP_3)
	v_add_co_u32 v6, vcc_lo, v6, v10
	v_add_co_ci_u32_e32 v7, vcc_lo, 0, v7, vcc_lo
	s_waitcnt lgkmcnt(0)
	v_cmp_gt_i64_e32 vcc_lo, v[4:5], v[20:21]
	s_delay_alu instid0(VALU_DEP_3) | instskip(NEXT) | instid1(VALU_DEP_1)
	v_add_co_u32 v6, s0, v6, v11
	v_add_co_ci_u32_e64 v7, s0, 0, v7, s0
	v_cndmask_b32_e64 v9, 0, 1, vcc_lo
	s_delay_alu instid0(VALU_DEP_3) | instskip(NEXT) | instid1(VALU_DEP_3)
	v_add_co_u32 v6, vcc_lo, v6, v12
	v_add_co_ci_u32_e32 v7, vcc_lo, 0, v7, vcc_lo
	v_cmp_gt_i64_e32 vcc_lo, v[4:5], v[22:23]
	s_delay_alu instid0(VALU_DEP_3) | instskip(NEXT) | instid1(VALU_DEP_1)
	v_add_co_u32 v6, s0, v6, v8
	v_add_co_ci_u32_e64 v7, s0, 0, v7, s0
	v_cndmask_b32_e64 v8, 0, 1, vcc_lo
	s_delay_alu instid0(VALU_DEP_3) | instskip(NEXT) | instid1(VALU_DEP_3)
	v_add_co_u32 v6, vcc_lo, v6, v9
	v_add_co_ci_u32_e32 v7, vcc_lo, 0, v7, vcc_lo
	s_delay_alu instid0(VALU_DEP_2) | instskip(NEXT) | instid1(VALU_DEP_2)
	v_add_co_u32 v6, vcc_lo, v6, v8
	v_add_co_ci_u32_e32 v7, vcc_lo, 0, v7, vcc_lo
	s_cbranch_scc0 .LBB149_123
; %bb.124:                              ;   in Loop: Header=BB149_121 Depth=1
	s_mov_b64 s[0:1], s[2:3]
.LBB149_125:                            ;   in Loop: Header=BB149_121 Depth=1
	s_and_not1_b32 vcc_lo, exec_lo, s13
	s_cbranch_vccnz .LBB149_120
; %bb.126:                              ;   in Loop: Header=BB149_121 Depth=1
	s_lshl_b32 s0, s0, 3
	s_delay_alu instid0(SALU_CYCLE_1)
	s_add_i32 s10, s0, 0
	s_mov_b64 s[0:1], s[6:7]
.LBB149_127:                            ;   Parent Loop BB149_121 Depth=1
                                        ; =>  This Inner Loop Header: Depth=2
	v_mov_b32_e32 v8, s10
	s_add_i32 s10, s10, 8
	s_add_u32 s0, s0, -1
	s_addc_u32 s1, s1, -1
	s_delay_alu instid0(SALU_CYCLE_1) | instskip(SKIP_4) | instid1(VALU_DEP_1)
	s_cmp_lg_u64 s[0:1], 0
	ds_load_b64 v[8:9], v8
	s_waitcnt lgkmcnt(0)
	v_cmp_gt_i64_e32 vcc_lo, v[4:5], v[8:9]
	v_cndmask_b32_e64 v8, 0, 1, vcc_lo
	v_add_co_u32 v6, vcc_lo, v6, v8
	v_add_co_ci_u32_e32 v7, vcc_lo, 0, v7, vcc_lo
	s_cbranch_scc1 .LBB149_127
	s_branch .LBB149_120
.LBB149_128:
	s_nop 0
	s_sendmsg sendmsg(MSG_DEALLOC_VGPRS)
	s_endpgm
	.section	.rodata,"a",@progbits
	.p2align	6, 0x0
	.amdhsa_kernel _ZN9rocsparseL26csrgemm_fill_block_per_rowILj1024ELj64ELj32768ELj137ELj32Ell21rocsparse_complex_numIfEEEvT5_PKS3_S5_NS_24const_host_device_scalarIT6_EEPKT4_S5_PKS7_SB_S5_SD_S8_SB_S5_SD_SB_PS3_PS7_21rocsparse_index_base_SG_SG_SG_bbb
		.amdhsa_group_segment_fixed_size 0
		.amdhsa_private_segment_fixed_size 0
		.amdhsa_kernarg_size 156
		.amdhsa_user_sgpr_count 15
		.amdhsa_user_sgpr_dispatch_ptr 0
		.amdhsa_user_sgpr_queue_ptr 0
		.amdhsa_user_sgpr_kernarg_segment_ptr 1
		.amdhsa_user_sgpr_dispatch_id 0
		.amdhsa_user_sgpr_private_segment_size 0
		.amdhsa_wavefront_size32 1
		.amdhsa_uses_dynamic_stack 0
		.amdhsa_enable_private_segment 0
		.amdhsa_system_sgpr_workgroup_id_x 1
		.amdhsa_system_sgpr_workgroup_id_y 0
		.amdhsa_system_sgpr_workgroup_id_z 0
		.amdhsa_system_sgpr_workgroup_info 0
		.amdhsa_system_vgpr_workitem_id 0
		.amdhsa_next_free_vgpr 24
		.amdhsa_next_free_sgpr 78
		.amdhsa_reserve_vcc 1
		.amdhsa_float_round_mode_32 0
		.amdhsa_float_round_mode_16_64 0
		.amdhsa_float_denorm_mode_32 3
		.amdhsa_float_denorm_mode_16_64 3
		.amdhsa_dx10_clamp 1
		.amdhsa_ieee_mode 1
		.amdhsa_fp16_overflow 0
		.amdhsa_workgroup_processor_mode 1
		.amdhsa_memory_ordered 1
		.amdhsa_forward_progress 0
		.amdhsa_shared_vgpr_count 0
		.amdhsa_exception_fp_ieee_invalid_op 0
		.amdhsa_exception_fp_denorm_src 0
		.amdhsa_exception_fp_ieee_div_zero 0
		.amdhsa_exception_fp_ieee_overflow 0
		.amdhsa_exception_fp_ieee_underflow 0
		.amdhsa_exception_fp_ieee_inexact 0
		.amdhsa_exception_int_div_zero 0
	.end_amdhsa_kernel
	.section	.text._ZN9rocsparseL26csrgemm_fill_block_per_rowILj1024ELj64ELj32768ELj137ELj32Ell21rocsparse_complex_numIfEEEvT5_PKS3_S5_NS_24const_host_device_scalarIT6_EEPKT4_S5_PKS7_SB_S5_SD_S8_SB_S5_SD_SB_PS3_PS7_21rocsparse_index_base_SG_SG_SG_bbb,"axG",@progbits,_ZN9rocsparseL26csrgemm_fill_block_per_rowILj1024ELj64ELj32768ELj137ELj32Ell21rocsparse_complex_numIfEEEvT5_PKS3_S5_NS_24const_host_device_scalarIT6_EEPKT4_S5_PKS7_SB_S5_SD_S8_SB_S5_SD_SB_PS3_PS7_21rocsparse_index_base_SG_SG_SG_bbb,comdat
.Lfunc_end149:
	.size	_ZN9rocsparseL26csrgemm_fill_block_per_rowILj1024ELj64ELj32768ELj137ELj32Ell21rocsparse_complex_numIfEEEvT5_PKS3_S5_NS_24const_host_device_scalarIT6_EEPKT4_S5_PKS7_SB_S5_SD_S8_SB_S5_SD_SB_PS3_PS7_21rocsparse_index_base_SG_SG_SG_bbb, .Lfunc_end149-_ZN9rocsparseL26csrgemm_fill_block_per_rowILj1024ELj64ELj32768ELj137ELj32Ell21rocsparse_complex_numIfEEEvT5_PKS3_S5_NS_24const_host_device_scalarIT6_EEPKT4_S5_PKS7_SB_S5_SD_S8_SB_S5_SD_SB_PS3_PS7_21rocsparse_index_base_SG_SG_SG_bbb
                                        ; -- End function
	.section	.AMDGPU.csdata,"",@progbits
; Kernel info:
; codeLenInByte = 4924
; NumSgprs: 80
; NumVgprs: 24
; ScratchSize: 0
; MemoryBound: 0
; FloatMode: 240
; IeeeMode: 1
; LDSByteSize: 0 bytes/workgroup (compile time only)
; SGPRBlocks: 9
; VGPRBlocks: 2
; NumSGPRsForWavesPerEU: 80
; NumVGPRsForWavesPerEU: 24
; Occupancy: 16
; WaveLimiterHint : 1
; COMPUTE_PGM_RSRC2:SCRATCH_EN: 0
; COMPUTE_PGM_RSRC2:USER_SGPR: 15
; COMPUTE_PGM_RSRC2:TRAP_HANDLER: 0
; COMPUTE_PGM_RSRC2:TGID_X_EN: 1
; COMPUTE_PGM_RSRC2:TGID_Y_EN: 0
; COMPUTE_PGM_RSRC2:TGID_Z_EN: 0
; COMPUTE_PGM_RSRC2:TIDIG_COMP_CNT: 0
	.section	.text._ZN9rocsparseL26csrgemm_fill_block_per_rowILj1024ELj64ELj32768ELj137ELj64Ell21rocsparse_complex_numIfEEEvT5_PKS3_S5_NS_24const_host_device_scalarIT6_EEPKT4_S5_PKS7_SB_S5_SD_S8_SB_S5_SD_SB_PS3_PS7_21rocsparse_index_base_SG_SG_SG_bbb,"axG",@progbits,_ZN9rocsparseL26csrgemm_fill_block_per_rowILj1024ELj64ELj32768ELj137ELj64Ell21rocsparse_complex_numIfEEEvT5_PKS3_S5_NS_24const_host_device_scalarIT6_EEPKT4_S5_PKS7_SB_S5_SD_S8_SB_S5_SD_SB_PS3_PS7_21rocsparse_index_base_SG_SG_SG_bbb,comdat
	.globl	_ZN9rocsparseL26csrgemm_fill_block_per_rowILj1024ELj64ELj32768ELj137ELj64Ell21rocsparse_complex_numIfEEEvT5_PKS3_S5_NS_24const_host_device_scalarIT6_EEPKT4_S5_PKS7_SB_S5_SD_S8_SB_S5_SD_SB_PS3_PS7_21rocsparse_index_base_SG_SG_SG_bbb ; -- Begin function _ZN9rocsparseL26csrgemm_fill_block_per_rowILj1024ELj64ELj32768ELj137ELj64Ell21rocsparse_complex_numIfEEEvT5_PKS3_S5_NS_24const_host_device_scalarIT6_EEPKT4_S5_PKS7_SB_S5_SD_S8_SB_S5_SD_SB_PS3_PS7_21rocsparse_index_base_SG_SG_SG_bbb
	.p2align	8
	.type	_ZN9rocsparseL26csrgemm_fill_block_per_rowILj1024ELj64ELj32768ELj137ELj64Ell21rocsparse_complex_numIfEEEvT5_PKS3_S5_NS_24const_host_device_scalarIT6_EEPKT4_S5_PKS7_SB_S5_SD_S8_SB_S5_SD_SB_PS3_PS7_21rocsparse_index_base_SG_SG_SG_bbb,@function
_ZN9rocsparseL26csrgemm_fill_block_per_rowILj1024ELj64ELj32768ELj137ELj64Ell21rocsparse_complex_numIfEEEvT5_PKS3_S5_NS_24const_host_device_scalarIT6_EEPKT4_S5_PKS7_SB_S5_SD_S8_SB_S5_SD_SB_PS3_PS7_21rocsparse_index_base_SG_SG_SG_bbb: ; @_ZN9rocsparseL26csrgemm_fill_block_per_rowILj1024ELj64ELj32768ELj137ELj64Ell21rocsparse_complex_numIfEEEvT5_PKS3_S5_NS_24const_host_device_scalarIT6_EEPKT4_S5_PKS7_SB_S5_SD_S8_SB_S5_SD_SB_PS3_PS7_21rocsparse_index_base_SG_SG_SG_bbb
; %bb.0:
	s_mov_b32 s42, s15
	s_clause 0x6
	s_load_b32 s33, s[0:1], 0x98
	s_load_b256 s[16:23], s[0:1], 0x60
	s_load_b256 s[4:11], s[0:1], 0x40
	s_load_b128 s[12:15], s[0:1], 0x8
	s_load_b256 s[24:31], s[0:1], 0x20
	s_load_b64 s[34:35], s[0:1], 0x80
	s_load_b128 s[36:39], s[0:1], 0x88
	s_mov_b32 s3, 0
	s_mov_b32 s44, 0
	s_waitcnt lgkmcnt(0)
	s_bitcmp1_b32 s33, 0
	s_cselect_b32 s46, -1, 0
	s_bitcmp1_b32 s33, 16
	s_cselect_b32 s2, -1, 0
	s_delay_alu instid0(SALU_CYCLE_1) | instskip(SKIP_2) | instid1(VALU_DEP_1)
	s_xor_b32 s40, s2, -1
	s_bitcmp0_b32 s33, 0
	v_cndmask_b32_e64 v1, 0, 1, s40
	v_cmp_ne_u32_e32 vcc_lo, 1, v1
	s_cbranch_scc1 .LBB150_5
; %bb.1:
	s_load_b64 s[2:3], s[0:1], 0x18
	s_and_b32 vcc_lo, exec_lo, vcc_lo
	s_waitcnt lgkmcnt(0)
	s_mov_b32 s44, s2
	s_cbranch_vccnz .LBB150_3
; %bb.2:
	s_load_b32 s44, s[2:3], 0x0
.LBB150_3:
	s_and_not1_b32 vcc_lo, exec_lo, s40
	s_cbranch_vccnz .LBB150_5
; %bb.4:
	s_load_b32 s3, s[2:3], 0x4
.LBB150_5:
	s_bitcmp1_b32 s33, 8
	s_cselect_b32 s45, -1, 0
	s_bfe_u32 s2, s33, 0x10008
	s_mov_b32 s33, 0
	s_cmp_eq_u32 s2, 0
	s_mov_b32 s2, 0
	s_cbranch_scc1 .LBB150_11
; %bb.6:
	v_cmp_ne_u32_e32 vcc_lo, 1, v1
	s_mov_b32 s2, s8
	s_cbranch_vccnz .LBB150_8
; %bb.7:
	s_load_b32 s2, s[8:9], 0x0
.LBB150_8:
	v_cmp_ne_u32_e32 vcc_lo, 1, v1
	s_cbranch_vccnz .LBB150_10
; %bb.9:
	s_load_b32 s9, s[8:9], 0x4
.LBB150_10:
	s_waitcnt lgkmcnt(0)
	s_mov_b32 s33, s9
.LBB150_11:
	s_load_b64 s[40:41], s[0:1], 0x0
	v_lshl_add_u32 v12, v0, 3, 0
	v_or_b32_e32 v13, 0xfffffc00, v0
	v_mov_b32_e32 v3, 0
	s_mov_b32 s0, 0
	s_delay_alu instid0(VALU_DEP_2)
	v_dual_mov_b32 v4, v12 :: v_dual_mov_b32 v5, v13
	s_waitcnt lgkmcnt(0)
	v_dual_mov_b32 v1, s40 :: v_dual_mov_b32 v2, s41
.LBB150_12:                             ; =>This Inner Loop Header: Depth=1
	s_delay_alu instid0(VALU_DEP_2) | instskip(NEXT) | instid1(VALU_DEP_3)
	v_add_nc_u32_e32 v5, 0x400, v5
	v_add_nc_u32_e32 v6, 0x40000, v4
	ds_store_b64 v4, v[1:2]
	v_add_nc_u32_e32 v4, 0x2000, v4
	v_cmp_lt_u32_e32 vcc_lo, 0x7bff, v5
	ds_store_2addr_b32 v6, v3, v3 offset1:1
	s_or_b32 s0, vcc_lo, s0
	s_delay_alu instid0(SALU_CYCLE_1)
	s_and_not1_b32 exec_lo, exec_lo, s0
	s_cbranch_execnz .LBB150_12
; %bb.13:
	s_or_b32 exec_lo, exec_lo, s0
	s_waitcnt lgkmcnt(0)
	s_barrier
	buffer_gl0_inv
	s_load_b64 s[0:1], s[12:13], 0x0
	s_mov_b32 s43, 0
	v_lshrrev_b32_e32 v11, 6, v0
	s_waitcnt lgkmcnt(0)
	s_lshl_b64 s[0:1], s[0:1], 3
	s_delay_alu instid0(SALU_CYCLE_1) | instskip(SKIP_2) | instid1(SALU_CYCLE_1)
	s_add_u32 s8, s14, s0
	s_addc_u32 s9, s15, s1
	s_lshl_b64 s[0:1], s[42:43], 3
	s_add_u32 s0, s8, s0
	s_addc_u32 s1, s9, s1
	s_and_b32 vcc_lo, exec_lo, s46
	s_load_b64 s[42:43], s[0:1], 0x0
	s_cbranch_vccz .LBB150_33
; %bb.14:
	s_waitcnt lgkmcnt(0)
	s_lshl_b64 s[0:1], s[42:43], 3
	s_mov_b32 s8, exec_lo
	s_add_u32 s0, s24, s0
	s_addc_u32 s1, s25, s1
	s_load_b128 s[12:15], s[0:1], 0x0
	v_sub_co_u32 v1, s0, v11, s36
	s_delay_alu instid0(VALU_DEP_1) | instskip(SKIP_1) | instid1(VALU_DEP_2)
	v_sub_co_ci_u32_e64 v2, null, 0, 0, s0
	s_waitcnt lgkmcnt(0)
	v_add_co_u32 v1, vcc_lo, s12, v1
	s_delay_alu instid0(VALU_DEP_2)
	v_add_co_ci_u32_e32 v2, vcc_lo, s13, v2, vcc_lo
	s_sub_u32 s0, s14, s36
	s_subb_u32 s1, s15, 0
	s_delay_alu instid0(VALU_DEP_1) | instid1(SALU_CYCLE_1)
	v_cmpx_gt_i64_e64 s[0:1], v[1:2]
	s_cbranch_execz .LBB150_32
; %bb.15:
	v_and_b32_e32 v3, 63, v0
	s_mov_b32 s12, s37
	s_delay_alu instid0(VALU_DEP_1) | instskip(NEXT) | instid1(VALU_DEP_1)
	v_sub_co_u32 v14, s9, v3, s37
	v_sub_co_ci_u32_e64 v15, null, 0, 0, s9
	s_mov_b32 s9, 0
	s_branch .LBB150_17
.LBB150_16:                             ;   in Loop: Header=BB150_17 Depth=1
	s_or_b32 exec_lo, exec_lo, s13
	v_add_co_u32 v1, vcc_lo, v1, 16
	v_add_co_ci_u32_e32 v2, vcc_lo, 0, v2, vcc_lo
	s_delay_alu instid0(VALU_DEP_1) | instskip(SKIP_1) | instid1(SALU_CYCLE_1)
	v_cmp_le_i64_e32 vcc_lo, s[0:1], v[1:2]
	s_or_b32 s9, vcc_lo, s9
	s_and_not1_b32 exec_lo, exec_lo, s9
	s_cbranch_execz .LBB150_32
.LBB150_17:                             ; =>This Loop Header: Depth=1
                                        ;     Child Loop BB150_20 Depth 2
                                        ;       Child Loop BB150_22 Depth 3
	v_lshlrev_b64 v[7:8], 3, v[1:2]
	s_mov_b32 s13, exec_lo
	s_delay_alu instid0(VALU_DEP_1) | instskip(NEXT) | instid1(VALU_DEP_2)
	v_add_co_u32 v3, vcc_lo, s26, v7
	v_add_co_ci_u32_e32 v4, vcc_lo, s27, v8, vcc_lo
	global_load_b64 v[3:4], v[3:4], off
	s_waitcnt vmcnt(0)
	v_sub_co_u32 v3, vcc_lo, v3, s36
	v_subrev_co_ci_u32_e32 v4, vcc_lo, 0, v4, vcc_lo
	s_delay_alu instid0(VALU_DEP_1) | instskip(NEXT) | instid1(VALU_DEP_1)
	v_lshlrev_b64 v[3:4], 3, v[3:4]
	v_add_co_u32 v3, vcc_lo, s30, v3
	s_delay_alu instid0(VALU_DEP_2)
	v_add_co_ci_u32_e32 v4, vcc_lo, s31, v4, vcc_lo
	global_load_b128 v[16:19], v[3:4], off
	s_waitcnt vmcnt(0)
	v_sub_co_u32 v3, vcc_lo, v18, s12
	v_subrev_co_ci_u32_e32 v4, vcc_lo, 0, v19, vcc_lo
	v_add_co_u32 v5, vcc_lo, v16, v14
	v_add_co_ci_u32_e32 v6, vcc_lo, v17, v15, vcc_lo
	s_delay_alu instid0(VALU_DEP_1)
	v_cmpx_lt_i64_e64 v[5:6], v[3:4]
	s_cbranch_execz .LBB150_16
; %bb.18:                               ;   in Loop: Header=BB150_17 Depth=1
	v_add_co_u32 v7, vcc_lo, s28, v7
	v_add_co_ci_u32_e32 v8, vcc_lo, s29, v8, vcc_lo
	s_mov_b32 s14, 0
	global_load_b64 v[7:8], v[7:8], off
	s_waitcnt vmcnt(0)
	v_mul_f32_e64 v16, v8, -s3
	s_delay_alu instid0(VALU_DEP_1) | instskip(NEXT) | instid1(VALU_DEP_1)
	v_dual_mul_f32 v17, s44, v8 :: v_dual_fmac_f32 v16, s44, v7
	v_fmac_f32_e32 v17, s3, v7
	s_branch .LBB150_20
.LBB150_19:                             ;   in Loop: Header=BB150_20 Depth=2
	s_or_b32 exec_lo, exec_lo, s15
	v_add_co_u32 v5, vcc_lo, v5, 64
	v_add_co_ci_u32_e32 v6, vcc_lo, 0, v6, vcc_lo
	s_delay_alu instid0(VALU_DEP_1) | instskip(SKIP_1) | instid1(SALU_CYCLE_1)
	v_cmp_ge_i64_e32 vcc_lo, v[5:6], v[3:4]
	s_or_b32 s14, vcc_lo, s14
	s_and_not1_b32 exec_lo, exec_lo, s14
	s_cbranch_execz .LBB150_16
.LBB150_20:                             ;   Parent Loop BB150_17 Depth=1
                                        ; =>  This Loop Header: Depth=2
                                        ;       Child Loop BB150_22 Depth 3
	v_lshlrev_b64 v[7:8], 3, v[5:6]
	s_mov_b32 s15, 0
	s_delay_alu instid0(VALU_DEP_1) | instskip(NEXT) | instid1(VALU_DEP_2)
	v_add_co_u32 v9, vcc_lo, s4, v7
	v_add_co_ci_u32_e32 v10, vcc_lo, s5, v8, vcc_lo
	v_add_co_u32 v7, vcc_lo, s6, v7
	v_add_co_ci_u32_e32 v8, vcc_lo, s7, v8, vcc_lo
	global_load_b64 v[9:10], v[9:10], off
	global_load_b64 v[20:21], v[7:8], off
	s_waitcnt vmcnt(1)
	v_sub_co_u32 v7, vcc_lo, v9, s12
	v_subrev_co_ci_u32_e32 v8, vcc_lo, 0, v10, vcc_lo
	s_waitcnt vmcnt(0)
	v_mul_f32_e64 v18, v21, -v17
	s_delay_alu instid0(VALU_DEP_3) | instskip(SKIP_1) | instid1(VALU_DEP_3)
	v_mul_lo_u32 v9, 0x89, v7
	v_mul_f32_e32 v19, v16, v21
	v_fmac_f32_e32 v18, v16, v20
	s_delay_alu instid0(VALU_DEP_2)
	v_dual_fmac_f32 v19, v17, v20 :: v_dual_and_b32 v20, 0x7fff, v9
	s_branch .LBB150_22
.LBB150_21:                             ;   in Loop: Header=BB150_22 Depth=3
	s_or_b32 exec_lo, exec_lo, s24
	s_xor_b32 s24, s25, -1
	s_delay_alu instid0(SALU_CYCLE_1) | instskip(NEXT) | instid1(SALU_CYCLE_1)
	s_and_b32 s24, exec_lo, s24
	s_or_b32 s15, s24, s15
	s_delay_alu instid0(SALU_CYCLE_1)
	s_and_not1_b32 exec_lo, exec_lo, s15
	s_cbranch_execz .LBB150_19
.LBB150_22:                             ;   Parent Loop BB150_17 Depth=1
                                        ;     Parent Loop BB150_20 Depth=2
                                        ; =>    This Inner Loop Header: Depth=3
	s_delay_alu instid0(VALU_DEP_1)
	v_lshl_add_u32 v21, v20, 3, 0
	s_mov_b32 s24, exec_lo
                                        ; implicit-def: $sgpr25
	ds_load_b64 v[9:10], v21
	s_waitcnt lgkmcnt(0)
	v_cmpx_ne_u64_e64 v[9:10], v[7:8]
	s_xor_b32 s24, exec_lo, s24
	s_cbranch_execz .LBB150_30
; %bb.23:                               ;   in Loop: Header=BB150_22 Depth=3
	s_mov_b32 s37, exec_lo
                                        ; implicit-def: $sgpr25
	v_cmpx_ne_u64_e64 s[40:41], v[9:10]
	s_xor_b32 s37, exec_lo, s37
; %bb.24:                               ;   in Loop: Header=BB150_22 Depth=3
	v_add_nc_u32_e32 v9, 1, v20
	s_mov_b32 s25, -1
                                        ; implicit-def: $vgpr21
	s_delay_alu instid0(VALU_DEP_1)
	v_and_b32_e32 v20, 0x7fff, v9
; %bb.25:                               ;   in Loop: Header=BB150_22 Depth=3
	s_and_not1_saveexec_b32 s37, s37
	s_cbranch_execz .LBB150_29
; %bb.26:                               ;   in Loop: Header=BB150_22 Depth=3
	v_dual_mov_b32 v9, s40 :: v_dual_mov_b32 v10, s41
	s_mov_b32 s47, -1
	s_mov_b32 s46, exec_lo
	ds_cmpstore_rtn_b64 v[9:10], v21, v[7:8], v[9:10]
	s_waitcnt lgkmcnt(0)
	v_cmpx_eq_u64_e64 s[40:41], v[9:10]
	s_cbranch_execz .LBB150_28
; %bb.27:                               ;   in Loop: Header=BB150_22 Depth=3
	v_lshlrev_b32_e32 v9, 3, v20
	s_xor_b32 s47, exec_lo, -1
	s_delay_alu instid0(VALU_DEP_1)
	v_add3_u32 v9, 0, v9, 0x40000
	ds_add_f32 v9, v18
	ds_add_f32 v9, v19 offset:4
.LBB150_28:                             ;   in Loop: Header=BB150_22 Depth=3
	s_or_b32 exec_lo, exec_lo, s46
	s_delay_alu instid0(SALU_CYCLE_1) | instskip(SKIP_1) | instid1(SALU_CYCLE_1)
	s_and_not1_b32 s25, s25, exec_lo
	s_and_b32 s46, s47, exec_lo
	s_or_b32 s25, s25, s46
.LBB150_29:                             ;   in Loop: Header=BB150_22 Depth=3
	s_or_b32 exec_lo, exec_lo, s37
	s_delay_alu instid0(SALU_CYCLE_1)
	s_and_b32 s25, s25, exec_lo
.LBB150_30:                             ;   in Loop: Header=BB150_22 Depth=3
	s_and_not1_saveexec_b32 s24, s24
	s_cbranch_execz .LBB150_21
; %bb.31:                               ;   in Loop: Header=BB150_22 Depth=3
	v_lshlrev_b32_e32 v9, 3, v20
	s_and_not1_b32 s25, s25, exec_lo
	s_delay_alu instid0(VALU_DEP_1)
	v_add3_u32 v9, 0, v9, 0x40000
	ds_add_f32 v9, v18
	ds_add_f32 v9, v19 offset:4
	s_branch .LBB150_21
.LBB150_32:
	s_or_b32 exec_lo, exec_lo, s8
.LBB150_33:
	s_delay_alu instid0(SALU_CYCLE_1)
	s_and_not1_b32 vcc_lo, exec_lo, s45
	s_cbranch_vccnz .LBB150_50
; %bb.34:
	s_waitcnt lgkmcnt(0)
	s_lshl_b64 s[0:1], s[42:43], 3
	s_mov_b32 s3, 0
	s_add_u32 s0, s10, s0
	s_addc_u32 s1, s11, s1
	s_load_b128 s[4:7], s[0:1], 0x0
	v_sub_co_u32 v1, s0, v0, s39
	s_delay_alu instid0(VALU_DEP_1) | instskip(SKIP_1) | instid1(VALU_DEP_2)
	v_sub_co_ci_u32_e64 v2, null, 0, 0, s0
	s_waitcnt lgkmcnt(0)
	v_add_co_u32 v1, vcc_lo, s4, v1
	s_delay_alu instid0(VALU_DEP_2) | instskip(SKIP_3) | instid1(VALU_DEP_1)
	v_add_co_ci_u32_e32 v2, vcc_lo, s5, v2, vcc_lo
	s_sub_u32 s0, s6, s39
	s_subb_u32 s1, s7, 0
	s_mov_b32 s4, exec_lo
	v_cmpx_gt_i64_e64 s[0:1], v[1:2]
	s_cbranch_execz .LBB150_49
; %bb.35:
	s_mov_b32 s5, s39
	s_branch .LBB150_37
.LBB150_36:                             ;   in Loop: Header=BB150_37 Depth=1
	s_or_b32 exec_lo, exec_lo, s6
	v_add_co_u32 v1, vcc_lo, 0x400, v1
	v_add_co_ci_u32_e32 v2, vcc_lo, 0, v2, vcc_lo
	s_delay_alu instid0(VALU_DEP_1) | instskip(SKIP_1) | instid1(SALU_CYCLE_1)
	v_cmp_le_i64_e32 vcc_lo, s[0:1], v[1:2]
	s_or_b32 s3, vcc_lo, s3
	s_and_not1_b32 exec_lo, exec_lo, s3
	s_cbranch_execz .LBB150_49
.LBB150_37:                             ; =>This Loop Header: Depth=1
                                        ;     Child Loop BB150_39 Depth 2
	v_lshlrev_b64 v[3:4], 3, v[1:2]
	s_mov_b32 s6, 0
	s_delay_alu instid0(VALU_DEP_1) | instskip(NEXT) | instid1(VALU_DEP_2)
	v_add_co_u32 v5, vcc_lo, s16, v3
	v_add_co_ci_u32_e32 v6, vcc_lo, s17, v4, vcc_lo
	v_add_co_u32 v3, vcc_lo, s18, v3
	v_add_co_ci_u32_e32 v4, vcc_lo, s19, v4, vcc_lo
	global_load_b64 v[5:6], v[5:6], off
	global_load_b64 v[9:10], v[3:4], off
	s_waitcnt vmcnt(1)
	v_sub_co_u32 v3, vcc_lo, v5, s5
	v_subrev_co_ci_u32_e32 v4, vcc_lo, 0, v6, vcc_lo
	s_waitcnt vmcnt(0)
	v_mul_f32_e64 v7, v10, -s33
	s_delay_alu instid0(VALU_DEP_3) | instskip(NEXT) | instid1(VALU_DEP_2)
	v_mul_lo_u32 v5, 0x89, v3
	v_dual_mul_f32 v8, s2, v10 :: v_dual_fmac_f32 v7, s2, v9
	s_delay_alu instid0(VALU_DEP_1) | instskip(NEXT) | instid1(VALU_DEP_3)
	v_fmac_f32_e32 v8, s33, v9
	v_and_b32_e32 v9, 0x7fff, v5
	s_branch .LBB150_39
.LBB150_38:                             ;   in Loop: Header=BB150_39 Depth=2
	s_or_b32 exec_lo, exec_lo, s7
	s_xor_b32 s7, s8, -1
	s_delay_alu instid0(SALU_CYCLE_1) | instskip(NEXT) | instid1(SALU_CYCLE_1)
	s_and_b32 s7, exec_lo, s7
	s_or_b32 s6, s7, s6
	s_delay_alu instid0(SALU_CYCLE_1)
	s_and_not1_b32 exec_lo, exec_lo, s6
	s_cbranch_execz .LBB150_36
.LBB150_39:                             ;   Parent Loop BB150_37 Depth=1
                                        ; =>  This Inner Loop Header: Depth=2
	s_delay_alu instid0(VALU_DEP_1)
	v_lshl_add_u32 v10, v9, 3, 0
	s_mov_b32 s7, exec_lo
                                        ; implicit-def: $sgpr8
	ds_load_b64 v[5:6], v10
	s_waitcnt lgkmcnt(0)
	v_cmpx_ne_u64_e64 v[5:6], v[3:4]
	s_xor_b32 s7, exec_lo, s7
	s_cbranch_execz .LBB150_47
; %bb.40:                               ;   in Loop: Header=BB150_39 Depth=2
	s_mov_b32 s9, exec_lo
                                        ; implicit-def: $sgpr8
	v_cmpx_ne_u64_e64 s[40:41], v[5:6]
	s_xor_b32 s9, exec_lo, s9
; %bb.41:                               ;   in Loop: Header=BB150_39 Depth=2
	v_add_nc_u32_e32 v5, 1, v9
	s_mov_b32 s8, -1
                                        ; implicit-def: $vgpr10
	s_delay_alu instid0(VALU_DEP_1)
	v_and_b32_e32 v9, 0x7fff, v5
; %bb.42:                               ;   in Loop: Header=BB150_39 Depth=2
	s_and_not1_saveexec_b32 s9, s9
	s_cbranch_execz .LBB150_46
; %bb.43:                               ;   in Loop: Header=BB150_39 Depth=2
	v_dual_mov_b32 v5, s40 :: v_dual_mov_b32 v6, s41
	s_mov_b32 s11, -1
	s_mov_b32 s10, exec_lo
	ds_cmpstore_rtn_b64 v[5:6], v10, v[3:4], v[5:6]
	s_waitcnt lgkmcnt(0)
	v_cmpx_eq_u64_e64 s[40:41], v[5:6]
	s_cbranch_execz .LBB150_45
; %bb.44:                               ;   in Loop: Header=BB150_39 Depth=2
	v_lshlrev_b32_e32 v5, 3, v9
	s_xor_b32 s11, exec_lo, -1
	s_delay_alu instid0(VALU_DEP_1)
	v_add3_u32 v5, 0, v5, 0x40000
	ds_add_f32 v5, v7
	ds_add_f32 v5, v8 offset:4
.LBB150_45:                             ;   in Loop: Header=BB150_39 Depth=2
	s_or_b32 exec_lo, exec_lo, s10
	s_delay_alu instid0(SALU_CYCLE_1) | instskip(SKIP_1) | instid1(SALU_CYCLE_1)
	s_and_not1_b32 s8, s8, exec_lo
	s_and_b32 s10, s11, exec_lo
	s_or_b32 s8, s8, s10
.LBB150_46:                             ;   in Loop: Header=BB150_39 Depth=2
	s_or_b32 exec_lo, exec_lo, s9
	s_delay_alu instid0(SALU_CYCLE_1)
	s_and_b32 s8, s8, exec_lo
.LBB150_47:                             ;   in Loop: Header=BB150_39 Depth=2
	s_and_not1_saveexec_b32 s7, s7
	s_cbranch_execz .LBB150_38
; %bb.48:                               ;   in Loop: Header=BB150_39 Depth=2
	v_lshlrev_b32_e32 v5, 3, v9
	s_and_not1_b32 s8, s8, exec_lo
	s_delay_alu instid0(VALU_DEP_1)
	v_add3_u32 v5, 0, v5, 0x40000
	ds_add_f32 v5, v7
	ds_add_f32 v5, v8 offset:4
	s_branch .LBB150_38
.LBB150_49:
	s_or_b32 exec_lo, exec_lo, s4
.LBB150_50:
	v_mbcnt_lo_u32_b32 v1, -1, 0
	v_dual_mov_b32 v5, 0 :: v_dual_lshlrev_b32 v2, 3, v11
	s_add_i32 s36, 0, 0x80078
	v_cmp_eq_u32_e32 vcc_lo, 0x3ff, v0
	s_delay_alu instid0(VALU_DEP_3) | instskip(NEXT) | instid1(VALU_DEP_3)
	v_xor_b32_e32 v1, 63, v1
	v_add3_u32 v14, 0, 0x80000, v2
	v_cmp_lt_u32_e64 s0, 63, v0
	v_cmp_lt_u32_e64 s1, 0x7f, v0
	;; [unrolled: 1-line block ×3, first 2 shown]
	v_lshrrev_b64 v[1:2], v1, -1
	v_dual_mov_b32 v2, 0 :: v_dual_mov_b32 v15, s36
	v_cmp_lt_u32_e64 s3, 0xff, v0
	v_cmp_lt_u32_e64 s4, 0x13f, v0
	;; [unrolled: 1-line block ×12, first 2 shown]
	v_mov_b32_e32 v3, 0
	s_mov_b32 s17, 0
	s_add_i32 s18, 0, 0x80000
	s_add_i32 s19, 0, 0x80008
	;; [unrolled: 1-line block ×15, first 2 shown]
	s_waitcnt lgkmcnt(0)
	s_barrier
	buffer_gl0_inv
	s_branch .LBB150_52
.LBB150_51:                             ;   in Loop: Header=BB150_52 Depth=1
	s_or_b32 exec_lo, exec_lo, s15
	s_waitcnt lgkmcnt(0)
	s_barrier
	buffer_gl0_inv
	ds_load_b64 v[6:7], v15
	v_add_nc_u32_e32 v13, 0x400, v13
	v_add_nc_u32_e32 v12, 0x2000, v12
	s_delay_alu instid0(VALU_DEP_2) | instskip(NEXT) | instid1(VALU_DEP_1)
	v_cmp_lt_u32_e64 s15, 0x7bff, v13
	s_or_b32 s17, s15, s17
	s_waitcnt lgkmcnt(0)
	v_add_co_u32 v2, s16, v6, v2
	s_delay_alu instid0(VALU_DEP_1)
	v_add_co_ci_u32_e64 v3, s16, v7, v3, s16
	s_and_not1_b32 exec_lo, exec_lo, s17
	s_cbranch_execz .LBB150_86
.LBB150_52:                             ; =>This Inner Loop Header: Depth=1
	ds_load_b64 v[6:7], v12
	v_add_nc_u32_e32 v4, 0x40000, v12
	ds_load_2addr_b32 v[8:9], v4 offset1:1
	s_waitcnt lgkmcnt(0)
	s_barrier
	buffer_gl0_inv
	v_cmp_gt_i64_e64 s15, s[40:41], v[6:7]
	s_delay_alu instid0(VALU_DEP_1) | instskip(SKIP_1) | instid1(SALU_CYCLE_1)
	v_and_b32_e32 v10, s15, v1
	s_bcnt1_i32_b32 s16, s15
	v_mov_b32_e32 v4, s16
	s_delay_alu instid0(VALU_DEP_2)
	v_bcnt_u32_b32 v10, v10, 0
	ds_store_b64 v14, v[4:5]
	s_waitcnt lgkmcnt(0)
	s_barrier
	buffer_gl0_inv
	s_and_saveexec_b32 s16, s0
	s_cbranch_execnz .LBB150_69
; %bb.53:                               ;   in Loop: Header=BB150_52 Depth=1
	s_or_b32 exec_lo, exec_lo, s16
	s_and_saveexec_b32 s16, s1
	s_cbranch_execnz .LBB150_70
.LBB150_54:                             ;   in Loop: Header=BB150_52 Depth=1
	s_or_b32 exec_lo, exec_lo, s16
	s_and_saveexec_b32 s16, s2
	s_cbranch_execnz .LBB150_71
.LBB150_55:                             ;   in Loop: Header=BB150_52 Depth=1
	s_or_b32 exec_lo, exec_lo, s16
	s_and_saveexec_b32 s16, s3
	s_cbranch_execnz .LBB150_72
.LBB150_56:                             ;   in Loop: Header=BB150_52 Depth=1
	s_or_b32 exec_lo, exec_lo, s16
	s_and_saveexec_b32 s16, s4
	s_cbranch_execnz .LBB150_73
.LBB150_57:                             ;   in Loop: Header=BB150_52 Depth=1
	s_or_b32 exec_lo, exec_lo, s16
	s_and_saveexec_b32 s16, s5
	s_cbranch_execnz .LBB150_74
.LBB150_58:                             ;   in Loop: Header=BB150_52 Depth=1
	s_or_b32 exec_lo, exec_lo, s16
	s_and_saveexec_b32 s16, s6
	s_cbranch_execnz .LBB150_75
.LBB150_59:                             ;   in Loop: Header=BB150_52 Depth=1
	s_or_b32 exec_lo, exec_lo, s16
	s_and_saveexec_b32 s16, s7
	s_cbranch_execnz .LBB150_76
.LBB150_60:                             ;   in Loop: Header=BB150_52 Depth=1
	s_or_b32 exec_lo, exec_lo, s16
	s_and_saveexec_b32 s16, s8
	s_cbranch_execnz .LBB150_77
.LBB150_61:                             ;   in Loop: Header=BB150_52 Depth=1
	s_or_b32 exec_lo, exec_lo, s16
	s_and_saveexec_b32 s16, s9
	s_cbranch_execnz .LBB150_78
.LBB150_62:                             ;   in Loop: Header=BB150_52 Depth=1
	s_or_b32 exec_lo, exec_lo, s16
	s_and_saveexec_b32 s16, s10
	s_cbranch_execnz .LBB150_79
.LBB150_63:                             ;   in Loop: Header=BB150_52 Depth=1
	s_or_b32 exec_lo, exec_lo, s16
	s_and_saveexec_b32 s16, s11
	s_cbranch_execnz .LBB150_80
.LBB150_64:                             ;   in Loop: Header=BB150_52 Depth=1
	s_or_b32 exec_lo, exec_lo, s16
	s_and_saveexec_b32 s16, s12
	s_cbranch_execnz .LBB150_81
.LBB150_65:                             ;   in Loop: Header=BB150_52 Depth=1
	s_or_b32 exec_lo, exec_lo, s16
	s_and_saveexec_b32 s16, s13
	s_cbranch_execnz .LBB150_82
.LBB150_66:                             ;   in Loop: Header=BB150_52 Depth=1
	s_or_b32 exec_lo, exec_lo, s16
	s_and_saveexec_b32 s16, s14
	s_cbranch_execnz .LBB150_83
.LBB150_67:                             ;   in Loop: Header=BB150_52 Depth=1
	s_or_b32 exec_lo, exec_lo, s16
	v_ashrrev_i32_e32 v11, 31, v10
	s_and_saveexec_b32 s16, s15
	s_cbranch_execnz .LBB150_84
.LBB150_68:                             ;   in Loop: Header=BB150_52 Depth=1
	s_or_b32 exec_lo, exec_lo, s16
	s_and_saveexec_b32 s15, vcc_lo
	s_cbranch_execz .LBB150_51
	s_branch .LBB150_85
.LBB150_69:                             ;   in Loop: Header=BB150_52 Depth=1
	v_mov_b32_e32 v4, s18
	ds_load_b32 v4, v4
	s_waitcnt lgkmcnt(0)
	v_add_nc_u32_e32 v10, v4, v10
	s_or_b32 exec_lo, exec_lo, s16
	s_and_saveexec_b32 s16, s1
	s_cbranch_execz .LBB150_54
.LBB150_70:                             ;   in Loop: Header=BB150_52 Depth=1
	v_mov_b32_e32 v4, s19
	ds_load_b32 v4, v4
	s_waitcnt lgkmcnt(0)
	v_add_nc_u32_e32 v10, v10, v4
	s_or_b32 exec_lo, exec_lo, s16
	s_and_saveexec_b32 s16, s2
	s_cbranch_execz .LBB150_55
.LBB150_71:                             ;   in Loop: Header=BB150_52 Depth=1
	v_mov_b32_e32 v4, s24
	ds_load_b32 v4, v4
	s_waitcnt lgkmcnt(0)
	v_add_nc_u32_e32 v10, v10, v4
	s_or_b32 exec_lo, exec_lo, s16
	s_and_saveexec_b32 s16, s3
	s_cbranch_execz .LBB150_56
.LBB150_72:                             ;   in Loop: Header=BB150_52 Depth=1
	v_mov_b32_e32 v4, s25
	ds_load_b32 v4, v4
	s_waitcnt lgkmcnt(0)
	v_add_nc_u32_e32 v10, v10, v4
	s_or_b32 exec_lo, exec_lo, s16
	s_and_saveexec_b32 s16, s4
	s_cbranch_execz .LBB150_57
.LBB150_73:                             ;   in Loop: Header=BB150_52 Depth=1
	v_mov_b32_e32 v4, s26
	ds_load_b32 v4, v4
	s_waitcnt lgkmcnt(0)
	v_add_nc_u32_e32 v10, v10, v4
	s_or_b32 exec_lo, exec_lo, s16
	s_and_saveexec_b32 s16, s5
	s_cbranch_execz .LBB150_58
.LBB150_74:                             ;   in Loop: Header=BB150_52 Depth=1
	v_mov_b32_e32 v4, s27
	ds_load_b32 v4, v4
	s_waitcnt lgkmcnt(0)
	v_add_nc_u32_e32 v10, v10, v4
	s_or_b32 exec_lo, exec_lo, s16
	s_and_saveexec_b32 s16, s6
	s_cbranch_execz .LBB150_59
.LBB150_75:                             ;   in Loop: Header=BB150_52 Depth=1
	v_mov_b32_e32 v4, s28
	ds_load_b32 v4, v4
	s_waitcnt lgkmcnt(0)
	v_add_nc_u32_e32 v10, v10, v4
	s_or_b32 exec_lo, exec_lo, s16
	s_and_saveexec_b32 s16, s7
	s_cbranch_execz .LBB150_60
.LBB150_76:                             ;   in Loop: Header=BB150_52 Depth=1
	v_mov_b32_e32 v4, s29
	ds_load_b32 v4, v4
	s_waitcnt lgkmcnt(0)
	v_add_nc_u32_e32 v10, v10, v4
	s_or_b32 exec_lo, exec_lo, s16
	s_and_saveexec_b32 s16, s8
	s_cbranch_execz .LBB150_61
.LBB150_77:                             ;   in Loop: Header=BB150_52 Depth=1
	v_mov_b32_e32 v4, s30
	ds_load_b32 v4, v4
	s_waitcnt lgkmcnt(0)
	v_add_nc_u32_e32 v10, v10, v4
	s_or_b32 exec_lo, exec_lo, s16
	s_and_saveexec_b32 s16, s9
	s_cbranch_execz .LBB150_62
.LBB150_78:                             ;   in Loop: Header=BB150_52 Depth=1
	v_mov_b32_e32 v4, s31
	ds_load_b32 v4, v4
	s_waitcnt lgkmcnt(0)
	v_add_nc_u32_e32 v10, v10, v4
	s_or_b32 exec_lo, exec_lo, s16
	s_and_saveexec_b32 s16, s10
	s_cbranch_execz .LBB150_63
.LBB150_79:                             ;   in Loop: Header=BB150_52 Depth=1
	v_mov_b32_e32 v4, s33
	ds_load_b32 v4, v4
	s_waitcnt lgkmcnt(0)
	v_add_nc_u32_e32 v10, v10, v4
	s_or_b32 exec_lo, exec_lo, s16
	s_and_saveexec_b32 s16, s11
	s_cbranch_execz .LBB150_64
.LBB150_80:                             ;   in Loop: Header=BB150_52 Depth=1
	v_mov_b32_e32 v4, s37
	ds_load_b32 v4, v4
	s_waitcnt lgkmcnt(0)
	v_add_nc_u32_e32 v10, v10, v4
	s_or_b32 exec_lo, exec_lo, s16
	s_and_saveexec_b32 s16, s12
	s_cbranch_execz .LBB150_65
.LBB150_81:                             ;   in Loop: Header=BB150_52 Depth=1
	v_mov_b32_e32 v4, s39
	ds_load_b32 v4, v4
	s_waitcnt lgkmcnt(0)
	v_add_nc_u32_e32 v10, v10, v4
	s_or_b32 exec_lo, exec_lo, s16
	s_and_saveexec_b32 s16, s13
	s_cbranch_execz .LBB150_66
.LBB150_82:                             ;   in Loop: Header=BB150_52 Depth=1
	v_mov_b32_e32 v4, s44
	ds_load_b32 v4, v4
	s_waitcnt lgkmcnt(0)
	v_add_nc_u32_e32 v10, v10, v4
	s_or_b32 exec_lo, exec_lo, s16
	s_and_saveexec_b32 s16, s14
	s_cbranch_execz .LBB150_67
.LBB150_83:                             ;   in Loop: Header=BB150_52 Depth=1
	v_mov_b32_e32 v4, s45
	ds_load_b32 v4, v4
	s_waitcnt lgkmcnt(0)
	v_add_nc_u32_e32 v10, v10, v4
	s_or_b32 exec_lo, exec_lo, s16
	s_delay_alu instid0(VALU_DEP_1)
	v_ashrrev_i32_e32 v11, 31, v10
	s_and_saveexec_b32 s16, s15
	s_cbranch_execz .LBB150_68
.LBB150_84:                             ;   in Loop: Header=BB150_52 Depth=1
	v_add3_u32 v4, v2, -1, v10
	s_delay_alu instid0(VALU_DEP_1) | instskip(NEXT) | instid1(VALU_DEP_1)
	v_lshl_add_u32 v4, v4, 3, 0
	v_add_nc_u32_e32 v16, 0x40000, v4
	ds_store_b64 v4, v[6:7]
	ds_store_2addr_b32 v16, v8, v9 offset1:1
	s_or_b32 exec_lo, exec_lo, s16
	s_and_saveexec_b32 s15, vcc_lo
	s_cbranch_execz .LBB150_51
.LBB150_85:                             ;   in Loop: Header=BB150_52 Depth=1
	v_mov_b32_e32 v4, s36
	ds_store_b64 v4, v[10:11]
	s_branch .LBB150_51
.LBB150_86:
	s_or_b32 exec_lo, exec_lo, s17
	s_lshl_b64 s[0:1], s[42:43], 3
	v_mov_b32_e32 v1, 0
	s_add_u32 s0, s20, s0
	s_addc_u32 s1, s21, s1
	s_mov_b32 s6, exec_lo
	s_load_b128 s[0:3], s[0:1], 0x0
	s_waitcnt lgkmcnt(0)
	s_sub_u32 s4, s2, s0
	s_subb_u32 s5, s3, s1
	s_delay_alu instid0(SALU_CYCLE_1)
	v_cmpx_gt_i64_e64 s[4:5], v[0:1]
	s_cbranch_execz .LBB150_96
; %bb.87:
	s_sub_u32 s8, s0, s38
	s_subb_u32 s9, s1, 0
	s_and_b32 s6, s4, 7
	s_sub_u32 s0, s0, s2
	s_subb_u32 s1, s1, s3
	s_mov_b32 s7, 0
	v_cmp_lt_u64_e64 s12, s[0:1], -7
	s_and_b32 s2, s4, -8
	s_cmp_lg_u64 s[6:7], 0
	s_mov_b32 s3, s5
	s_cselect_b32 s13, -1, 0
	s_mov_b32 s14, s7
	s_branch .LBB150_89
.LBB150_88:                             ;   in Loop: Header=BB150_89 Depth=1
	s_waitcnt lgkmcnt(1)
	v_add_co_u32 v4, vcc_lo, v4, s38
	v_lshlrev_b64 v[6:7], 3, v[6:7]
	v_add_co_ci_u32_e32 v5, vcc_lo, 0, v5, vcc_lo
	v_add_co_u32 v0, vcc_lo, 0x400, v0
	v_add_co_ci_u32_e32 v1, vcc_lo, 0, v1, vcc_lo
	s_delay_alu instid0(VALU_DEP_4) | instskip(SKIP_1) | instid1(VALU_DEP_3)
	v_add_co_u32 v8, vcc_lo, s22, v6
	v_add_co_ci_u32_e32 v9, vcc_lo, s23, v7, vcc_lo
	v_cmp_le_i64_e32 vcc_lo, s[4:5], v[0:1]
	v_add_co_u32 v6, s0, s34, v6
	s_delay_alu instid0(VALU_DEP_1) | instskip(SKIP_4) | instid1(SALU_CYCLE_1)
	v_add_co_ci_u32_e64 v7, s0, s35, v7, s0
	global_store_b64 v[8:9], v[4:5], off
	s_waitcnt lgkmcnt(0)
	global_store_b64 v[6:7], v[2:3], off
	s_or_b32 s14, vcc_lo, s14
	s_and_not1_b32 exec_lo, exec_lo, s14
	s_cbranch_execz .LBB150_96
.LBB150_89:                             ; =>This Loop Header: Depth=1
                                        ;     Child Loop BB150_91 Depth 2
                                        ;     Child Loop BB150_95 Depth 2
	v_lshl_add_u32 v2, v0, 3, 0
	s_and_not1_b32 vcc_lo, exec_lo, s12
	s_mov_b64 s[0:1], 0
	v_dual_mov_b32 v6, s8 :: v_dual_mov_b32 v7, s9
	s_delay_alu instid0(VALU_DEP_2)
	v_add_nc_u32_e32 v3, 0x40000, v2
	ds_load_b64 v[4:5], v2
	ds_load_2addr_b32 v[2:3], v3 offset1:1
	s_cbranch_vccnz .LBB150_93
; %bb.90:                               ;   in Loop: Header=BB150_89 Depth=1
	v_dual_mov_b32 v6, s8 :: v_dual_mov_b32 v7, s9
	s_mov_b64 s[10:11], 0
	s_mov_b32 s1, 0
.LBB150_91:                             ;   Parent Loop BB150_89 Depth=1
                                        ; =>  This Inner Loop Header: Depth=2
	s_delay_alu instid0(SALU_CYCLE_1)
	v_mov_b32_e32 v20, s1
	s_add_u32 s10, s10, 8
	s_addc_u32 s11, s11, 0
	s_add_i32 s1, s1, 64
	s_cmp_eq_u64 s[2:3], s[10:11]
	ds_load_2addr_b64 v[8:11], v20 offset1:1
	ds_load_2addr_b64 v[12:15], v20 offset0:2 offset1:3
	ds_load_2addr_b64 v[16:19], v20 offset0:4 offset1:5
	ds_load_2addr_b64 v[20:23], v20 offset0:6 offset1:7
	s_waitcnt lgkmcnt(3)
	v_cmp_gt_i64_e32 vcc_lo, v[4:5], v[8:9]
	v_cndmask_b32_e64 v8, 0, 1, vcc_lo
	v_cmp_gt_i64_e32 vcc_lo, v[4:5], v[10:11]
	v_cndmask_b32_e64 v9, 0, 1, vcc_lo
	s_waitcnt lgkmcnt(2)
	v_cmp_gt_i64_e32 vcc_lo, v[4:5], v[12:13]
	v_cndmask_b32_e64 v10, 0, 1, vcc_lo
	v_cmp_gt_i64_e32 vcc_lo, v[4:5], v[14:15]
	v_cndmask_b32_e64 v11, 0, 1, vcc_lo
	s_waitcnt lgkmcnt(1)
	v_cmp_gt_i64_e32 vcc_lo, v[4:5], v[16:17]
	v_cndmask_b32_e64 v12, 0, 1, vcc_lo
	v_add_co_u32 v6, vcc_lo, v6, v8
	v_add_co_ci_u32_e32 v7, vcc_lo, 0, v7, vcc_lo
	v_cmp_gt_i64_e32 vcc_lo, v[4:5], v[18:19]
	s_delay_alu instid0(VALU_DEP_3) | instskip(NEXT) | instid1(VALU_DEP_1)
	v_add_co_u32 v6, s0, v6, v9
	v_add_co_ci_u32_e64 v7, s0, 0, v7, s0
	v_cndmask_b32_e64 v8, 0, 1, vcc_lo
	s_delay_alu instid0(VALU_DEP_3) | instskip(NEXT) | instid1(VALU_DEP_3)
	v_add_co_u32 v6, vcc_lo, v6, v10
	v_add_co_ci_u32_e32 v7, vcc_lo, 0, v7, vcc_lo
	s_waitcnt lgkmcnt(0)
	v_cmp_gt_i64_e32 vcc_lo, v[4:5], v[20:21]
	s_delay_alu instid0(VALU_DEP_3) | instskip(NEXT) | instid1(VALU_DEP_1)
	v_add_co_u32 v6, s0, v6, v11
	v_add_co_ci_u32_e64 v7, s0, 0, v7, s0
	v_cndmask_b32_e64 v9, 0, 1, vcc_lo
	s_delay_alu instid0(VALU_DEP_3) | instskip(NEXT) | instid1(VALU_DEP_3)
	v_add_co_u32 v6, vcc_lo, v6, v12
	v_add_co_ci_u32_e32 v7, vcc_lo, 0, v7, vcc_lo
	v_cmp_gt_i64_e32 vcc_lo, v[4:5], v[22:23]
	s_delay_alu instid0(VALU_DEP_3) | instskip(NEXT) | instid1(VALU_DEP_1)
	v_add_co_u32 v6, s0, v6, v8
	v_add_co_ci_u32_e64 v7, s0, 0, v7, s0
	v_cndmask_b32_e64 v8, 0, 1, vcc_lo
	s_delay_alu instid0(VALU_DEP_3) | instskip(NEXT) | instid1(VALU_DEP_3)
	v_add_co_u32 v6, vcc_lo, v6, v9
	v_add_co_ci_u32_e32 v7, vcc_lo, 0, v7, vcc_lo
	s_delay_alu instid0(VALU_DEP_2) | instskip(NEXT) | instid1(VALU_DEP_2)
	v_add_co_u32 v6, vcc_lo, v6, v8
	v_add_co_ci_u32_e32 v7, vcc_lo, 0, v7, vcc_lo
	s_cbranch_scc0 .LBB150_91
; %bb.92:                               ;   in Loop: Header=BB150_89 Depth=1
	s_mov_b64 s[0:1], s[2:3]
.LBB150_93:                             ;   in Loop: Header=BB150_89 Depth=1
	s_and_not1_b32 vcc_lo, exec_lo, s13
	s_cbranch_vccnz .LBB150_88
; %bb.94:                               ;   in Loop: Header=BB150_89 Depth=1
	s_lshl_b32 s0, s0, 3
	s_delay_alu instid0(SALU_CYCLE_1)
	s_add_i32 s10, s0, 0
	s_mov_b64 s[0:1], s[6:7]
.LBB150_95:                             ;   Parent Loop BB150_89 Depth=1
                                        ; =>  This Inner Loop Header: Depth=2
	v_mov_b32_e32 v8, s10
	s_add_i32 s10, s10, 8
	s_add_u32 s0, s0, -1
	s_addc_u32 s1, s1, -1
	s_delay_alu instid0(SALU_CYCLE_1) | instskip(SKIP_4) | instid1(VALU_DEP_1)
	s_cmp_lg_u64 s[0:1], 0
	ds_load_b64 v[8:9], v8
	s_waitcnt lgkmcnt(0)
	v_cmp_gt_i64_e32 vcc_lo, v[4:5], v[8:9]
	v_cndmask_b32_e64 v8, 0, 1, vcc_lo
	v_add_co_u32 v6, vcc_lo, v6, v8
	v_add_co_ci_u32_e32 v7, vcc_lo, 0, v7, vcc_lo
	s_cbranch_scc1 .LBB150_95
	s_branch .LBB150_88
.LBB150_96:
	s_nop 0
	s_sendmsg sendmsg(MSG_DEALLOC_VGPRS)
	s_endpgm
	.section	.rodata,"a",@progbits
	.p2align	6, 0x0
	.amdhsa_kernel _ZN9rocsparseL26csrgemm_fill_block_per_rowILj1024ELj64ELj32768ELj137ELj64Ell21rocsparse_complex_numIfEEEvT5_PKS3_S5_NS_24const_host_device_scalarIT6_EEPKT4_S5_PKS7_SB_S5_SD_S8_SB_S5_SD_SB_PS3_PS7_21rocsparse_index_base_SG_SG_SG_bbb
		.amdhsa_group_segment_fixed_size 0
		.amdhsa_private_segment_fixed_size 0
		.amdhsa_kernarg_size 156
		.amdhsa_user_sgpr_count 15
		.amdhsa_user_sgpr_dispatch_ptr 0
		.amdhsa_user_sgpr_queue_ptr 0
		.amdhsa_user_sgpr_kernarg_segment_ptr 1
		.amdhsa_user_sgpr_dispatch_id 0
		.amdhsa_user_sgpr_private_segment_size 0
		.amdhsa_wavefront_size32 1
		.amdhsa_uses_dynamic_stack 0
		.amdhsa_enable_private_segment 0
		.amdhsa_system_sgpr_workgroup_id_x 1
		.amdhsa_system_sgpr_workgroup_id_y 0
		.amdhsa_system_sgpr_workgroup_id_z 0
		.amdhsa_system_sgpr_workgroup_info 0
		.amdhsa_system_vgpr_workitem_id 0
		.amdhsa_next_free_vgpr 24
		.amdhsa_next_free_sgpr 48
		.amdhsa_reserve_vcc 1
		.amdhsa_float_round_mode_32 0
		.amdhsa_float_round_mode_16_64 0
		.amdhsa_float_denorm_mode_32 3
		.amdhsa_float_denorm_mode_16_64 3
		.amdhsa_dx10_clamp 1
		.amdhsa_ieee_mode 1
		.amdhsa_fp16_overflow 0
		.amdhsa_workgroup_processor_mode 1
		.amdhsa_memory_ordered 1
		.amdhsa_forward_progress 0
		.amdhsa_shared_vgpr_count 0
		.amdhsa_exception_fp_ieee_invalid_op 0
		.amdhsa_exception_fp_denorm_src 0
		.amdhsa_exception_fp_ieee_div_zero 0
		.amdhsa_exception_fp_ieee_overflow 0
		.amdhsa_exception_fp_ieee_underflow 0
		.amdhsa_exception_fp_ieee_inexact 0
		.amdhsa_exception_int_div_zero 0
	.end_amdhsa_kernel
	.section	.text._ZN9rocsparseL26csrgemm_fill_block_per_rowILj1024ELj64ELj32768ELj137ELj64Ell21rocsparse_complex_numIfEEEvT5_PKS3_S5_NS_24const_host_device_scalarIT6_EEPKT4_S5_PKS7_SB_S5_SD_S8_SB_S5_SD_SB_PS3_PS7_21rocsparse_index_base_SG_SG_SG_bbb,"axG",@progbits,_ZN9rocsparseL26csrgemm_fill_block_per_rowILj1024ELj64ELj32768ELj137ELj64Ell21rocsparse_complex_numIfEEEvT5_PKS3_S5_NS_24const_host_device_scalarIT6_EEPKT4_S5_PKS7_SB_S5_SD_S8_SB_S5_SD_SB_PS3_PS7_21rocsparse_index_base_SG_SG_SG_bbb,comdat
.Lfunc_end150:
	.size	_ZN9rocsparseL26csrgemm_fill_block_per_rowILj1024ELj64ELj32768ELj137ELj64Ell21rocsparse_complex_numIfEEEvT5_PKS3_S5_NS_24const_host_device_scalarIT6_EEPKT4_S5_PKS7_SB_S5_SD_S8_SB_S5_SD_SB_PS3_PS7_21rocsparse_index_base_SG_SG_SG_bbb, .Lfunc_end150-_ZN9rocsparseL26csrgemm_fill_block_per_rowILj1024ELj64ELj32768ELj137ELj64Ell21rocsparse_complex_numIfEEEvT5_PKS3_S5_NS_24const_host_device_scalarIT6_EEPKT4_S5_PKS7_SB_S5_SD_S8_SB_S5_SD_SB_PS3_PS7_21rocsparse_index_base_SG_SG_SG_bbb
                                        ; -- End function
	.section	.AMDGPU.csdata,"",@progbits
; Kernel info:
; codeLenInByte = 3896
; NumSgprs: 50
; NumVgprs: 24
; ScratchSize: 0
; MemoryBound: 0
; FloatMode: 240
; IeeeMode: 1
; LDSByteSize: 0 bytes/workgroup (compile time only)
; SGPRBlocks: 6
; VGPRBlocks: 2
; NumSGPRsForWavesPerEU: 50
; NumVGPRsForWavesPerEU: 24
; Occupancy: 16
; WaveLimiterHint : 1
; COMPUTE_PGM_RSRC2:SCRATCH_EN: 0
; COMPUTE_PGM_RSRC2:USER_SGPR: 15
; COMPUTE_PGM_RSRC2:TRAP_HANDLER: 0
; COMPUTE_PGM_RSRC2:TGID_X_EN: 1
; COMPUTE_PGM_RSRC2:TGID_Y_EN: 0
; COMPUTE_PGM_RSRC2:TGID_Z_EN: 0
; COMPUTE_PGM_RSRC2:TIDIG_COMP_CNT: 0
	.section	.text._ZN9rocsparseL36csrgemm_fill_block_per_row_multipassILj512ELj16ELj2048ELj32Ell21rocsparse_complex_numIfEEEvT4_PKS3_S5_NS_24const_host_device_scalarIT5_EEPKT3_S5_PKS7_SB_S5_SD_S8_SB_S5_SD_SB_PS3_PS7_PS9_21rocsparse_index_base_SH_SH_SH_bbb,"axG",@progbits,_ZN9rocsparseL36csrgemm_fill_block_per_row_multipassILj512ELj16ELj2048ELj32Ell21rocsparse_complex_numIfEEEvT4_PKS3_S5_NS_24const_host_device_scalarIT5_EEPKT3_S5_PKS7_SB_S5_SD_S8_SB_S5_SD_SB_PS3_PS7_PS9_21rocsparse_index_base_SH_SH_SH_bbb,comdat
	.globl	_ZN9rocsparseL36csrgemm_fill_block_per_row_multipassILj512ELj16ELj2048ELj32Ell21rocsparse_complex_numIfEEEvT4_PKS3_S5_NS_24const_host_device_scalarIT5_EEPKT3_S5_PKS7_SB_S5_SD_S8_SB_S5_SD_SB_PS3_PS7_PS9_21rocsparse_index_base_SH_SH_SH_bbb ; -- Begin function _ZN9rocsparseL36csrgemm_fill_block_per_row_multipassILj512ELj16ELj2048ELj32Ell21rocsparse_complex_numIfEEEvT4_PKS3_S5_NS_24const_host_device_scalarIT5_EEPKT3_S5_PKS7_SB_S5_SD_S8_SB_S5_SD_SB_PS3_PS7_PS9_21rocsparse_index_base_SH_SH_SH_bbb
	.p2align	8
	.type	_ZN9rocsparseL36csrgemm_fill_block_per_row_multipassILj512ELj16ELj2048ELj32Ell21rocsparse_complex_numIfEEEvT4_PKS3_S5_NS_24const_host_device_scalarIT5_EEPKT3_S5_PKS7_SB_S5_SD_S8_SB_S5_SD_SB_PS3_PS7_PS9_21rocsparse_index_base_SH_SH_SH_bbb,@function
_ZN9rocsparseL36csrgemm_fill_block_per_row_multipassILj512ELj16ELj2048ELj32Ell21rocsparse_complex_numIfEEEvT4_PKS3_S5_NS_24const_host_device_scalarIT5_EEPKT3_S5_PKS7_SB_S5_SD_S8_SB_S5_SD_SB_PS3_PS7_PS9_21rocsparse_index_base_SH_SH_SH_bbb: ; @_ZN9rocsparseL36csrgemm_fill_block_per_row_multipassILj512ELj16ELj2048ELj32Ell21rocsparse_complex_numIfEEEvT4_PKS3_S5_NS_24const_host_device_scalarIT5_EEPKT3_S5_PKS7_SB_S5_SD_S8_SB_S5_SD_SB_PS3_PS7_PS9_21rocsparse_index_base_SH_SH_SH_bbb
; %bb.0:
	s_clause 0x5
	s_load_b32 s9, s[0:1], 0xa0
	s_load_b256 s[20:27], s[0:1], 0x80
	s_load_b256 s[36:43], s[0:1], 0x60
	;; [unrolled: 1-line block ×3, first 2 shown]
	s_load_b128 s[4:7], s[0:1], 0x8
	s_load_b256 s[52:59], s[0:1], 0x20
	s_mov_b32 s2, s15
	s_mov_b32 s29, 0
	;; [unrolled: 1-line block ×3, first 2 shown]
	s_waitcnt lgkmcnt(0)
	s_bitcmp1_b32 s9, 0
	s_cselect_b32 s8, -1, 0
	s_bitcmp1_b32 s9, 16
	s_cselect_b32 s3, -1, 0
	s_delay_alu instid0(SALU_CYCLE_1)
	s_xor_b32 s3, s3, -1
	s_bitcmp0_b32 s9, 0
	s_cbranch_scc1 .LBB151_5
; %bb.1:
	s_load_b64 s[28:29], s[0:1], 0x18
	s_and_not1_b32 vcc_lo, exec_lo, s3
	s_waitcnt lgkmcnt(0)
	s_mov_b32 s33, s28
	s_cbranch_vccnz .LBB151_3
; %bb.2:
	s_load_b32 s33, s[28:29], 0x0
.LBB151_3:
	s_and_not1_b32 vcc_lo, exec_lo, s3
	s_cbranch_vccnz .LBB151_5
; %bb.4:
	s_load_b32 s29, s[28:29], 0x4
.LBB151_5:
	s_bitcmp1_b32 s9, 8
	s_mov_b32 s61, 0
	s_cselect_b32 s28, -1, 0
	s_bfe_u32 s9, s9, 0x10008
	s_mov_b32 s60, 0
	s_cmp_eq_u32 s9, 0
	s_cbranch_scc1 .LBB151_11
; %bb.6:
	v_cndmask_b32_e64 v1, 0, 1, s3
	s_and_not1_b32 vcc_lo, exec_lo, s3
	s_mov_b32 s60, s48
	s_cbranch_vccnz .LBB151_8
; %bb.7:
	s_load_b32 s60, s[48:49], 0x0
.LBB151_8:
	s_delay_alu instid0(VALU_DEP_1)
	v_cmp_ne_u32_e32 vcc_lo, 1, v1
	s_cbranch_vccnz .LBB151_10
; %bb.9:
	s_load_b32 s49, s[48:49], 0x4
.LBB151_10:
	s_waitcnt lgkmcnt(0)
	s_mov_b32 s61, s49
.LBB151_11:
	s_load_b64 s[4:5], s[4:5], 0x0
	s_mov_b32 s3, 0
	s_mov_b64 s[30:31], 0
	s_waitcnt lgkmcnt(0)
	s_lshl_b64 s[4:5], s[4:5], 3
	s_delay_alu instid0(SALU_CYCLE_1) | instskip(SKIP_2) | instid1(SALU_CYCLE_1)
	s_add_u32 s4, s6, s4
	s_addc_u32 s5, s7, s5
	s_lshl_b64 s[2:3], s[2:3], 3
	s_add_u32 s2, s4, s2
	s_addc_u32 s3, s5, s3
	s_and_not1_b32 vcc_lo, exec_lo, s8
	s_load_b64 s[4:5], s[2:3], 0x0
	s_mov_b64 s[2:3], 0
	s_cbranch_vccz .LBB151_14
; %bb.12:
	s_and_not1_b32 vcc_lo, exec_lo, s8
	s_cbranch_vccz .LBB151_15
.LBB151_13:
	s_load_b64 s[34:35], s[0:1], 0x0
	s_waitcnt lgkmcnt(0)
	v_cmp_lt_i64_e64 s0, s[34:35], 1
	s_delay_alu instid0(VALU_DEP_1)
	s_and_b32 vcc_lo, exec_lo, s0
	s_cbranch_vccz .LBB151_16
	s_branch .LBB151_70
.LBB151_14:
	s_waitcnt lgkmcnt(0)
	s_lshl_b64 s[2:3], s[4:5], 3
	s_delay_alu instid0(SALU_CYCLE_1)
	s_add_u32 s2, s52, s2
	s_addc_u32 s3, s53, s3
	s_load_b64 s[2:3], s[2:3], 0x0
	s_waitcnt lgkmcnt(0)
	s_sub_u32 s2, s2, s24
	s_subb_u32 s3, s3, 0
	s_and_not1_b32 vcc_lo, exec_lo, s8
	s_cbranch_vccnz .LBB151_13
.LBB151_15:
	s_waitcnt lgkmcnt(0)
	s_lshl_b64 s[6:7], s[4:5], 3
	s_delay_alu instid0(SALU_CYCLE_1)
	s_add_u32 s6, s52, s6
	s_addc_u32 s7, s53, s7
	s_load_b64 s[6:7], s[6:7], 0x8
	s_waitcnt lgkmcnt(0)
	s_sub_u32 s30, s6, s24
	s_subb_u32 s31, s7, 0
	s_load_b64 s[34:35], s[0:1], 0x0
	s_waitcnt lgkmcnt(0)
	v_cmp_lt_i64_e64 s0, s[34:35], 1
	s_delay_alu instid0(VALU_DEP_1)
	s_and_b32 vcc_lo, exec_lo, s0
	s_cbranch_vccnz .LBB151_70
.LBB151_16:
	s_lshl_b64 s[4:5], s[4:5], 3
	v_lshrrev_b32_e32 v2, 4, v0
	v_mbcnt_lo_u32_b32 v5, -1, 0
	s_add_u32 s0, s40, s4
	s_addc_u32 s1, s41, s5
	s_mov_b32 s48, s27
	s_load_b64 s[6:7], s[0:1], 0x0
	v_add_co_u32 v3, s1, s2, v2
	v_xor_b32_e32 v2, 8, v5
	v_xor_b32_e32 v6, 4, v5
	;; [unrolled: 1-line block ×3, first 2 shown]
	v_add_co_ci_u32_e64 v4, null, s3, 0, s1
	s_delay_alu instid0(VALU_DEP_4) | instskip(SKIP_1) | instid1(VALU_DEP_3)
	v_cmp_gt_i32_e64 s2, 32, v2
	v_sub_co_u32 v35, s1, v0, s27
	v_cmp_gt_i64_e32 vcc_lo, s[30:31], v[3:4]
	v_lshrrev_b32_e32 v8, 3, v0
	s_delay_alu instid0(VALU_DEP_4) | instskip(SKIP_3) | instid1(VALU_DEP_4)
	v_cndmask_b32_e64 v2, v5, v2, s2
	v_cmp_gt_i32_e64 s2, 32, v6
	v_dual_mov_b32 v1, 0 :: v_dual_and_b32 v34, 15, v0
	v_cmp_eq_u32_e64 s0, 0, v0
	v_lshlrev_b32_e32 v37, 2, v2
	v_xor_b32_e32 v2, 1, v5
	v_cndmask_b32_e64 v6, v5, v6, s2
	v_cmp_gt_i32_e64 s2, 32, v7
	s_waitcnt lgkmcnt(0)
	s_sub_u32 s18, s6, s26
	s_subb_u32 s19, s7, 0
	s_add_u32 s40, s50, s4
	s_addc_u32 s41, s51, s5
	v_cndmask_b32_e64 v7, v5, v7, s2
	v_cmp_gt_i32_e64 s2, 32, v2
	s_and_b32 s27, s8, vcc_lo
	s_add_u32 s49, s58, 8
	s_addc_u32 s50, s59, 0
	s_add_u32 s42, s42, -8
	v_cndmask_b32_e64 v2, v5, v2, s2
	v_xor_b32_e32 v5, 63, v5
	s_addc_u32 s43, s43, -1
	v_lshlrev_b32_e32 v38, 2, v6
	v_cmp_eq_u32_e64 s2, 0x1ff, v0
	v_cmp_gt_u32_e64 s3, 32, v0
	v_lshrrev_b64 v[5:6], v5, -1
	v_cmp_gt_u32_e64 s4, 64, v0
	v_cmp_gt_u32_e64 s5, 0x60, v0
	;; [unrolled: 1-line block ×14, first 2 shown]
	s_add_u32 s51, s20, -8
	v_or_b32_e32 v42, 0xfffffe00, v0
	v_lshlrev_b32_e32 v43, 3, v0
	v_add_co_u32 v0, s20, v0, s26
	v_dual_mov_b32 v10, 0x800 :: v_dual_lshlrev_b32 v39, 2, v7
	v_dual_mov_b32 v6, s18 :: v_dual_and_b32 v41, 60, v8
	s_addc_u32 s52, s21, -1
	v_mov_b32_e32 v8, 0
	v_sub_co_ci_u32_e64 v36, null, 0, 0, s1
	v_cmp_eq_u32_e64 s1, 15, v34
	v_dual_mov_b32 v11, 0 :: v_dual_lshlrev_b32 v40, 2, v2
	s_add_u32 s46, s46, 4
	v_add_co_ci_u32_e64 v44, null, 0, 0, s20
	v_mov_b32_e32 v9, 0
	v_dual_mov_b32 v7, s19 :: v_dual_mov_b32 v2, v1
	v_mov_b32_e32 v45, 1
	s_addc_u32 s26, s47, 0
	s_add_u32 s38, s38, 4
	s_addc_u32 s39, s39, 0
	s_branch .LBB151_18
.LBB151_17:                             ;   in Loop: Header=BB151_18 Depth=1
	s_or_b32 exec_lo, exec_lo, s19
	ds_load_b64 v[8:9], v1 offset:18432
	s_waitcnt lgkmcnt(0)
	s_barrier
	buffer_gl0_inv
	v_cmp_le_i64_e32 vcc_lo, s[34:35], v[8:9]
	v_add_co_u32 v10, s18, 0x800, v8
	s_delay_alu instid0(VALU_DEP_1)
	v_add_co_ci_u32_e64 v11, s18, 0, v9, s18
	s_cbranch_vccnz .LBB151_70
.LBB151_18:                             ; =>This Loop Header: Depth=1
                                        ;     Child Loop BB151_19 Depth 2
                                        ;     Child Loop BB151_25 Depth 2
                                        ;       Child Loop BB151_33 Depth 3
                                        ;     Child Loop BB151_49 Depth 2
                                        ;     Child Loop BB151_61 Depth 2
	;; [unrolled: 1-line block ×3, first 2 shown]
	v_dual_mov_b32 v12, v43 :: v_dual_mov_b32 v13, v42
	s_mov_b32 s18, 0
.LBB151_19:                             ;   Parent Loop BB151_18 Depth=1
                                        ; =>  This Inner Loop Header: Depth=2
	ds_store_b8 v13, v1 offset:16896
	v_add_nc_u32_e32 v13, 0x200, v13
	ds_store_b64 v12, v[1:2]
	v_add_nc_u32_e32 v12, 0x1000, v12
	v_cmp_lt_u32_e32 vcc_lo, 0x5ff, v13
	s_or_b32 s18, vcc_lo, s18
	s_delay_alu instid0(SALU_CYCLE_1)
	s_and_not1_b32 exec_lo, exec_lo, s18
	s_cbranch_execnz .LBB151_19
; %bb.20:                               ;   in Loop: Header=BB151_18 Depth=1
	s_or_b32 exec_lo, exec_lo, s18
	s_and_saveexec_b32 s18, s0
	s_cbranch_execz .LBB151_22
; %bb.21:                               ;   in Loop: Header=BB151_18 Depth=1
	v_dual_mov_b32 v12, s34 :: v_dual_mov_b32 v13, s35
	ds_store_b64 v1, v[12:13] offset:18432
.LBB151_22:                             ;   in Loop: Header=BB151_18 Depth=1
	s_or_b32 exec_lo, exec_lo, s18
	v_dual_mov_b32 v12, s34 :: v_dual_mov_b32 v13, s35
	s_waitcnt lgkmcnt(0)
	s_barrier
	buffer_gl0_inv
	s_and_saveexec_b32 s20, s27
	s_cbranch_execz .LBB151_45
; %bb.23:                               ;   in Loop: Header=BB151_18 Depth=1
	v_cmp_ne_u64_e64 s18, 0, v[8:9]
	v_dual_mov_b32 v12, s34 :: v_dual_mov_b32 v13, s35
	v_dual_mov_b32 v15, v4 :: v_dual_mov_b32 v14, v3
	s_mov_b32 s21, 0
	s_branch .LBB151_25
.LBB151_24:                             ;   in Loop: Header=BB151_25 Depth=2
	s_or_b32 exec_lo, exec_lo, s47
	v_add_co_u32 v14, vcc_lo, v14, 32
	v_add_co_ci_u32_e32 v15, vcc_lo, 0, v15, vcc_lo
	s_delay_alu instid0(VALU_DEP_1) | instskip(SKIP_1) | instid1(SALU_CYCLE_1)
	v_cmp_le_i64_e32 vcc_lo, s[30:31], v[14:15]
	s_or_b32 s21, vcc_lo, s21
	s_and_not1_b32 exec_lo, exec_lo, s21
	s_cbranch_execz .LBB151_44
.LBB151_25:                             ;   Parent Loop BB151_18 Depth=1
                                        ; =>  This Loop Header: Depth=2
                                        ;       Child Loop BB151_33 Depth 3
	s_delay_alu instid0(VALU_DEP_1) | instskip(NEXT) | instid1(VALU_DEP_1)
	v_lshlrev_b64 v[16:17], 3, v[14:15]
	v_add_co_u32 v18, vcc_lo, s54, v16
	s_delay_alu instid0(VALU_DEP_2)
	v_add_co_ci_u32_e32 v19, vcc_lo, s55, v17, vcc_lo
	v_add_co_u32 v22, vcc_lo, s56, v16
	v_add_co_ci_u32_e32 v23, vcc_lo, s57, v17, vcc_lo
	s_and_b32 vcc_lo, exec_lo, s18
	s_waitcnt lgkmcnt(0)
	global_load_b64 v[20:21], v[18:19], off
	global_load_b64 v[22:23], v[22:23], off
	s_cbranch_vccz .LBB151_27
; %bb.26:                               ;   in Loop: Header=BB151_25 Depth=2
	v_add_co_u32 v18, vcc_lo, s22, v16
	v_add_co_ci_u32_e32 v19, vcc_lo, s23, v17, vcc_lo
	s_mov_b32 s19, 0
	global_load_b64 v[18:19], v[18:19], off
	s_branch .LBB151_28
.LBB151_27:                             ;   in Loop: Header=BB151_25 Depth=2
	s_mov_b32 s19, -1
                                        ; implicit-def: $vgpr18_vgpr19
.LBB151_28:                             ;   in Loop: Header=BB151_25 Depth=2
	s_waitcnt vmcnt(1)
	v_sub_co_u32 v20, vcc_lo, v20, s24
	v_subrev_co_ci_u32_e32 v21, vcc_lo, 0, v21, vcc_lo
	s_and_not1_b32 vcc_lo, exec_lo, s19
	s_delay_alu instid0(VALU_DEP_1)
	v_lshlrev_b64 v[20:21], 3, v[20:21]
	s_cbranch_vccnz .LBB151_30
; %bb.29:                               ;   in Loop: Header=BB151_25 Depth=2
	s_waitcnt vmcnt(0)
	s_delay_alu instid0(VALU_DEP_1) | instskip(NEXT) | instid1(VALU_DEP_2)
	v_add_co_u32 v18, vcc_lo, s58, v20
	v_add_co_ci_u32_e32 v19, vcc_lo, s59, v21, vcc_lo
	global_load_b64 v[18:19], v[18:19], off
	s_waitcnt vmcnt(0)
	v_sub_co_u32 v18, vcc_lo, v18, s25
	v_subrev_co_ci_u32_e32 v19, vcc_lo, 0, v19, vcc_lo
.LBB151_30:                             ;   in Loop: Header=BB151_25 Depth=2
	s_delay_alu instid0(VALU_DEP_1) | instskip(NEXT) | instid1(VALU_DEP_2)
	v_add_co_u32 v20, vcc_lo, s49, v20
	v_add_co_ci_u32_e32 v21, vcc_lo, s50, v21, vcc_lo
	s_mov_b32 s47, exec_lo
	global_load_b64 v[20:21], v[20:21], off
	s_waitcnt vmcnt(0)
	v_sub_co_u32 v20, vcc_lo, v20, s25
	v_subrev_co_ci_u32_e32 v21, vcc_lo, 0, v21, vcc_lo
	v_add_co_u32 v18, vcc_lo, v18, v34
	v_add_co_ci_u32_e32 v19, vcc_lo, 0, v19, vcc_lo
	s_delay_alu instid0(VALU_DEP_1)
	v_cmpx_lt_i64_e64 v[18:19], v[20:21]
	s_cbranch_execz .LBB151_42
; %bb.31:                               ;   in Loop: Header=BB151_25 Depth=2
	v_lshlrev_b64 v[24:25], 3, v[18:19]
	v_mul_f32_e64 v46, v23, -s29
	v_mul_f32_e32 v47, s33, v23
	v_mov_b32_e32 v29, v19
	s_mov_b32 s62, 0
	v_mov_b32_e32 v28, v18
	v_fmac_f32_e32 v46, s33, v22
	v_fmac_f32_e32 v47, s29, v22
	v_add_co_u32 v22, vcc_lo, s44, v24
	v_add_co_ci_u32_e32 v23, vcc_lo, s45, v25, vcc_lo
	v_add_co_u32 v24, vcc_lo, s46, v24
	v_add_co_ci_u32_e32 v25, vcc_lo, s26, v25, vcc_lo
                                        ; implicit-def: $sgpr53
                                        ; implicit-def: $sgpr63
	s_branch .LBB151_33
.LBB151_32:                             ;   in Loop: Header=BB151_33 Depth=3
	s_or_b32 exec_lo, exec_lo, s64
	s_delay_alu instid0(SALU_CYCLE_1) | instskip(SKIP_4) | instid1(SALU_CYCLE_1)
	s_and_b32 s19, exec_lo, s65
	v_dual_mov_b32 v28, v32 :: v_dual_mov_b32 v29, v33
	s_or_b32 s62, s19, s62
	s_and_not1_b32 s19, s53, exec_lo
	s_and_b32 s53, s63, exec_lo
	s_or_b32 s53, s19, s53
	s_and_not1_b32 exec_lo, exec_lo, s62
	s_cbranch_execz .LBB151_39
.LBB151_33:                             ;   Parent Loop BB151_18 Depth=1
                                        ;     Parent Loop BB151_25 Depth=2
                                        ; =>    This Inner Loop Header: Depth=3
	global_load_b64 v[26:27], v[22:23], off
	s_waitcnt vmcnt(0)
	v_sub_co_u32 v26, vcc_lo, v26, s25
	v_subrev_co_ci_u32_e32 v27, vcc_lo, 0, v27, vcc_lo
	s_delay_alu instid0(VALU_DEP_1)
	v_cmp_lt_i64_e32 vcc_lo, v[26:27], v[10:11]
	v_cmp_lt_i64_e64 s19, v[26:27], v[8:9]
	s_xor_b32 s64, vcc_lo, -1
	s_delay_alu instid0(VALU_DEP_1) | instid1(SALU_CYCLE_1)
	s_or_b32 s65, s19, s64
	s_mov_b32 s19, 0
                                        ; implicit-def: $sgpr64
	s_and_saveexec_b32 s66, s65
	s_delay_alu instid0(SALU_CYCLE_1)
	s_xor_b32 s65, exec_lo, s66
; %bb.34:                               ;   in Loop: Header=BB151_33 Depth=3
	s_mov_b32 s64, -1
	s_and_b32 s19, vcc_lo, exec_lo
; %bb.35:                               ;   in Loop: Header=BB151_33 Depth=3
	s_and_not1_saveexec_b32 s65, s65
	s_cbranch_execz .LBB151_37
; %bb.36:                               ;   in Loop: Header=BB151_33 Depth=3
	global_load_b64 v[30:31], v[24:25], off offset:-4
	v_sub_nc_u32_e32 v32, v26, v8
	s_or_b32 s19, s19, exec_lo
	ds_store_b8 v32, v45 offset:16384
	v_lshlrev_b32_e32 v48, 3, v32
	s_waitcnt vmcnt(0)
	v_mul_f32_e64 v33, v31, -v47
	v_mul_f32_e32 v31, v46, v31
	s_delay_alu instid0(VALU_DEP_2) | instskip(NEXT) | instid1(VALU_DEP_2)
	v_fmac_f32_e32 v33, v46, v30
	v_fmac_f32_e32 v31, v47, v30
	ds_add_f32 v48, v33
	ds_add_f32 v48, v31 offset:4
.LBB151_37:                             ;   in Loop: Header=BB151_33 Depth=3
	s_or_b32 exec_lo, exec_lo, s65
	v_dual_mov_b32 v31, v29 :: v_dual_mov_b32 v30, v28
	s_and_not1_b32 s63, s63, exec_lo
	s_and_b32 s64, s64, exec_lo
	s_mov_b32 s65, -1
	s_or_b32 s63, s63, s64
                                        ; implicit-def: $vgpr32_vgpr33
	s_and_saveexec_b32 s64, s19
	s_cbranch_execz .LBB151_32
; %bb.38:                               ;   in Loop: Header=BB151_33 Depth=3
	v_add_co_u32 v32, vcc_lo, v28, 16
	v_add_co_ci_u32_e32 v33, vcc_lo, 0, v29, vcc_lo
	v_add_co_u32 v22, vcc_lo, 0x80, v22
	v_add_co_ci_u32_e32 v23, vcc_lo, 0, v23, vcc_lo
	s_delay_alu instid0(VALU_DEP_3) | instskip(SKIP_1) | instid1(VALU_DEP_1)
	v_cmp_ge_i64_e32 vcc_lo, v[32:33], v[20:21]
	v_add_co_u32 v24, s19, 0x80, v24
	v_add_co_ci_u32_e64 v25, s19, 0, v25, s19
	v_dual_mov_b32 v31, v29 :: v_dual_mov_b32 v30, v28
	s_and_not1_b32 s63, s63, exec_lo
	s_or_not1_b32 s65, vcc_lo, exec_lo
	s_branch .LBB151_32
.LBB151_39:                             ;   in Loop: Header=BB151_25 Depth=2
	s_or_b32 exec_lo, exec_lo, s62
	s_and_saveexec_b32 s19, s53
	s_delay_alu instid0(SALU_CYCLE_1)
	s_xor_b32 s19, exec_lo, s19
; %bb.40:                               ;   in Loop: Header=BB151_25 Depth=2
	v_cmp_lt_i64_e32 vcc_lo, v[26:27], v[12:13]
	v_dual_mov_b32 v18, v30 :: v_dual_mov_b32 v19, v31
	v_dual_cndmask_b32 v13, v13, v27 :: v_dual_cndmask_b32 v12, v12, v26
; %bb.41:                               ;   in Loop: Header=BB151_25 Depth=2
	s_or_b32 exec_lo, exec_lo, s19
.LBB151_42:                             ;   in Loop: Header=BB151_25 Depth=2
	s_delay_alu instid0(SALU_CYCLE_1)
	s_or_b32 exec_lo, exec_lo, s47
	ds_bpermute_b32 v20, v37, v18
	ds_bpermute_b32 v21, v37, v19
	s_waitcnt lgkmcnt(0)
	v_cmp_lt_i64_e32 vcc_lo, v[20:21], v[18:19]
	v_dual_cndmask_b32 v19, v19, v21 :: v_dual_cndmask_b32 v18, v18, v20
	ds_bpermute_b32 v21, v38, v19
	ds_bpermute_b32 v20, v38, v18
	s_waitcnt lgkmcnt(0)
	v_cmp_lt_i64_e32 vcc_lo, v[20:21], v[18:19]
	v_dual_cndmask_b32 v19, v19, v21 :: v_dual_cndmask_b32 v18, v18, v20
	;; [unrolled: 5-line block ×3, first 2 shown]
	ds_bpermute_b32 v21, v40, v19
	ds_bpermute_b32 v20, v40, v18
	s_and_saveexec_b32 s47, s1
	s_cbranch_execz .LBB151_24
; %bb.43:                               ;   in Loop: Header=BB151_25 Depth=2
	s_waitcnt lgkmcnt(0)
	v_cmp_lt_i64_e32 vcc_lo, v[20:21], v[18:19]
	v_add_co_u32 v16, s19, s22, v16
	s_delay_alu instid0(VALU_DEP_1)
	v_add_co_ci_u32_e64 v17, s19, s23, v17, s19
	v_dual_cndmask_b32 v19, v19, v21 :: v_dual_cndmask_b32 v18, v18, v20
	global_store_b64 v[16:17], v[18:19], off
	s_branch .LBB151_24
.LBB151_44:                             ;   in Loop: Header=BB151_18 Depth=1
	s_or_b32 exec_lo, exec_lo, s21
.LBB151_45:                             ;   in Loop: Header=BB151_18 Depth=1
	s_delay_alu instid0(SALU_CYCLE_1) | instskip(NEXT) | instid1(SALU_CYCLE_1)
	s_or_b32 exec_lo, exec_lo, s20
	s_and_not1_b32 vcc_lo, exec_lo, s28
	s_cbranch_vccnz .LBB151_59
; %bb.46:                               ;   in Loop: Header=BB151_18 Depth=1
	s_load_b128 s[64:67], s[40:41], 0x0
	s_mov_b32 s19, exec_lo
	s_waitcnt lgkmcnt(0)
	v_add_co_u32 v14, vcc_lo, s64, v35
	v_add_co_ci_u32_e32 v15, vcc_lo, s65, v36, vcc_lo
	s_sub_u32 s20, s66, s48
	s_subb_u32 s21, s67, 0
	s_delay_alu instid0(VALU_DEP_1) | instid1(SALU_CYCLE_1)
	v_cmpx_gt_i64_e64 s[20:21], v[14:15]
	s_cbranch_execz .LBB151_58
; %bb.47:                               ;   in Loop: Header=BB151_18 Depth=1
	v_lshlrev_b64 v[18:19], 3, v[14:15]
	s_mov_b32 s47, 0
                                        ; implicit-def: $sgpr53
                                        ; implicit-def: $sgpr62
	s_delay_alu instid0(VALU_DEP_1) | instskip(NEXT) | instid1(VALU_DEP_2)
	v_add_co_u32 v16, vcc_lo, s36, v18
	v_add_co_ci_u32_e32 v17, vcc_lo, s37, v19, vcc_lo
	v_add_co_u32 v18, vcc_lo, s38, v18
	v_add_co_ci_u32_e32 v19, vcc_lo, s39, v19, vcc_lo
	s_branch .LBB151_49
.LBB151_48:                             ;   in Loop: Header=BB151_49 Depth=2
	s_or_b32 exec_lo, exec_lo, s63
	s_delay_alu instid0(SALU_CYCLE_1) | instskip(NEXT) | instid1(SALU_CYCLE_1)
	s_and_b32 s18, exec_lo, s64
	s_or_b32 s47, s18, s47
	s_and_not1_b32 s18, s53, exec_lo
	s_and_b32 s53, s62, exec_lo
	s_delay_alu instid0(SALU_CYCLE_1)
	s_or_b32 s53, s18, s53
	s_and_not1_b32 exec_lo, exec_lo, s47
	s_cbranch_execz .LBB151_55
.LBB151_49:                             ;   Parent Loop BB151_18 Depth=1
                                        ; =>  This Inner Loop Header: Depth=2
	global_load_b64 v[20:21], v[16:17], off
	s_waitcnt vmcnt(0)
	v_sub_co_u32 v20, vcc_lo, v20, s48
	v_subrev_co_ci_u32_e32 v21, vcc_lo, 0, v21, vcc_lo
	s_delay_alu instid0(VALU_DEP_1)
	v_cmp_lt_i64_e32 vcc_lo, v[20:21], v[10:11]
	v_cmp_lt_i64_e64 s18, v[20:21], v[8:9]
	s_xor_b32 s63, vcc_lo, -1
	s_delay_alu instid0(VALU_DEP_1) | instid1(SALU_CYCLE_1)
	s_or_b32 s64, s18, s63
	s_mov_b32 s18, 0
                                        ; implicit-def: $sgpr63
	s_and_saveexec_b32 s65, s64
	s_delay_alu instid0(SALU_CYCLE_1)
	s_xor_b32 s64, exec_lo, s65
; %bb.50:                               ;   in Loop: Header=BB151_49 Depth=2
	s_mov_b32 s63, -1
	s_and_b32 s18, vcc_lo, exec_lo
; %bb.51:                               ;   in Loop: Header=BB151_49 Depth=2
	s_and_not1_saveexec_b32 s64, s64
	s_cbranch_execz .LBB151_53
; %bb.52:                               ;   in Loop: Header=BB151_49 Depth=2
	global_load_b64 v[22:23], v[18:19], off offset:-4
	v_sub_nc_u32_e32 v24, v20, v8
	s_or_b32 s18, s18, exec_lo
	ds_store_b8 v24, v45 offset:16384
	v_lshlrev_b32_e32 v26, 3, v24
	s_waitcnt vmcnt(0)
	v_mul_f32_e64 v25, v23, -s61
	v_mul_f32_e32 v23, s60, v23
	s_delay_alu instid0(VALU_DEP_2) | instskip(NEXT) | instid1(VALU_DEP_2)
	v_fmac_f32_e32 v25, s60, v22
	v_fmac_f32_e32 v23, s61, v22
	ds_add_f32 v26, v25
	ds_add_f32 v26, v23 offset:4
.LBB151_53:                             ;   in Loop: Header=BB151_49 Depth=2
	s_or_b32 exec_lo, exec_lo, s64
	s_delay_alu instid0(SALU_CYCLE_1)
	s_and_not1_b32 s62, s62, exec_lo
	s_and_b32 s63, s63, exec_lo
	s_mov_b32 s64, -1
	s_or_b32 s62, s62, s63
	s_and_saveexec_b32 s63, s18
	s_cbranch_execz .LBB151_48
; %bb.54:                               ;   in Loop: Header=BB151_49 Depth=2
	v_add_co_u32 v14, vcc_lo, 0x200, v14
	v_add_co_ci_u32_e32 v15, vcc_lo, 0, v15, vcc_lo
	v_add_co_u32 v16, vcc_lo, 0x1000, v16
	v_add_co_ci_u32_e32 v17, vcc_lo, 0, v17, vcc_lo
	s_delay_alu instid0(VALU_DEP_3) | instskip(SKIP_1) | instid1(VALU_DEP_1)
	v_cmp_le_i64_e32 vcc_lo, s[20:21], v[14:15]
	v_add_co_u32 v18, s18, 0x1000, v18
	v_add_co_ci_u32_e64 v19, s18, 0, v19, s18
	s_and_not1_b32 s62, s62, exec_lo
	s_or_not1_b32 s64, vcc_lo, exec_lo
	s_branch .LBB151_48
.LBB151_55:                             ;   in Loop: Header=BB151_18 Depth=1
	s_or_b32 exec_lo, exec_lo, s47
	s_and_saveexec_b32 s18, s53
	s_delay_alu instid0(SALU_CYCLE_1)
	s_xor_b32 s18, exec_lo, s18
; %bb.56:                               ;   in Loop: Header=BB151_18 Depth=1
	v_cmp_lt_i64_e32 vcc_lo, v[20:21], v[12:13]
	v_dual_cndmask_b32 v13, v13, v21 :: v_dual_cndmask_b32 v12, v12, v20
; %bb.57:                               ;   in Loop: Header=BB151_18 Depth=1
	s_or_b32 exec_lo, exec_lo, s18
.LBB151_58:                             ;   in Loop: Header=BB151_18 Depth=1
	s_delay_alu instid0(SALU_CYCLE_1)
	s_or_b32 exec_lo, exec_lo, s19
.LBB151_59:                             ;   in Loop: Header=BB151_18 Depth=1
	ds_bpermute_b32 v10, v37, v12
	ds_bpermute_b32 v11, v37, v13
	s_waitcnt lgkmcnt(0)
	v_cmp_lt_i64_e32 vcc_lo, v[10:11], v[12:13]
	v_dual_cndmask_b32 v11, v13, v11 :: v_dual_cndmask_b32 v10, v12, v10
	ds_bpermute_b32 v13, v38, v11
	ds_bpermute_b32 v12, v38, v10
	s_waitcnt lgkmcnt(0)
	v_cmp_lt_i64_e32 vcc_lo, v[12:13], v[10:11]
	v_dual_cndmask_b32 v11, v11, v13 :: v_dual_cndmask_b32 v10, v10, v12
	;; [unrolled: 5-line block ×3, first 2 shown]
	ds_bpermute_b32 v13, v40, v11
	ds_bpermute_b32 v12, v40, v10
	s_and_saveexec_b32 s20, s1
	s_cbranch_execz .LBB151_64
; %bb.60:                               ;   in Loop: Header=BB151_18 Depth=1
	s_waitcnt lgkmcnt(0)
	v_cmp_lt_i64_e32 vcc_lo, v[12:13], v[10:11]
	s_mov_b32 s21, exec_lo
	s_mov_b64 s[18:19], -1
	v_dual_cndmask_b32 v11, v11, v13 :: v_dual_cndmask_b32 v10, v10, v12
.LBB151_61:                             ;   Parent Loop BB151_18 Depth=1
                                        ; =>  This Inner Loop Header: Depth=2
	s_ctz_i32_b32 s47, s21
	s_delay_alu instid0(VALU_DEP_1) | instid1(SALU_CYCLE_1)
	v_readlane_b32 s63, v11, s47
	s_delay_alu instid0(VALU_DEP_2) | instskip(NEXT) | instid1(VALU_DEP_1)
	v_readlane_b32 s62, v10, s47
	v_cmp_lt_u64_e64 s53, s[18:19], s[62:63]
	s_delay_alu instid0(VALU_DEP_1) | instskip(SKIP_3) | instid1(SALU_CYCLE_1)
	s_and_b32 s53, s53, exec_lo
	s_cselect_b32 s19, s19, s63
	s_cselect_b32 s18, s18, s62
	s_lshl_b32 s47, 1, s47
	s_and_not1_b32 s21, s21, s47
	s_delay_alu instid0(SALU_CYCLE_1)
	s_cmp_lg_u32 s21, 0
	s_cbranch_scc1 .LBB151_61
; %bb.62:                               ;   in Loop: Header=BB151_18 Depth=1
	v_mbcnt_lo_u32_b32 v10, exec_lo, 0
	s_mov_b32 s21, exec_lo
	s_delay_alu instid0(VALU_DEP_1)
	v_cmpx_eq_u32_e32 0, v10
	s_xor_b32 s21, exec_lo, s21
	s_cbranch_execz .LBB151_64
; %bb.63:                               ;   in Loop: Header=BB151_18 Depth=1
	v_dual_mov_b32 v10, s18 :: v_dual_mov_b32 v11, s19
	ds_min_u64 v1, v[10:11] offset:18432
.LBB151_64:                             ;   in Loop: Header=BB151_18 Depth=1
	s_or_b32 exec_lo, exec_lo, s20
	v_add_co_u32 v8, vcc_lo, v0, v8
	v_add_co_ci_u32_e32 v9, vcc_lo, v44, v9, vcc_lo
	s_waitcnt lgkmcnt(0)
	v_dual_mov_b32 v12, v43 :: v_dual_mov_b32 v13, v42
	s_mov_b32 s19, 0
	s_waitcnt_vscnt null, 0x0
	s_barrier
	buffer_gl0_inv
	s_branch .LBB151_66
.LBB151_65:                             ;   in Loop: Header=BB151_66 Depth=2
	s_or_b32 exec_lo, exec_lo, s18
	s_waitcnt lgkmcnt(0)
	s_waitcnt_vscnt null, 0x0
	s_barrier
	buffer_gl0_inv
	ds_load_b32 v10, v1 offset:60
	v_add_nc_u32_e32 v13, 0x200, v13
	v_add_co_u32 v8, vcc_lo, 0x200, v8
	v_add_co_ci_u32_e32 v9, vcc_lo, 0, v9, vcc_lo
	s_delay_alu instid0(VALU_DEP_3)
	v_cmp_lt_u32_e32 vcc_lo, 0x5ff, v13
	v_add_nc_u32_e32 v12, 0x1000, v12
	s_or_b32 s19, vcc_lo, s19
	s_waitcnt lgkmcnt(0)
	v_ashrrev_i32_e32 v11, 31, v10
	v_add_co_u32 v6, s18, v6, v10
	s_delay_alu instid0(VALU_DEP_1)
	v_add_co_ci_u32_e64 v7, s18, v7, v11, s18
	s_and_not1_b32 exec_lo, exec_lo, s19
	s_cbranch_execz .LBB151_17
.LBB151_66:                             ;   Parent Loop BB151_18 Depth=1
                                        ; =>  This Inner Loop Header: Depth=2
	ds_load_u8 v26, v13 offset:16896
	ds_load_b64 v[10:11], v12
	s_waitcnt lgkmcnt(0)
	s_barrier
	buffer_gl0_inv
	v_cmp_ne_u16_e32 vcc_lo, 0, v26
	s_bcnt1_i32_b32 s18, vcc_lo
	s_delay_alu instid0(SALU_CYCLE_1)
	v_dual_mov_b32 v14, s18 :: v_dual_and_b32 v27, vcc_lo, v5
	s_mov_b32 s18, exec_lo
	ds_store_b32 v41, v14
	s_waitcnt lgkmcnt(0)
	s_barrier
	buffer_gl0_inv
	ds_load_b128 v[14:17], v1
	ds_load_b128 v[18:21], v1 offset:16
	ds_load_b128 v[22:25], v1 offset:32
	s_waitcnt lgkmcnt(2)
	v_cndmask_b32_e64 v14, v14, 0, s3
	v_cndmask_b32_e64 v28, v15, 0, s4
	;; [unrolled: 1-line block ×4, first 2 shown]
	s_waitcnt lgkmcnt(1)
	v_cndmask_b32_e64 v18, v18, 0, s7
	v_bcnt_u32_b32 v27, v27, v14
	ds_load_b96 v[14:16], v1 offset:48
	v_cndmask_b32_e64 v19, v19, 0, s8
	v_cndmask_b32_e64 v20, v20, 0, s9
	v_add3_u32 v27, v27, v28, v29
	s_delay_alu instid0(VALU_DEP_1) | instskip(SKIP_3) | instid1(VALU_DEP_3)
	v_add3_u32 v17, v27, v17, v18
	v_cndmask_b32_e64 v18, v21, 0, s10
	s_waitcnt lgkmcnt(1)
	v_cndmask_b32_e64 v21, v22, 0, s11
	v_add3_u32 v17, v17, v19, v20
	v_cndmask_b32_e64 v19, v23, 0, s12
	v_cndmask_b32_e64 v20, v24, 0, s13
	s_delay_alu instid0(VALU_DEP_3)
	v_add3_u32 v17, v17, v18, v21
	v_cndmask_b32_e64 v18, v25, 0, s14
	s_waitcnt lgkmcnt(0)
	v_cndmask_b32_e64 v14, v14, 0, s15
	v_cndmask_b32_e64 v15, v15, 0, s16
	;; [unrolled: 1-line block ×3, first 2 shown]
	v_add3_u32 v17, v17, v19, v20
	s_delay_alu instid0(VALU_DEP_1) | instskip(SKIP_1) | instid1(VALU_DEP_2)
	v_add3_u32 v14, v17, v18, v14
	v_and_b32_e32 v17, 1, v26
	v_add3_u32 v14, v14, v15, v16
	s_delay_alu instid0(VALU_DEP_2)
	v_cmpx_eq_u32_e32 1, v17
	s_cbranch_execz .LBB151_68
; %bb.67:                               ;   in Loop: Header=BB151_66 Depth=2
	s_delay_alu instid0(VALU_DEP_2) | instskip(SKIP_1) | instid1(VALU_DEP_2)
	v_ashrrev_i32_e32 v16, 31, v14
	v_add_co_u32 v15, vcc_lo, v6, v14
	v_add_co_ci_u32_e32 v16, vcc_lo, v7, v16, vcc_lo
	s_delay_alu instid0(VALU_DEP_1) | instskip(NEXT) | instid1(VALU_DEP_1)
	v_lshlrev_b64 v[15:16], 3, v[15:16]
	v_add_co_u32 v17, vcc_lo, s42, v15
	s_delay_alu instid0(VALU_DEP_2)
	v_add_co_ci_u32_e32 v18, vcc_lo, s43, v16, vcc_lo
	v_add_co_u32 v15, vcc_lo, s51, v15
	v_add_co_ci_u32_e32 v16, vcc_lo, s52, v16, vcc_lo
	global_store_b64 v[17:18], v[8:9], off
	global_store_b64 v[15:16], v[10:11], off
.LBB151_68:                             ;   in Loop: Header=BB151_66 Depth=2
	s_or_b32 exec_lo, exec_lo, s18
	s_and_saveexec_b32 s18, s2
	s_cbranch_execz .LBB151_65
; %bb.69:                               ;   in Loop: Header=BB151_66 Depth=2
	ds_store_b32 v1, v14 offset:60
	s_branch .LBB151_65
.LBB151_70:
	s_endpgm
	.section	.rodata,"a",@progbits
	.p2align	6, 0x0
	.amdhsa_kernel _ZN9rocsparseL36csrgemm_fill_block_per_row_multipassILj512ELj16ELj2048ELj32Ell21rocsparse_complex_numIfEEEvT4_PKS3_S5_NS_24const_host_device_scalarIT5_EEPKT3_S5_PKS7_SB_S5_SD_S8_SB_S5_SD_SB_PS3_PS7_PS9_21rocsparse_index_base_SH_SH_SH_bbb
		.amdhsa_group_segment_fixed_size 18440
		.amdhsa_private_segment_fixed_size 0
		.amdhsa_kernarg_size 164
		.amdhsa_user_sgpr_count 15
		.amdhsa_user_sgpr_dispatch_ptr 0
		.amdhsa_user_sgpr_queue_ptr 0
		.amdhsa_user_sgpr_kernarg_segment_ptr 1
		.amdhsa_user_sgpr_dispatch_id 0
		.amdhsa_user_sgpr_private_segment_size 0
		.amdhsa_wavefront_size32 1
		.amdhsa_uses_dynamic_stack 0
		.amdhsa_enable_private_segment 0
		.amdhsa_system_sgpr_workgroup_id_x 1
		.amdhsa_system_sgpr_workgroup_id_y 0
		.amdhsa_system_sgpr_workgroup_id_z 0
		.amdhsa_system_sgpr_workgroup_info 0
		.amdhsa_system_vgpr_workitem_id 0
		.amdhsa_next_free_vgpr 49
		.amdhsa_next_free_sgpr 68
		.amdhsa_reserve_vcc 1
		.amdhsa_float_round_mode_32 0
		.amdhsa_float_round_mode_16_64 0
		.amdhsa_float_denorm_mode_32 3
		.amdhsa_float_denorm_mode_16_64 3
		.amdhsa_dx10_clamp 1
		.amdhsa_ieee_mode 1
		.amdhsa_fp16_overflow 0
		.amdhsa_workgroup_processor_mode 1
		.amdhsa_memory_ordered 1
		.amdhsa_forward_progress 0
		.amdhsa_shared_vgpr_count 0
		.amdhsa_exception_fp_ieee_invalid_op 0
		.amdhsa_exception_fp_denorm_src 0
		.amdhsa_exception_fp_ieee_div_zero 0
		.amdhsa_exception_fp_ieee_overflow 0
		.amdhsa_exception_fp_ieee_underflow 0
		.amdhsa_exception_fp_ieee_inexact 0
		.amdhsa_exception_int_div_zero 0
	.end_amdhsa_kernel
	.section	.text._ZN9rocsparseL36csrgemm_fill_block_per_row_multipassILj512ELj16ELj2048ELj32Ell21rocsparse_complex_numIfEEEvT4_PKS3_S5_NS_24const_host_device_scalarIT5_EEPKT3_S5_PKS7_SB_S5_SD_S8_SB_S5_SD_SB_PS3_PS7_PS9_21rocsparse_index_base_SH_SH_SH_bbb,"axG",@progbits,_ZN9rocsparseL36csrgemm_fill_block_per_row_multipassILj512ELj16ELj2048ELj32Ell21rocsparse_complex_numIfEEEvT4_PKS3_S5_NS_24const_host_device_scalarIT5_EEPKT3_S5_PKS7_SB_S5_SD_S8_SB_S5_SD_SB_PS3_PS7_PS9_21rocsparse_index_base_SH_SH_SH_bbb,comdat
.Lfunc_end151:
	.size	_ZN9rocsparseL36csrgemm_fill_block_per_row_multipassILj512ELj16ELj2048ELj32Ell21rocsparse_complex_numIfEEEvT4_PKS3_S5_NS_24const_host_device_scalarIT5_EEPKT3_S5_PKS7_SB_S5_SD_S8_SB_S5_SD_SB_PS3_PS7_PS9_21rocsparse_index_base_SH_SH_SH_bbb, .Lfunc_end151-_ZN9rocsparseL36csrgemm_fill_block_per_row_multipassILj512ELj16ELj2048ELj32Ell21rocsparse_complex_numIfEEEvT4_PKS3_S5_NS_24const_host_device_scalarIT5_EEPKT3_S5_PKS7_SB_S5_SD_S8_SB_S5_SD_SB_PS3_PS7_PS9_21rocsparse_index_base_SH_SH_SH_bbb
                                        ; -- End function
	.section	.AMDGPU.csdata,"",@progbits
; Kernel info:
; codeLenInByte = 3440
; NumSgprs: 70
; NumVgprs: 49
; ScratchSize: 0
; MemoryBound: 0
; FloatMode: 240
; IeeeMode: 1
; LDSByteSize: 18440 bytes/workgroup (compile time only)
; SGPRBlocks: 8
; VGPRBlocks: 6
; NumSGPRsForWavesPerEU: 70
; NumVGPRsForWavesPerEU: 49
; Occupancy: 16
; WaveLimiterHint : 1
; COMPUTE_PGM_RSRC2:SCRATCH_EN: 0
; COMPUTE_PGM_RSRC2:USER_SGPR: 15
; COMPUTE_PGM_RSRC2:TRAP_HANDLER: 0
; COMPUTE_PGM_RSRC2:TGID_X_EN: 1
; COMPUTE_PGM_RSRC2:TGID_Y_EN: 0
; COMPUTE_PGM_RSRC2:TGID_Z_EN: 0
; COMPUTE_PGM_RSRC2:TIDIG_COMP_CNT: 0
	.section	.text._ZN9rocsparseL36csrgemm_fill_block_per_row_multipassILj512ELj16ELj2048ELj64Ell21rocsparse_complex_numIfEEEvT4_PKS3_S5_NS_24const_host_device_scalarIT5_EEPKT3_S5_PKS7_SB_S5_SD_S8_SB_S5_SD_SB_PS3_PS7_PS9_21rocsparse_index_base_SH_SH_SH_bbb,"axG",@progbits,_ZN9rocsparseL36csrgemm_fill_block_per_row_multipassILj512ELj16ELj2048ELj64Ell21rocsparse_complex_numIfEEEvT4_PKS3_S5_NS_24const_host_device_scalarIT5_EEPKT3_S5_PKS7_SB_S5_SD_S8_SB_S5_SD_SB_PS3_PS7_PS9_21rocsparse_index_base_SH_SH_SH_bbb,comdat
	.globl	_ZN9rocsparseL36csrgemm_fill_block_per_row_multipassILj512ELj16ELj2048ELj64Ell21rocsparse_complex_numIfEEEvT4_PKS3_S5_NS_24const_host_device_scalarIT5_EEPKT3_S5_PKS7_SB_S5_SD_S8_SB_S5_SD_SB_PS3_PS7_PS9_21rocsparse_index_base_SH_SH_SH_bbb ; -- Begin function _ZN9rocsparseL36csrgemm_fill_block_per_row_multipassILj512ELj16ELj2048ELj64Ell21rocsparse_complex_numIfEEEvT4_PKS3_S5_NS_24const_host_device_scalarIT5_EEPKT3_S5_PKS7_SB_S5_SD_S8_SB_S5_SD_SB_PS3_PS7_PS9_21rocsparse_index_base_SH_SH_SH_bbb
	.p2align	8
	.type	_ZN9rocsparseL36csrgemm_fill_block_per_row_multipassILj512ELj16ELj2048ELj64Ell21rocsparse_complex_numIfEEEvT4_PKS3_S5_NS_24const_host_device_scalarIT5_EEPKT3_S5_PKS7_SB_S5_SD_S8_SB_S5_SD_SB_PS3_PS7_PS9_21rocsparse_index_base_SH_SH_SH_bbb,@function
_ZN9rocsparseL36csrgemm_fill_block_per_row_multipassILj512ELj16ELj2048ELj64Ell21rocsparse_complex_numIfEEEvT4_PKS3_S5_NS_24const_host_device_scalarIT5_EEPKT3_S5_PKS7_SB_S5_SD_S8_SB_S5_SD_SB_PS3_PS7_PS9_21rocsparse_index_base_SH_SH_SH_bbb: ; @_ZN9rocsparseL36csrgemm_fill_block_per_row_multipassILj512ELj16ELj2048ELj64Ell21rocsparse_complex_numIfEEEvT4_PKS3_S5_NS_24const_host_device_scalarIT5_EEPKT3_S5_PKS7_SB_S5_SD_S8_SB_S5_SD_SB_PS3_PS7_PS9_21rocsparse_index_base_SH_SH_SH_bbb
; %bb.0:
	s_mov_b32 s2, s15
	s_clause 0x5
	s_load_b32 s9, s[0:1], 0xa0
	s_load_b256 s[12:19], s[0:1], 0x80
	s_load_b256 s[20:27], s[0:1], 0x60
	;; [unrolled: 1-line block ×3, first 2 shown]
	s_load_b128 s[4:7], s[0:1], 0x8
	s_load_b256 s[44:51], s[0:1], 0x20
	s_mov_b32 s29, 0
	s_mov_b32 s33, 0
	s_waitcnt lgkmcnt(0)
	s_bitcmp1_b32 s9, 0
	s_cselect_b32 s8, -1, 0
	s_bitcmp1_b32 s9, 16
	s_cselect_b32 s3, -1, 0
	s_delay_alu instid0(SALU_CYCLE_1)
	s_xor_b32 s3, s3, -1
	s_bitcmp0_b32 s9, 0
	s_cbranch_scc1 .LBB152_5
; %bb.1:
	s_load_b64 s[28:29], s[0:1], 0x18
	s_and_not1_b32 vcc_lo, exec_lo, s3
	s_waitcnt lgkmcnt(0)
	s_mov_b32 s33, s28
	s_cbranch_vccnz .LBB152_3
; %bb.2:
	s_load_b32 s33, s[28:29], 0x0
.LBB152_3:
	s_and_not1_b32 vcc_lo, exec_lo, s3
	s_cbranch_vccnz .LBB152_5
; %bb.4:
	s_load_b32 s29, s[28:29], 0x4
.LBB152_5:
	s_bitcmp1_b32 s9, 8
	s_mov_b32 s53, 0
	s_cselect_b32 s28, -1, 0
	s_bfe_u32 s9, s9, 0x10008
	s_mov_b32 s52, 0
	s_cmp_eq_u32 s9, 0
	s_cbranch_scc1 .LBB152_11
; %bb.6:
	v_cndmask_b32_e64 v1, 0, 1, s3
	s_and_not1_b32 vcc_lo, exec_lo, s3
	s_mov_b32 s52, s40
	s_cbranch_vccnz .LBB152_8
; %bb.7:
	s_load_b32 s52, s[40:41], 0x0
.LBB152_8:
	s_delay_alu instid0(VALU_DEP_1)
	v_cmp_ne_u32_e32 vcc_lo, 1, v1
	s_cbranch_vccnz .LBB152_10
; %bb.9:
	s_load_b32 s41, s[40:41], 0x4
.LBB152_10:
	s_waitcnt lgkmcnt(0)
	s_mov_b32 s53, s41
.LBB152_11:
	s_load_b64 s[4:5], s[4:5], 0x0
	s_mov_b32 s3, 0
	s_mov_b64 s[30:31], 0
	s_waitcnt lgkmcnt(0)
	s_lshl_b64 s[4:5], s[4:5], 3
	s_delay_alu instid0(SALU_CYCLE_1) | instskip(SKIP_2) | instid1(SALU_CYCLE_1)
	s_add_u32 s4, s6, s4
	s_addc_u32 s5, s7, s5
	s_lshl_b64 s[2:3], s[2:3], 3
	s_add_u32 s2, s4, s2
	s_addc_u32 s3, s5, s3
	s_and_not1_b32 vcc_lo, exec_lo, s8
	s_load_b64 s[4:5], s[2:3], 0x0
	s_mov_b64 s[2:3], 0
	s_cbranch_vccz .LBB152_14
; %bb.12:
	s_and_not1_b32 vcc_lo, exec_lo, s8
	s_cbranch_vccz .LBB152_15
.LBB152_13:
	s_load_b64 s[34:35], s[0:1], 0x0
	s_waitcnt lgkmcnt(0)
	v_cmp_lt_i64_e64 s0, s[34:35], 1
	s_delay_alu instid0(VALU_DEP_1)
	s_and_b32 vcc_lo, exec_lo, s0
	s_cbranch_vccz .LBB152_16
	s_branch .LBB152_70
.LBB152_14:
	s_waitcnt lgkmcnt(0)
	s_lshl_b64 s[2:3], s[4:5], 3
	s_delay_alu instid0(SALU_CYCLE_1)
	s_add_u32 s2, s44, s2
	s_addc_u32 s3, s45, s3
	s_load_b64 s[2:3], s[2:3], 0x0
	s_waitcnt lgkmcnt(0)
	s_sub_u32 s2, s2, s16
	s_subb_u32 s3, s3, 0
	s_and_not1_b32 vcc_lo, exec_lo, s8
	s_cbranch_vccnz .LBB152_13
.LBB152_15:
	s_waitcnt lgkmcnt(0)
	s_lshl_b64 s[6:7], s[4:5], 3
	s_delay_alu instid0(SALU_CYCLE_1)
	s_add_u32 s6, s44, s6
	s_addc_u32 s7, s45, s7
	s_load_b64 s[6:7], s[6:7], 0x8
	s_waitcnt lgkmcnt(0)
	s_sub_u32 s30, s6, s16
	s_subb_u32 s31, s7, 0
	s_load_b64 s[34:35], s[0:1], 0x0
	s_waitcnt lgkmcnt(0)
	v_cmp_lt_i64_e64 s0, s[34:35], 1
	s_delay_alu instid0(VALU_DEP_1)
	s_and_b32 vcc_lo, exec_lo, s0
	s_cbranch_vccnz .LBB152_70
.LBB152_16:
	v_mbcnt_lo_u32_b32 v5, -1, 0
	s_lshl_b64 s[4:5], s[4:5], 3
	v_lshrrev_b32_e32 v2, 4, v0
	s_add_u32 s0, s24, s4
	s_addc_u32 s1, s25, s5
	v_xor_b32_e32 v6, 8, v5
	s_load_b64 s[6:7], s[0:1], 0x0
	v_sub_co_u32 v35, s1, v0, s19
	s_delay_alu instid0(VALU_DEP_1)
	v_sub_co_ci_u32_e64 v36, null, 0, 0, s1
	v_add_co_u32 v3, s1, s2, v2
	v_xor_b32_e32 v7, 4, v5
	v_cmp_gt_i32_e64 s2, 32, v6
	v_xor_b32_e32 v8, 2, v5
	v_add_co_ci_u32_e64 v4, null, s3, 0, s1
	v_xor_b32_e32 v9, 1, v5
	s_delay_alu instid0(VALU_DEP_4) | instskip(SKIP_1) | instid1(VALU_DEP_4)
	v_cndmask_b32_e64 v6, v5, v6, s2
	v_cmp_gt_i32_e64 s2, 32, v7
	v_cmp_gt_i64_e32 vcc_lo, s[30:31], v[3:4]
	s_mov_b32 s40, s19
	v_dual_mov_b32 v1, 0 :: v_dual_and_b32 v34, 15, v0
	s_delay_alu instid0(VALU_DEP_3)
	v_cndmask_b32_e64 v7, v5, v7, s2
	v_cmp_gt_i32_e64 s2, 32, v8
	s_waitcnt lgkmcnt(0)
	s_sub_u32 s10, s6, s18
	s_subb_u32 s11, s7, 0
	s_add_u32 s24, s42, s4
	s_addc_u32 s25, s43, s5
	v_cndmask_b32_e64 v8, v5, v8, s2
	v_cmp_gt_i32_e64 s2, 32, v9
	s_and_b32 s19, s8, vcc_lo
	s_add_u32 s41, s50, 8
	s_addc_u32 s42, s51, 0
	s_add_u32 s26, s26, -8
	v_cndmask_b32_e64 v9, v5, v9, s2
	v_xor_b32_e32 v5, 63, v5
	s_addc_u32 s27, s27, -1
	v_cmp_eq_u32_e64 s0, 0, v0
	v_lshlrev_b32_e32 v37, 2, v6
	v_cmp_eq_u32_e64 s2, 0x1ff, v0
	v_lshrrev_b64 v[5:6], v5, -1
	v_cmp_gt_u32_e64 s3, 64, v0
	v_cmp_gt_u32_e64 s4, 0x80, v0
	;; [unrolled: 1-line block ×7, first 2 shown]
	s_add_u32 s43, s12, -8
	v_or_b32_e32 v42, 0xfffffe00, v0
	v_lshlrev_b32_e32 v43, 3, v0
	v_add_co_u32 v0, s12, v0, s18
	v_lshlrev_b32_e32 v38, 2, v7
	v_dual_mov_b32 v10, 0x800 :: v_dual_lshlrev_b32 v39, 2, v8
	v_dual_mov_b32 v11, 0 :: v_dual_lshlrev_b32 v40, 2, v9
	v_dual_mov_b32 v6, s10 :: v_dual_and_b32 v41, 28, v2
	s_addc_u32 s44, s13, -1
	v_mov_b32_e32 v8, 0
	v_cmp_eq_u32_e64 s1, 15, v34
	s_add_u32 s38, s38, 4
	v_add_co_ci_u32_e64 v44, null, 0, 0, s12
	v_mov_b32_e32 v9, 0
	v_dual_mov_b32 v7, s11 :: v_dual_mov_b32 v2, v1
	v_mov_b32_e32 v45, 1
	s_addc_u32 s18, s39, 0
	s_add_u32 s22, s22, 4
	s_addc_u32 s23, s23, 0
	s_branch .LBB152_18
.LBB152_17:                             ;   in Loop: Header=BB152_18 Depth=1
	s_or_b32 exec_lo, exec_lo, s11
	ds_load_b64 v[8:9], v1 offset:18432
	s_waitcnt lgkmcnt(0)
	s_barrier
	buffer_gl0_inv
	v_cmp_le_i64_e32 vcc_lo, s[34:35], v[8:9]
	v_add_co_u32 v10, s10, 0x800, v8
	s_delay_alu instid0(VALU_DEP_1)
	v_add_co_ci_u32_e64 v11, s10, 0, v9, s10
	s_cbranch_vccnz .LBB152_70
.LBB152_18:                             ; =>This Loop Header: Depth=1
                                        ;     Child Loop BB152_19 Depth 2
                                        ;     Child Loop BB152_25 Depth 2
                                        ;       Child Loop BB152_33 Depth 3
                                        ;     Child Loop BB152_49 Depth 2
                                        ;     Child Loop BB152_61 Depth 2
	;; [unrolled: 1-line block ×3, first 2 shown]
	v_dual_mov_b32 v12, v43 :: v_dual_mov_b32 v13, v42
	s_mov_b32 s10, 0
.LBB152_19:                             ;   Parent Loop BB152_18 Depth=1
                                        ; =>  This Inner Loop Header: Depth=2
	ds_store_b8 v13, v1 offset:16896
	v_add_nc_u32_e32 v13, 0x200, v13
	ds_store_b64 v12, v[1:2]
	v_add_nc_u32_e32 v12, 0x1000, v12
	v_cmp_lt_u32_e32 vcc_lo, 0x5ff, v13
	s_or_b32 s10, vcc_lo, s10
	s_delay_alu instid0(SALU_CYCLE_1)
	s_and_not1_b32 exec_lo, exec_lo, s10
	s_cbranch_execnz .LBB152_19
; %bb.20:                               ;   in Loop: Header=BB152_18 Depth=1
	s_or_b32 exec_lo, exec_lo, s10
	s_and_saveexec_b32 s10, s0
	s_cbranch_execz .LBB152_22
; %bb.21:                               ;   in Loop: Header=BB152_18 Depth=1
	v_dual_mov_b32 v12, s34 :: v_dual_mov_b32 v13, s35
	ds_store_b64 v1, v[12:13] offset:18432
.LBB152_22:                             ;   in Loop: Header=BB152_18 Depth=1
	s_or_b32 exec_lo, exec_lo, s10
	v_dual_mov_b32 v12, s34 :: v_dual_mov_b32 v13, s35
	s_waitcnt lgkmcnt(0)
	s_barrier
	buffer_gl0_inv
	s_and_saveexec_b32 s12, s19
	s_cbranch_execz .LBB152_45
; %bb.23:                               ;   in Loop: Header=BB152_18 Depth=1
	v_cmp_ne_u64_e64 s10, 0, v[8:9]
	v_dual_mov_b32 v12, s34 :: v_dual_mov_b32 v13, s35
	v_dual_mov_b32 v15, v4 :: v_dual_mov_b32 v14, v3
	s_mov_b32 s13, 0
	s_branch .LBB152_25
.LBB152_24:                             ;   in Loop: Header=BB152_25 Depth=2
	s_or_b32 exec_lo, exec_lo, s39
	v_add_co_u32 v14, vcc_lo, v14, 32
	v_add_co_ci_u32_e32 v15, vcc_lo, 0, v15, vcc_lo
	s_delay_alu instid0(VALU_DEP_1) | instskip(SKIP_1) | instid1(SALU_CYCLE_1)
	v_cmp_le_i64_e32 vcc_lo, s[30:31], v[14:15]
	s_or_b32 s13, vcc_lo, s13
	s_and_not1_b32 exec_lo, exec_lo, s13
	s_cbranch_execz .LBB152_44
.LBB152_25:                             ;   Parent Loop BB152_18 Depth=1
                                        ; =>  This Loop Header: Depth=2
                                        ;       Child Loop BB152_33 Depth 3
	s_delay_alu instid0(VALU_DEP_1) | instskip(NEXT) | instid1(VALU_DEP_1)
	v_lshlrev_b64 v[16:17], 3, v[14:15]
	v_add_co_u32 v18, vcc_lo, s46, v16
	s_delay_alu instid0(VALU_DEP_2)
	v_add_co_ci_u32_e32 v19, vcc_lo, s47, v17, vcc_lo
	v_add_co_u32 v22, vcc_lo, s48, v16
	v_add_co_ci_u32_e32 v23, vcc_lo, s49, v17, vcc_lo
	s_and_b32 vcc_lo, exec_lo, s10
	s_waitcnt lgkmcnt(0)
	global_load_b64 v[20:21], v[18:19], off
	global_load_b64 v[22:23], v[22:23], off
	s_cbranch_vccz .LBB152_27
; %bb.26:                               ;   in Loop: Header=BB152_25 Depth=2
	v_add_co_u32 v18, vcc_lo, s14, v16
	v_add_co_ci_u32_e32 v19, vcc_lo, s15, v17, vcc_lo
	s_mov_b32 s11, 0
	global_load_b64 v[18:19], v[18:19], off
	s_branch .LBB152_28
.LBB152_27:                             ;   in Loop: Header=BB152_25 Depth=2
	s_mov_b32 s11, -1
                                        ; implicit-def: $vgpr18_vgpr19
.LBB152_28:                             ;   in Loop: Header=BB152_25 Depth=2
	s_waitcnt vmcnt(1)
	v_sub_co_u32 v20, vcc_lo, v20, s16
	v_subrev_co_ci_u32_e32 v21, vcc_lo, 0, v21, vcc_lo
	s_and_not1_b32 vcc_lo, exec_lo, s11
	s_delay_alu instid0(VALU_DEP_1)
	v_lshlrev_b64 v[20:21], 3, v[20:21]
	s_cbranch_vccnz .LBB152_30
; %bb.29:                               ;   in Loop: Header=BB152_25 Depth=2
	s_waitcnt vmcnt(0)
	s_delay_alu instid0(VALU_DEP_1) | instskip(NEXT) | instid1(VALU_DEP_2)
	v_add_co_u32 v18, vcc_lo, s50, v20
	v_add_co_ci_u32_e32 v19, vcc_lo, s51, v21, vcc_lo
	global_load_b64 v[18:19], v[18:19], off
	s_waitcnt vmcnt(0)
	v_sub_co_u32 v18, vcc_lo, v18, s17
	v_subrev_co_ci_u32_e32 v19, vcc_lo, 0, v19, vcc_lo
.LBB152_30:                             ;   in Loop: Header=BB152_25 Depth=2
	s_delay_alu instid0(VALU_DEP_1) | instskip(NEXT) | instid1(VALU_DEP_2)
	v_add_co_u32 v20, vcc_lo, s41, v20
	v_add_co_ci_u32_e32 v21, vcc_lo, s42, v21, vcc_lo
	s_mov_b32 s39, exec_lo
	global_load_b64 v[20:21], v[20:21], off
	s_waitcnt vmcnt(0)
	v_sub_co_u32 v20, vcc_lo, v20, s17
	v_subrev_co_ci_u32_e32 v21, vcc_lo, 0, v21, vcc_lo
	v_add_co_u32 v18, vcc_lo, v18, v34
	v_add_co_ci_u32_e32 v19, vcc_lo, 0, v19, vcc_lo
	s_delay_alu instid0(VALU_DEP_1)
	v_cmpx_lt_i64_e64 v[18:19], v[20:21]
	s_cbranch_execz .LBB152_42
; %bb.31:                               ;   in Loop: Header=BB152_25 Depth=2
	v_lshlrev_b64 v[24:25], 3, v[18:19]
	v_mul_f32_e64 v46, v23, -s29
	v_mul_f32_e32 v47, s33, v23
	v_mov_b32_e32 v29, v19
	s_mov_b32 s54, 0
	v_mov_b32_e32 v28, v18
	v_fmac_f32_e32 v46, s33, v22
	v_fmac_f32_e32 v47, s29, v22
	v_add_co_u32 v22, vcc_lo, s36, v24
	v_add_co_ci_u32_e32 v23, vcc_lo, s37, v25, vcc_lo
	v_add_co_u32 v24, vcc_lo, s38, v24
	v_add_co_ci_u32_e32 v25, vcc_lo, s18, v25, vcc_lo
                                        ; implicit-def: $sgpr45
                                        ; implicit-def: $sgpr55
	s_branch .LBB152_33
.LBB152_32:                             ;   in Loop: Header=BB152_33 Depth=3
	s_or_b32 exec_lo, exec_lo, s56
	s_delay_alu instid0(SALU_CYCLE_1) | instskip(SKIP_4) | instid1(SALU_CYCLE_1)
	s_and_b32 s11, exec_lo, s57
	v_dual_mov_b32 v28, v32 :: v_dual_mov_b32 v29, v33
	s_or_b32 s54, s11, s54
	s_and_not1_b32 s11, s45, exec_lo
	s_and_b32 s45, s55, exec_lo
	s_or_b32 s45, s11, s45
	s_and_not1_b32 exec_lo, exec_lo, s54
	s_cbranch_execz .LBB152_39
.LBB152_33:                             ;   Parent Loop BB152_18 Depth=1
                                        ;     Parent Loop BB152_25 Depth=2
                                        ; =>    This Inner Loop Header: Depth=3
	global_load_b64 v[26:27], v[22:23], off
	s_waitcnt vmcnt(0)
	v_sub_co_u32 v26, vcc_lo, v26, s17
	v_subrev_co_ci_u32_e32 v27, vcc_lo, 0, v27, vcc_lo
	s_delay_alu instid0(VALU_DEP_1)
	v_cmp_lt_i64_e32 vcc_lo, v[26:27], v[10:11]
	v_cmp_lt_i64_e64 s11, v[26:27], v[8:9]
	s_xor_b32 s56, vcc_lo, -1
	s_delay_alu instid0(VALU_DEP_1) | instid1(SALU_CYCLE_1)
	s_or_b32 s57, s11, s56
	s_mov_b32 s11, 0
                                        ; implicit-def: $sgpr56
	s_and_saveexec_b32 s58, s57
	s_delay_alu instid0(SALU_CYCLE_1)
	s_xor_b32 s57, exec_lo, s58
; %bb.34:                               ;   in Loop: Header=BB152_33 Depth=3
	s_mov_b32 s56, -1
	s_and_b32 s11, vcc_lo, exec_lo
; %bb.35:                               ;   in Loop: Header=BB152_33 Depth=3
	s_and_not1_saveexec_b32 s57, s57
	s_cbranch_execz .LBB152_37
; %bb.36:                               ;   in Loop: Header=BB152_33 Depth=3
	global_load_b64 v[30:31], v[24:25], off offset:-4
	v_sub_nc_u32_e32 v32, v26, v8
	s_or_b32 s11, s11, exec_lo
	ds_store_b8 v32, v45 offset:16384
	v_lshlrev_b32_e32 v48, 3, v32
	s_waitcnt vmcnt(0)
	v_mul_f32_e64 v33, v31, -v47
	v_mul_f32_e32 v31, v46, v31
	s_delay_alu instid0(VALU_DEP_2) | instskip(NEXT) | instid1(VALU_DEP_2)
	v_fmac_f32_e32 v33, v46, v30
	v_fmac_f32_e32 v31, v47, v30
	ds_add_f32 v48, v33
	ds_add_f32 v48, v31 offset:4
.LBB152_37:                             ;   in Loop: Header=BB152_33 Depth=3
	s_or_b32 exec_lo, exec_lo, s57
	v_dual_mov_b32 v31, v29 :: v_dual_mov_b32 v30, v28
	s_and_not1_b32 s55, s55, exec_lo
	s_and_b32 s56, s56, exec_lo
	s_mov_b32 s57, -1
	s_or_b32 s55, s55, s56
                                        ; implicit-def: $vgpr32_vgpr33
	s_and_saveexec_b32 s56, s11
	s_cbranch_execz .LBB152_32
; %bb.38:                               ;   in Loop: Header=BB152_33 Depth=3
	v_add_co_u32 v32, vcc_lo, v28, 16
	v_add_co_ci_u32_e32 v33, vcc_lo, 0, v29, vcc_lo
	v_add_co_u32 v22, vcc_lo, 0x80, v22
	v_add_co_ci_u32_e32 v23, vcc_lo, 0, v23, vcc_lo
	s_delay_alu instid0(VALU_DEP_3) | instskip(SKIP_1) | instid1(VALU_DEP_1)
	v_cmp_ge_i64_e32 vcc_lo, v[32:33], v[20:21]
	v_add_co_u32 v24, s11, 0x80, v24
	v_add_co_ci_u32_e64 v25, s11, 0, v25, s11
	v_dual_mov_b32 v31, v29 :: v_dual_mov_b32 v30, v28
	s_and_not1_b32 s55, s55, exec_lo
	s_or_not1_b32 s57, vcc_lo, exec_lo
	s_branch .LBB152_32
.LBB152_39:                             ;   in Loop: Header=BB152_25 Depth=2
	s_or_b32 exec_lo, exec_lo, s54
	s_and_saveexec_b32 s11, s45
	s_delay_alu instid0(SALU_CYCLE_1)
	s_xor_b32 s11, exec_lo, s11
; %bb.40:                               ;   in Loop: Header=BB152_25 Depth=2
	v_cmp_lt_i64_e32 vcc_lo, v[26:27], v[12:13]
	v_dual_mov_b32 v18, v30 :: v_dual_mov_b32 v19, v31
	v_dual_cndmask_b32 v13, v13, v27 :: v_dual_cndmask_b32 v12, v12, v26
; %bb.41:                               ;   in Loop: Header=BB152_25 Depth=2
	s_or_b32 exec_lo, exec_lo, s11
.LBB152_42:                             ;   in Loop: Header=BB152_25 Depth=2
	s_delay_alu instid0(SALU_CYCLE_1)
	s_or_b32 exec_lo, exec_lo, s39
	ds_bpermute_b32 v20, v37, v18
	ds_bpermute_b32 v21, v37, v19
	s_waitcnt lgkmcnt(0)
	v_cmp_lt_i64_e32 vcc_lo, v[20:21], v[18:19]
	v_dual_cndmask_b32 v19, v19, v21 :: v_dual_cndmask_b32 v18, v18, v20
	ds_bpermute_b32 v21, v38, v19
	ds_bpermute_b32 v20, v38, v18
	s_waitcnt lgkmcnt(0)
	v_cmp_lt_i64_e32 vcc_lo, v[20:21], v[18:19]
	v_dual_cndmask_b32 v19, v19, v21 :: v_dual_cndmask_b32 v18, v18, v20
	;; [unrolled: 5-line block ×3, first 2 shown]
	ds_bpermute_b32 v21, v40, v19
	ds_bpermute_b32 v20, v40, v18
	s_and_saveexec_b32 s39, s1
	s_cbranch_execz .LBB152_24
; %bb.43:                               ;   in Loop: Header=BB152_25 Depth=2
	s_waitcnt lgkmcnt(0)
	v_cmp_lt_i64_e32 vcc_lo, v[20:21], v[18:19]
	v_add_co_u32 v16, s11, s14, v16
	s_delay_alu instid0(VALU_DEP_1)
	v_add_co_ci_u32_e64 v17, s11, s15, v17, s11
	v_dual_cndmask_b32 v19, v19, v21 :: v_dual_cndmask_b32 v18, v18, v20
	global_store_b64 v[16:17], v[18:19], off
	s_branch .LBB152_24
.LBB152_44:                             ;   in Loop: Header=BB152_18 Depth=1
	s_or_b32 exec_lo, exec_lo, s13
.LBB152_45:                             ;   in Loop: Header=BB152_18 Depth=1
	s_delay_alu instid0(SALU_CYCLE_1) | instskip(NEXT) | instid1(SALU_CYCLE_1)
	s_or_b32 exec_lo, exec_lo, s12
	s_and_not1_b32 vcc_lo, exec_lo, s28
	s_cbranch_vccnz .LBB152_59
; %bb.46:                               ;   in Loop: Header=BB152_18 Depth=1
	s_load_b128 s[56:59], s[24:25], 0x0
	s_mov_b32 s11, exec_lo
	s_waitcnt lgkmcnt(0)
	v_add_co_u32 v14, vcc_lo, s56, v35
	v_add_co_ci_u32_e32 v15, vcc_lo, s57, v36, vcc_lo
	s_sub_u32 s12, s58, s40
	s_subb_u32 s13, s59, 0
	s_delay_alu instid0(VALU_DEP_1) | instid1(SALU_CYCLE_1)
	v_cmpx_gt_i64_e64 s[12:13], v[14:15]
	s_cbranch_execz .LBB152_58
; %bb.47:                               ;   in Loop: Header=BB152_18 Depth=1
	v_lshlrev_b64 v[18:19], 3, v[14:15]
	s_mov_b32 s39, 0
                                        ; implicit-def: $sgpr45
                                        ; implicit-def: $sgpr54
	s_delay_alu instid0(VALU_DEP_1) | instskip(NEXT) | instid1(VALU_DEP_2)
	v_add_co_u32 v16, vcc_lo, s20, v18
	v_add_co_ci_u32_e32 v17, vcc_lo, s21, v19, vcc_lo
	v_add_co_u32 v18, vcc_lo, s22, v18
	v_add_co_ci_u32_e32 v19, vcc_lo, s23, v19, vcc_lo
	s_branch .LBB152_49
.LBB152_48:                             ;   in Loop: Header=BB152_49 Depth=2
	s_or_b32 exec_lo, exec_lo, s55
	s_delay_alu instid0(SALU_CYCLE_1) | instskip(NEXT) | instid1(SALU_CYCLE_1)
	s_and_b32 s10, exec_lo, s56
	s_or_b32 s39, s10, s39
	s_and_not1_b32 s10, s45, exec_lo
	s_and_b32 s45, s54, exec_lo
	s_delay_alu instid0(SALU_CYCLE_1)
	s_or_b32 s45, s10, s45
	s_and_not1_b32 exec_lo, exec_lo, s39
	s_cbranch_execz .LBB152_55
.LBB152_49:                             ;   Parent Loop BB152_18 Depth=1
                                        ; =>  This Inner Loop Header: Depth=2
	global_load_b64 v[20:21], v[16:17], off
	s_waitcnt vmcnt(0)
	v_sub_co_u32 v20, vcc_lo, v20, s40
	v_subrev_co_ci_u32_e32 v21, vcc_lo, 0, v21, vcc_lo
	s_delay_alu instid0(VALU_DEP_1)
	v_cmp_lt_i64_e32 vcc_lo, v[20:21], v[10:11]
	v_cmp_lt_i64_e64 s10, v[20:21], v[8:9]
	s_xor_b32 s55, vcc_lo, -1
	s_delay_alu instid0(VALU_DEP_1) | instid1(SALU_CYCLE_1)
	s_or_b32 s56, s10, s55
	s_mov_b32 s10, 0
                                        ; implicit-def: $sgpr55
	s_and_saveexec_b32 s57, s56
	s_delay_alu instid0(SALU_CYCLE_1)
	s_xor_b32 s56, exec_lo, s57
; %bb.50:                               ;   in Loop: Header=BB152_49 Depth=2
	s_mov_b32 s55, -1
	s_and_b32 s10, vcc_lo, exec_lo
; %bb.51:                               ;   in Loop: Header=BB152_49 Depth=2
	s_and_not1_saveexec_b32 s56, s56
	s_cbranch_execz .LBB152_53
; %bb.52:                               ;   in Loop: Header=BB152_49 Depth=2
	global_load_b64 v[22:23], v[18:19], off offset:-4
	v_sub_nc_u32_e32 v24, v20, v8
	s_or_b32 s10, s10, exec_lo
	ds_store_b8 v24, v45 offset:16384
	v_lshlrev_b32_e32 v26, 3, v24
	s_waitcnt vmcnt(0)
	v_mul_f32_e64 v25, v23, -s53
	v_mul_f32_e32 v23, s52, v23
	s_delay_alu instid0(VALU_DEP_2) | instskip(NEXT) | instid1(VALU_DEP_2)
	v_fmac_f32_e32 v25, s52, v22
	v_fmac_f32_e32 v23, s53, v22
	ds_add_f32 v26, v25
	ds_add_f32 v26, v23 offset:4
.LBB152_53:                             ;   in Loop: Header=BB152_49 Depth=2
	s_or_b32 exec_lo, exec_lo, s56
	s_delay_alu instid0(SALU_CYCLE_1)
	s_and_not1_b32 s54, s54, exec_lo
	s_and_b32 s55, s55, exec_lo
	s_mov_b32 s56, -1
	s_or_b32 s54, s54, s55
	s_and_saveexec_b32 s55, s10
	s_cbranch_execz .LBB152_48
; %bb.54:                               ;   in Loop: Header=BB152_49 Depth=2
	v_add_co_u32 v14, vcc_lo, 0x200, v14
	v_add_co_ci_u32_e32 v15, vcc_lo, 0, v15, vcc_lo
	v_add_co_u32 v16, vcc_lo, 0x1000, v16
	v_add_co_ci_u32_e32 v17, vcc_lo, 0, v17, vcc_lo
	s_delay_alu instid0(VALU_DEP_3) | instskip(SKIP_1) | instid1(VALU_DEP_1)
	v_cmp_le_i64_e32 vcc_lo, s[12:13], v[14:15]
	v_add_co_u32 v18, s10, 0x1000, v18
	v_add_co_ci_u32_e64 v19, s10, 0, v19, s10
	s_and_not1_b32 s54, s54, exec_lo
	s_or_not1_b32 s56, vcc_lo, exec_lo
	s_branch .LBB152_48
.LBB152_55:                             ;   in Loop: Header=BB152_18 Depth=1
	s_or_b32 exec_lo, exec_lo, s39
	s_and_saveexec_b32 s10, s45
	s_delay_alu instid0(SALU_CYCLE_1)
	s_xor_b32 s10, exec_lo, s10
; %bb.56:                               ;   in Loop: Header=BB152_18 Depth=1
	v_cmp_lt_i64_e32 vcc_lo, v[20:21], v[12:13]
	v_dual_cndmask_b32 v13, v13, v21 :: v_dual_cndmask_b32 v12, v12, v20
; %bb.57:                               ;   in Loop: Header=BB152_18 Depth=1
	s_or_b32 exec_lo, exec_lo, s10
.LBB152_58:                             ;   in Loop: Header=BB152_18 Depth=1
	s_delay_alu instid0(SALU_CYCLE_1)
	s_or_b32 exec_lo, exec_lo, s11
.LBB152_59:                             ;   in Loop: Header=BB152_18 Depth=1
	ds_bpermute_b32 v10, v37, v12
	ds_bpermute_b32 v11, v37, v13
	s_waitcnt lgkmcnt(0)
	v_cmp_lt_i64_e32 vcc_lo, v[10:11], v[12:13]
	v_dual_cndmask_b32 v11, v13, v11 :: v_dual_cndmask_b32 v10, v12, v10
	ds_bpermute_b32 v13, v38, v11
	ds_bpermute_b32 v12, v38, v10
	s_waitcnt lgkmcnt(0)
	v_cmp_lt_i64_e32 vcc_lo, v[12:13], v[10:11]
	v_dual_cndmask_b32 v11, v11, v13 :: v_dual_cndmask_b32 v10, v10, v12
	;; [unrolled: 5-line block ×3, first 2 shown]
	ds_bpermute_b32 v13, v40, v11
	ds_bpermute_b32 v12, v40, v10
	s_and_saveexec_b32 s12, s1
	s_cbranch_execz .LBB152_64
; %bb.60:                               ;   in Loop: Header=BB152_18 Depth=1
	s_waitcnt lgkmcnt(0)
	v_cmp_lt_i64_e32 vcc_lo, v[12:13], v[10:11]
	s_mov_b32 s13, exec_lo
	s_mov_b64 s[10:11], -1
	v_dual_cndmask_b32 v11, v11, v13 :: v_dual_cndmask_b32 v10, v10, v12
.LBB152_61:                             ;   Parent Loop BB152_18 Depth=1
                                        ; =>  This Inner Loop Header: Depth=2
	s_ctz_i32_b32 s39, s13
	s_delay_alu instid0(VALU_DEP_1) | instid1(SALU_CYCLE_1)
	v_readlane_b32 s55, v11, s39
	s_delay_alu instid0(VALU_DEP_2) | instskip(NEXT) | instid1(VALU_DEP_1)
	v_readlane_b32 s54, v10, s39
	v_cmp_lt_u64_e64 s45, s[10:11], s[54:55]
	s_delay_alu instid0(VALU_DEP_1) | instskip(SKIP_3) | instid1(SALU_CYCLE_1)
	s_and_b32 s45, s45, exec_lo
	s_cselect_b32 s11, s11, s55
	s_cselect_b32 s10, s10, s54
	s_lshl_b32 s39, 1, s39
	s_and_not1_b32 s13, s13, s39
	s_delay_alu instid0(SALU_CYCLE_1)
	s_cmp_lg_u32 s13, 0
	s_cbranch_scc1 .LBB152_61
; %bb.62:                               ;   in Loop: Header=BB152_18 Depth=1
	v_mbcnt_lo_u32_b32 v10, exec_lo, 0
	s_mov_b32 s13, exec_lo
	s_delay_alu instid0(VALU_DEP_1)
	v_cmpx_eq_u32_e32 0, v10
	s_xor_b32 s13, exec_lo, s13
	s_cbranch_execz .LBB152_64
; %bb.63:                               ;   in Loop: Header=BB152_18 Depth=1
	v_dual_mov_b32 v10, s10 :: v_dual_mov_b32 v11, s11
	ds_min_u64 v1, v[10:11] offset:18432
.LBB152_64:                             ;   in Loop: Header=BB152_18 Depth=1
	s_or_b32 exec_lo, exec_lo, s12
	v_add_co_u32 v8, vcc_lo, v0, v8
	v_add_co_ci_u32_e32 v9, vcc_lo, v44, v9, vcc_lo
	s_waitcnt lgkmcnt(0)
	v_dual_mov_b32 v12, v43 :: v_dual_mov_b32 v13, v42
	s_mov_b32 s11, 0
	s_waitcnt_vscnt null, 0x0
	s_barrier
	buffer_gl0_inv
	s_branch .LBB152_66
.LBB152_65:                             ;   in Loop: Header=BB152_66 Depth=2
	s_or_b32 exec_lo, exec_lo, s10
	s_waitcnt lgkmcnt(0)
	s_waitcnt_vscnt null, 0x0
	s_barrier
	buffer_gl0_inv
	ds_load_b32 v10, v1 offset:28
	v_add_nc_u32_e32 v13, 0x200, v13
	v_add_co_u32 v8, vcc_lo, 0x200, v8
	v_add_co_ci_u32_e32 v9, vcc_lo, 0, v9, vcc_lo
	s_delay_alu instid0(VALU_DEP_3)
	v_cmp_lt_u32_e32 vcc_lo, 0x5ff, v13
	v_add_nc_u32_e32 v12, 0x1000, v12
	s_or_b32 s11, vcc_lo, s11
	s_waitcnt lgkmcnt(0)
	v_ashrrev_i32_e32 v11, 31, v10
	v_add_co_u32 v6, s10, v6, v10
	s_delay_alu instid0(VALU_DEP_1)
	v_add_co_ci_u32_e64 v7, s10, v7, v11, s10
	s_and_not1_b32 exec_lo, exec_lo, s11
	s_cbranch_execz .LBB152_17
.LBB152_66:                             ;   Parent Loop BB152_18 Depth=1
                                        ; =>  This Inner Loop Header: Depth=2
	ds_load_u8 v21, v13 offset:16896
	ds_load_b64 v[10:11], v12
	s_waitcnt lgkmcnt(0)
	s_barrier
	buffer_gl0_inv
	v_cmp_ne_u16_e32 vcc_lo, 0, v21
	s_bcnt1_i32_b32 s10, vcc_lo
	v_and_b32_e32 v22, vcc_lo, v5
	v_mov_b32_e32 v14, s10
	s_mov_b32 s10, exec_lo
	ds_store_b32 v41, v14
	s_waitcnt lgkmcnt(0)
	s_barrier
	buffer_gl0_inv
	ds_load_b128 v[14:17], v1
	ds_load_b96 v[18:20], v1 offset:16
	s_waitcnt lgkmcnt(1)
	v_cndmask_b32_e64 v14, v14, 0, s3
	v_cndmask_b32_e64 v15, v15, 0, s4
	;; [unrolled: 1-line block ×4, first 2 shown]
	s_waitcnt lgkmcnt(0)
	v_cndmask_b32_e64 v18, v18, 0, s7
	v_bcnt_u32_b32 v14, v22, v14
	s_delay_alu instid0(VALU_DEP_1) | instskip(SKIP_2) | instid1(VALU_DEP_3)
	v_add3_u32 v14, v14, v15, v16
	v_cndmask_b32_e64 v15, v19, 0, s8
	v_cndmask_b32_e64 v16, v20, 0, s9
	v_add3_u32 v14, v14, v17, v18
	v_and_b32_e32 v17, 1, v21
	s_delay_alu instid0(VALU_DEP_2) | instskip(NEXT) | instid1(VALU_DEP_2)
	v_add3_u32 v14, v14, v15, v16
	v_cmpx_eq_u32_e32 1, v17
	s_cbranch_execz .LBB152_68
; %bb.67:                               ;   in Loop: Header=BB152_66 Depth=2
	s_delay_alu instid0(VALU_DEP_2) | instskip(SKIP_1) | instid1(VALU_DEP_2)
	v_ashrrev_i32_e32 v16, 31, v14
	v_add_co_u32 v15, vcc_lo, v6, v14
	v_add_co_ci_u32_e32 v16, vcc_lo, v7, v16, vcc_lo
	s_delay_alu instid0(VALU_DEP_1) | instskip(NEXT) | instid1(VALU_DEP_1)
	v_lshlrev_b64 v[15:16], 3, v[15:16]
	v_add_co_u32 v17, vcc_lo, s26, v15
	s_delay_alu instid0(VALU_DEP_2)
	v_add_co_ci_u32_e32 v18, vcc_lo, s27, v16, vcc_lo
	v_add_co_u32 v15, vcc_lo, s43, v15
	v_add_co_ci_u32_e32 v16, vcc_lo, s44, v16, vcc_lo
	global_store_b64 v[17:18], v[8:9], off
	global_store_b64 v[15:16], v[10:11], off
.LBB152_68:                             ;   in Loop: Header=BB152_66 Depth=2
	s_or_b32 exec_lo, exec_lo, s10
	s_and_saveexec_b32 s10, s2
	s_cbranch_execz .LBB152_65
; %bb.69:                               ;   in Loop: Header=BB152_66 Depth=2
	ds_store_b32 v1, v14 offset:28
	s_branch .LBB152_65
.LBB152_70:
	s_endpgm
	.section	.rodata,"a",@progbits
	.p2align	6, 0x0
	.amdhsa_kernel _ZN9rocsparseL36csrgemm_fill_block_per_row_multipassILj512ELj16ELj2048ELj64Ell21rocsparse_complex_numIfEEEvT4_PKS3_S5_NS_24const_host_device_scalarIT5_EEPKT3_S5_PKS7_SB_S5_SD_S8_SB_S5_SD_SB_PS3_PS7_PS9_21rocsparse_index_base_SH_SH_SH_bbb
		.amdhsa_group_segment_fixed_size 18440
		.amdhsa_private_segment_fixed_size 0
		.amdhsa_kernarg_size 164
		.amdhsa_user_sgpr_count 15
		.amdhsa_user_sgpr_dispatch_ptr 0
		.amdhsa_user_sgpr_queue_ptr 0
		.amdhsa_user_sgpr_kernarg_segment_ptr 1
		.amdhsa_user_sgpr_dispatch_id 0
		.amdhsa_user_sgpr_private_segment_size 0
		.amdhsa_wavefront_size32 1
		.amdhsa_uses_dynamic_stack 0
		.amdhsa_enable_private_segment 0
		.amdhsa_system_sgpr_workgroup_id_x 1
		.amdhsa_system_sgpr_workgroup_id_y 0
		.amdhsa_system_sgpr_workgroup_id_z 0
		.amdhsa_system_sgpr_workgroup_info 0
		.amdhsa_system_vgpr_workitem_id 0
		.amdhsa_next_free_vgpr 49
		.amdhsa_next_free_sgpr 60
		.amdhsa_reserve_vcc 1
		.amdhsa_float_round_mode_32 0
		.amdhsa_float_round_mode_16_64 0
		.amdhsa_float_denorm_mode_32 3
		.amdhsa_float_denorm_mode_16_64 3
		.amdhsa_dx10_clamp 1
		.amdhsa_ieee_mode 1
		.amdhsa_fp16_overflow 0
		.amdhsa_workgroup_processor_mode 1
		.amdhsa_memory_ordered 1
		.amdhsa_forward_progress 0
		.amdhsa_shared_vgpr_count 0
		.amdhsa_exception_fp_ieee_invalid_op 0
		.amdhsa_exception_fp_denorm_src 0
		.amdhsa_exception_fp_ieee_div_zero 0
		.amdhsa_exception_fp_ieee_overflow 0
		.amdhsa_exception_fp_ieee_underflow 0
		.amdhsa_exception_fp_ieee_inexact 0
		.amdhsa_exception_int_div_zero 0
	.end_amdhsa_kernel
	.section	.text._ZN9rocsparseL36csrgemm_fill_block_per_row_multipassILj512ELj16ELj2048ELj64Ell21rocsparse_complex_numIfEEEvT4_PKS3_S5_NS_24const_host_device_scalarIT5_EEPKT3_S5_PKS7_SB_S5_SD_S8_SB_S5_SD_SB_PS3_PS7_PS9_21rocsparse_index_base_SH_SH_SH_bbb,"axG",@progbits,_ZN9rocsparseL36csrgemm_fill_block_per_row_multipassILj512ELj16ELj2048ELj64Ell21rocsparse_complex_numIfEEEvT4_PKS3_S5_NS_24const_host_device_scalarIT5_EEPKT3_S5_PKS7_SB_S5_SD_S8_SB_S5_SD_SB_PS3_PS7_PS9_21rocsparse_index_base_SH_SH_SH_bbb,comdat
.Lfunc_end152:
	.size	_ZN9rocsparseL36csrgemm_fill_block_per_row_multipassILj512ELj16ELj2048ELj64Ell21rocsparse_complex_numIfEEEvT4_PKS3_S5_NS_24const_host_device_scalarIT5_EEPKT3_S5_PKS7_SB_S5_SD_S8_SB_S5_SD_SB_PS3_PS7_PS9_21rocsparse_index_base_SH_SH_SH_bbb, .Lfunc_end152-_ZN9rocsparseL36csrgemm_fill_block_per_row_multipassILj512ELj16ELj2048ELj64Ell21rocsparse_complex_numIfEEEvT4_PKS3_S5_NS_24const_host_device_scalarIT5_EEPKT3_S5_PKS7_SB_S5_SD_S8_SB_S5_SD_SB_PS3_PS7_PS9_21rocsparse_index_base_SH_SH_SH_bbb
                                        ; -- End function
	.section	.AMDGPU.csdata,"",@progbits
; Kernel info:
; codeLenInByte = 3216
; NumSgprs: 62
; NumVgprs: 49
; ScratchSize: 0
; MemoryBound: 0
; FloatMode: 240
; IeeeMode: 1
; LDSByteSize: 18440 bytes/workgroup (compile time only)
; SGPRBlocks: 7
; VGPRBlocks: 6
; NumSGPRsForWavesPerEU: 62
; NumVGPRsForWavesPerEU: 49
; Occupancy: 16
; WaveLimiterHint : 1
; COMPUTE_PGM_RSRC2:SCRATCH_EN: 0
; COMPUTE_PGM_RSRC2:USER_SGPR: 15
; COMPUTE_PGM_RSRC2:TRAP_HANDLER: 0
; COMPUTE_PGM_RSRC2:TGID_X_EN: 1
; COMPUTE_PGM_RSRC2:TGID_Y_EN: 0
; COMPUTE_PGM_RSRC2:TGID_Z_EN: 0
; COMPUTE_PGM_RSRC2:TIDIG_COMP_CNT: 0
	.section	.text._ZN9rocsparseL26csrgemm_group_reduce_part2ILj256ELj11E21rocsparse_complex_numIdEllEEvT3_PKT2_PS3_Pij,"axG",@progbits,_ZN9rocsparseL26csrgemm_group_reduce_part2ILj256ELj11E21rocsparse_complex_numIdEllEEvT3_PKT2_PS3_Pij,comdat
	.globl	_ZN9rocsparseL26csrgemm_group_reduce_part2ILj256ELj11E21rocsparse_complex_numIdEllEEvT3_PKT2_PS3_Pij ; -- Begin function _ZN9rocsparseL26csrgemm_group_reduce_part2ILj256ELj11E21rocsparse_complex_numIdEllEEvT3_PKT2_PS3_Pij
	.p2align	8
	.type	_ZN9rocsparseL26csrgemm_group_reduce_part2ILj256ELj11E21rocsparse_complex_numIdEllEEvT3_PKT2_PS3_Pij,@function
_ZN9rocsparseL26csrgemm_group_reduce_part2ILj256ELj11E21rocsparse_complex_numIdEllEEvT3_PKT2_PS3_Pij: ; @_ZN9rocsparseL26csrgemm_group_reduce_part2ILj256ELj11E21rocsparse_complex_numIdEllEEvT3_PKT2_PS3_Pij
; %bb.0:
	s_clause 0x1
	s_load_b64 s[4:5], s[0:1], 0x0
	s_load_b64 s[2:3], s[0:1], 0x10
	v_mul_u32_u24_e32 v1, 11, v0
	v_mov_b32_e32 v2, 0
	s_mov_b32 s7, 0
	v_lshl_or_b32 v7, s15, 8, v0
	s_mov_b32 s6, s7
	v_lshlrev_b32_e32 v11, 3, v1
	v_mov_b32_e32 v1, v2
	s_mov_b32 s8, s7
	s_mov_b32 s9, s7
	v_mov_b32_e32 v3, s6
	v_dual_mov_b32 v5, s8 :: v_dual_mov_b32 v6, s9
	v_mov_b32_e32 v4, s7
	ds_store_b64 v11, v[1:2] offset:80
	v_mov_b32_e32 v1, v7
	s_mov_b32 s12, exec_lo
	ds_store_2addr_b64 v11, v[3:4], v[5:6] offset0:8 offset1:9
	ds_store_2addr_b64 v11, v[3:4], v[5:6] offset1:1
	ds_store_2addr_b64 v11, v[3:4], v[5:6] offset0:2 offset1:3
	ds_store_2addr_b64 v11, v[3:4], v[5:6] offset0:4 offset1:5
	;; [unrolled: 1-line block ×3, first 2 shown]
	s_waitcnt lgkmcnt(0)
	buffer_gl0_inv
	v_cmpx_gt_i64_e64 s[4:5], v[1:2]
	s_cbranch_execz .LBB153_43
; %bb.1:
	s_clause 0x3
	s_load_b32 s6, s[0:1], 0x20
	s_load_b64 s[8:9], s[0:1], 0x18
	s_load_b64 s[10:11], s[0:1], 0x8
	s_load_b32 s0, s[0:1], 0x28
	v_lshlrev_b64 v[3:4], 2, v[1:2]
	v_lshlrev_b64 v[5:6], 3, v[1:2]
	v_dual_mov_b32 v12, 6 :: v_dual_mov_b32 v13, 7
	v_dual_mov_b32 v14, 8 :: v_dual_mov_b32 v15, 9
	;; [unrolled: 1-line block ×6, first 2 shown]
	s_waitcnt lgkmcnt(0)
	s_cmp_lt_u32 s6, 0x18108
	v_add_co_u32 v3, vcc_lo, s8, v3
	s_cselect_b32 s1, -1, 0
	s_cmp_lt_u32 s6, 0x30108
	v_add_co_ci_u32_e32 v4, vcc_lo, s9, v4, vcc_lo
	s_cselect_b32 s13, -1, 0
	s_cmp_lt_u32 s6, 0x60108
	v_add_co_u32 v5, vcc_lo, s10, v5
	s_cselect_b32 s14, -1, 0
	s_cmp_lt_u32 s6, 0xc0108
	v_add_co_ci_u32_e32 v6, vcc_lo, s11, v6, vcc_lo
	s_cselect_b32 s16, -1, 0
	s_lshl_b32 s6, s0, 8
	s_xor_b32 s1, s1, -1
	s_lshl_b64 s[8:9], s[6:7], 2
	s_lshl_b64 s[10:11], s[6:7], 3
	s_xor_b32 s13, s13, -1
	s_xor_b32 s14, s14, -1
	;; [unrolled: 1-line block ×3, first 2 shown]
	s_branch .LBB153_3
.LBB153_2:                              ;   in Loop: Header=BB153_3 Depth=1
	s_or_b32 exec_lo, exec_lo, s0
	v_add_co_u32 v7, vcc_lo, v7, s6
	v_add_co_ci_u32_e32 v8, vcc_lo, 0, v8, vcc_lo
	v_add_co_u32 v3, vcc_lo, v3, s8
	v_add_co_ci_u32_e32 v4, vcc_lo, s9, v4, vcc_lo
	s_delay_alu instid0(VALU_DEP_3) | instskip(SKIP_1) | instid1(VALU_DEP_1)
	v_cmp_le_i64_e32 vcc_lo, s[4:5], v[7:8]
	v_add_co_u32 v5, s0, v5, s10
	v_add_co_ci_u32_e64 v6, s0, s11, v6, s0
	s_or_b32 s7, vcc_lo, s7
	s_delay_alu instid0(SALU_CYCLE_1)
	s_and_not1_b32 exec_lo, exec_lo, s7
	s_cbranch_execz .LBB153_43
.LBB153_3:                              ; =>This Inner Loop Header: Depth=1
	global_load_b128 v[22:25], v[5:6], off
	s_mov_b32 s0, exec_lo
	s_waitcnt vmcnt(0)
	v_sub_co_u32 v9, vcc_lo, v24, v22
	v_sub_co_ci_u32_e32 v10, vcc_lo, v25, v23, vcc_lo
	s_delay_alu instid0(VALU_DEP_1)
	v_cmpx_lt_i64_e32 16, v[9:10]
	s_xor_b32 s0, exec_lo, s0
	s_cbranch_execz .LBB153_41
; %bb.4:                                ;   in Loop: Header=BB153_3 Depth=1
	s_mov_b32 s17, exec_lo
	v_cmpx_lt_u64_e32 32, v[9:10]
	s_xor_b32 s17, exec_lo, s17
	s_cbranch_execz .LBB153_38
; %bb.5:                                ;   in Loop: Header=BB153_3 Depth=1
	s_mov_b32 s18, exec_lo
	v_cmpx_lt_u64_e32 0x100, v[9:10]
	;; [unrolled: 5-line block ×5, first 2 shown]
	s_xor_b32 s21, exec_lo, s21
	s_cbranch_execz .LBB153_26
; %bb.9:                                ;   in Loop: Header=BB153_3 Depth=1
	v_cmp_gt_u64_e32 vcc_lo, 0x1001, v[9:10]
	s_and_b32 s22, s1, vcc_lo
	s_delay_alu instid0(SALU_CYCLE_1) | instskip(NEXT) | instid1(SALU_CYCLE_1)
	s_and_saveexec_b32 s23, s22
	s_xor_b32 s22, exec_lo, s23
	s_cbranch_execz .LBB153_11
; %bb.10:                               ;   in Loop: Header=BB153_3 Depth=1
	ds_load_b64 v[9:10], v11 offset:48
	global_store_b32 v[3:4], v12, off
	s_waitcnt lgkmcnt(0)
	v_add_co_u32 v9, vcc_lo, v9, 1
	v_add_co_ci_u32_e32 v10, vcc_lo, 0, v10, vcc_lo
	ds_store_b64 v11, v[9:10] offset:48
                                        ; implicit-def: $vgpr9_vgpr10
.LBB153_11:                             ;   in Loop: Header=BB153_3 Depth=1
	s_and_not1_saveexec_b32 s22, s22
	s_cbranch_execz .LBB153_25
; %bb.12:                               ;   in Loop: Header=BB153_3 Depth=1
	v_cmp_gt_u64_e32 vcc_lo, 0x2001, v[9:10]
	s_and_b32 s23, s13, vcc_lo
	s_delay_alu instid0(SALU_CYCLE_1) | instskip(NEXT) | instid1(SALU_CYCLE_1)
	s_and_saveexec_b32 s24, s23
	s_xor_b32 s23, exec_lo, s24
	s_cbranch_execz .LBB153_14
; %bb.13:                               ;   in Loop: Header=BB153_3 Depth=1
	ds_load_b64 v[9:10], v11 offset:56
	global_store_b32 v[3:4], v13, off
	s_waitcnt lgkmcnt(0)
	v_add_co_u32 v9, vcc_lo, v9, 1
	v_add_co_ci_u32_e32 v10, vcc_lo, 0, v10, vcc_lo
	ds_store_b64 v11, v[9:10] offset:56
                                        ; implicit-def: $vgpr9_vgpr10
.LBB153_14:                             ;   in Loop: Header=BB153_3 Depth=1
	s_and_not1_saveexec_b32 s23, s23
	s_cbranch_execz .LBB153_24
; %bb.15:                               ;   in Loop: Header=BB153_3 Depth=1
	;; [unrolled: 18-line block ×3, first 2 shown]
	v_cmp_gt_u64_e32 vcc_lo, 0x8001, v[9:10]
	s_and_b32 s25, s16, vcc_lo
	s_delay_alu instid0(SALU_CYCLE_1) | instskip(NEXT) | instid1(SALU_CYCLE_1)
	s_and_saveexec_b32 s26, s25
	s_xor_b32 s25, exec_lo, s26
	s_cbranch_execz .LBB153_20
; %bb.19:                               ;   in Loop: Header=BB153_3 Depth=1
	ds_load_b64 v[9:10], v11 offset:72
	global_store_b32 v[3:4], v15, off
	s_waitcnt lgkmcnt(0)
	v_add_co_u32 v9, vcc_lo, v9, 1
	v_add_co_ci_u32_e32 v10, vcc_lo, 0, v10, vcc_lo
	ds_store_b64 v11, v[9:10] offset:72
.LBB153_20:                             ;   in Loop: Header=BB153_3 Depth=1
	s_and_not1_saveexec_b32 s25, s25
	s_cbranch_execz .LBB153_22
; %bb.21:                               ;   in Loop: Header=BB153_3 Depth=1
	ds_load_b64 v[9:10], v11 offset:80
	global_store_b32 v[3:4], v16, off
	s_waitcnt lgkmcnt(0)
	v_add_co_u32 v9, vcc_lo, v9, 1
	v_add_co_ci_u32_e32 v10, vcc_lo, 0, v10, vcc_lo
	ds_store_b64 v11, v[9:10] offset:80
.LBB153_22:                             ;   in Loop: Header=BB153_3 Depth=1
	s_or_b32 exec_lo, exec_lo, s25
.LBB153_23:                             ;   in Loop: Header=BB153_3 Depth=1
	s_delay_alu instid0(SALU_CYCLE_1)
	s_or_b32 exec_lo, exec_lo, s24
.LBB153_24:                             ;   in Loop: Header=BB153_3 Depth=1
	s_delay_alu instid0(SALU_CYCLE_1)
	s_or_b32 exec_lo, exec_lo, s23
.LBB153_25:                             ;   in Loop: Header=BB153_3 Depth=1
	s_delay_alu instid0(SALU_CYCLE_1)
	s_or_b32 exec_lo, exec_lo, s22
.LBB153_26:                             ;   in Loop: Header=BB153_3 Depth=1
	s_and_not1_saveexec_b32 s21, s21
	s_cbranch_execz .LBB153_28
; %bb.27:                               ;   in Loop: Header=BB153_3 Depth=1
	ds_load_b64 v[9:10], v11 offset:40
	global_store_b32 v[3:4], v17, off
	s_waitcnt lgkmcnt(0)
	v_add_co_u32 v9, vcc_lo, v9, 1
	v_add_co_ci_u32_e32 v10, vcc_lo, 0, v10, vcc_lo
	ds_store_b64 v11, v[9:10] offset:40
.LBB153_28:                             ;   in Loop: Header=BB153_3 Depth=1
	s_or_b32 exec_lo, exec_lo, s21
.LBB153_29:                             ;   in Loop: Header=BB153_3 Depth=1
	s_and_not1_saveexec_b32 s20, s20
	s_cbranch_execz .LBB153_31
; %bb.30:                               ;   in Loop: Header=BB153_3 Depth=1
	ds_load_b64 v[9:10], v11 offset:32
	global_store_b32 v[3:4], v18, off
	s_waitcnt lgkmcnt(0)
	v_add_co_u32 v9, vcc_lo, v9, 1
	v_add_co_ci_u32_e32 v10, vcc_lo, 0, v10, vcc_lo
	ds_store_b64 v11, v[9:10] offset:32
.LBB153_31:                             ;   in Loop: Header=BB153_3 Depth=1
	s_or_b32 exec_lo, exec_lo, s20
.LBB153_32:                             ;   in Loop: Header=BB153_3 Depth=1
	s_and_not1_saveexec_b32 s19, s19
	s_cbranch_execz .LBB153_34
; %bb.33:                               ;   in Loop: Header=BB153_3 Depth=1
	ds_load_b64 v[9:10], v11 offset:24
	global_store_b32 v[3:4], v19, off
	s_waitcnt lgkmcnt(0)
	v_add_co_u32 v9, vcc_lo, v9, 1
	v_add_co_ci_u32_e32 v10, vcc_lo, 0, v10, vcc_lo
	ds_store_b64 v11, v[9:10] offset:24
.LBB153_34:                             ;   in Loop: Header=BB153_3 Depth=1
	s_or_b32 exec_lo, exec_lo, s19
.LBB153_35:                             ;   in Loop: Header=BB153_3 Depth=1
	s_and_not1_saveexec_b32 s18, s18
	s_cbranch_execz .LBB153_37
; %bb.36:                               ;   in Loop: Header=BB153_3 Depth=1
	ds_load_b64 v[9:10], v11 offset:16
	global_store_b32 v[3:4], v20, off
	s_waitcnt lgkmcnt(0)
	v_add_co_u32 v9, vcc_lo, v9, 1
	v_add_co_ci_u32_e32 v10, vcc_lo, 0, v10, vcc_lo
	ds_store_b64 v11, v[9:10] offset:16
.LBB153_37:                             ;   in Loop: Header=BB153_3 Depth=1
	s_or_b32 exec_lo, exec_lo, s18
.LBB153_38:                             ;   in Loop: Header=BB153_3 Depth=1
	s_and_not1_saveexec_b32 s17, s17
	s_cbranch_execz .LBB153_40
; %bb.39:                               ;   in Loop: Header=BB153_3 Depth=1
	ds_load_b64 v[9:10], v11 offset:8
	global_store_b32 v[3:4], v21, off
	s_waitcnt lgkmcnt(0)
	v_add_co_u32 v9, vcc_lo, v9, 1
	v_add_co_ci_u32_e32 v10, vcc_lo, 0, v10, vcc_lo
	ds_store_b64 v11, v[9:10] offset:8
.LBB153_40:                             ;   in Loop: Header=BB153_3 Depth=1
	s_or_b32 exec_lo, exec_lo, s17
.LBB153_41:                             ;   in Loop: Header=BB153_3 Depth=1
	s_and_not1_saveexec_b32 s0, s0
	s_cbranch_execz .LBB153_2
; %bb.42:                               ;   in Loop: Header=BB153_3 Depth=1
	ds_load_b64 v[9:10], v11
	global_store_b32 v[3:4], v2, off
	s_waitcnt lgkmcnt(0)
	v_add_co_u32 v9, vcc_lo, v9, 1
	v_add_co_ci_u32_e32 v10, vcc_lo, 0, v10, vcc_lo
	ds_store_b64 v11, v[9:10]
	s_branch .LBB153_2
.LBB153_43:
	s_or_b32 exec_lo, exec_lo, s12
	s_delay_alu instid0(SALU_CYCLE_1)
	s_mov_b32 s0, exec_lo
	s_waitcnt lgkmcnt(0)
	s_waitcnt_vscnt null, 0x0
	s_barrier
	buffer_gl0_inv
	s_barrier
	buffer_gl0_inv
	;; [unrolled: 2-line block ×3, first 2 shown]
	v_cmpx_gt_u32_e32 0x80, v0
	s_cbranch_execz .LBB153_45
; %bb.44:
	v_add_nc_u32_e32 v1, 0x2c00, v11
	v_add_nc_u32_e32 v9, 0x2c10, v11
	;; [unrolled: 1-line block ×4, first 2 shown]
	ds_load_2addr_b64 v[1:4], v1 offset1:1
	ds_load_2addr_b64 v[5:8], v11 offset1:1
	ds_load_2addr_b64 v[12:15], v11 offset0:2 offset1:3
	ds_load_2addr_b64 v[16:19], v9 offset1:1
	v_add_nc_u32_e32 v9, 0x2c20, v11
	ds_load_2addr_b64 v[20:23], v11 offset0:4 offset1:5
	ds_load_2addr_b64 v[24:27], v11 offset0:6 offset1:7
	ds_load_2addr_b64 v[28:31], v9 offset1:1
	ds_load_2addr_b64 v[32:35], v10 offset1:1
	ds_load_2addr_b64 v[36:39], v11 offset0:8 offset1:9
	s_waitcnt lgkmcnt(7)
	v_add_co_u32 v9, vcc_lo, v5, v1
	v_add_co_ci_u32_e32 v10, vcc_lo, v6, v2, vcc_lo
	v_add_co_u32 v40, vcc_lo, v7, v3
	v_add_co_ci_u32_e32 v41, vcc_lo, v8, v4, vcc_lo
	ds_load_2addr_b64 v[1:4], v42 offset1:1
	v_add_nc_u32_e32 v5, 0x50, v11
	s_waitcnt lgkmcnt(6)
	v_add_co_u32 v12, vcc_lo, v12, v16
	v_add_co_ci_u32_e32 v13, vcc_lo, v13, v17, vcc_lo
	v_add_co_u32 v14, vcc_lo, v14, v18
	ds_load_2addr_stride64_b64 v[5:8], v5 offset1:22
	v_add_co_ci_u32_e32 v15, vcc_lo, v15, v19, vcc_lo
	s_waitcnt lgkmcnt(4)
	v_add_co_u32 v16, vcc_lo, v20, v28
	v_add_co_ci_u32_e32 v17, vcc_lo, v21, v29, vcc_lo
	v_add_co_u32 v18, vcc_lo, v22, v30
	v_add_co_ci_u32_e32 v19, vcc_lo, v23, v31, vcc_lo
	s_waitcnt lgkmcnt(3)
	v_add_co_u32 v20, vcc_lo, v24, v32
	v_add_co_ci_u32_e32 v21, vcc_lo, v25, v33, vcc_lo
	v_add_co_u32 v22, vcc_lo, v26, v34
	;; [unrolled: 5-line block ×3, first 2 shown]
	v_add_co_ci_u32_e32 v4, vcc_lo, v39, v4, vcc_lo
	s_waitcnt lgkmcnt(0)
	v_add_co_u32 v5, vcc_lo, v5, v7
	v_add_co_ci_u32_e32 v6, vcc_lo, v6, v8, vcc_lo
	ds_store_2addr_b64 v11, v[9:10], v[40:41] offset1:1
	ds_store_2addr_b64 v11, v[12:13], v[14:15] offset0:2 offset1:3
	ds_store_2addr_b64 v11, v[16:17], v[18:19] offset0:4 offset1:5
	;; [unrolled: 1-line block ×4, first 2 shown]
	ds_store_b64 v11, v[5:6] offset:80
.LBB153_45:
	s_or_b32 exec_lo, exec_lo, s0
	s_delay_alu instid0(SALU_CYCLE_1)
	s_mov_b32 s0, exec_lo
	s_waitcnt lgkmcnt(0)
	s_barrier
	buffer_gl0_inv
	v_cmpx_gt_u32_e32 64, v0
	s_cbranch_execz .LBB153_47
; %bb.46:
	v_add_nc_u32_e32 v1, 0x1600, v11
	v_add_nc_u32_e32 v9, 0x1610, v11
	;; [unrolled: 1-line block ×4, first 2 shown]
	ds_load_2addr_b64 v[1:4], v1 offset1:1
	ds_load_2addr_b64 v[5:8], v11 offset1:1
	ds_load_2addr_b64 v[12:15], v11 offset0:2 offset1:3
	ds_load_2addr_b64 v[16:19], v9 offset1:1
	v_add_nc_u32_e32 v9, 0x1620, v11
	ds_load_2addr_b64 v[20:23], v11 offset0:4 offset1:5
	ds_load_2addr_b64 v[24:27], v11 offset0:6 offset1:7
	ds_load_2addr_b64 v[28:31], v9 offset1:1
	ds_load_2addr_b64 v[32:35], v10 offset1:1
	ds_load_2addr_b64 v[36:39], v11 offset0:8 offset1:9
	s_waitcnt lgkmcnt(7)
	v_add_co_u32 v9, vcc_lo, v5, v1
	v_add_co_ci_u32_e32 v10, vcc_lo, v6, v2, vcc_lo
	v_add_co_u32 v40, vcc_lo, v7, v3
	v_add_co_ci_u32_e32 v41, vcc_lo, v8, v4, vcc_lo
	ds_load_2addr_b64 v[1:4], v42 offset1:1
	v_add_nc_u32_e32 v5, 0x50, v11
	s_waitcnt lgkmcnt(6)
	v_add_co_u32 v12, vcc_lo, v12, v16
	v_add_co_ci_u32_e32 v13, vcc_lo, v13, v17, vcc_lo
	v_add_co_u32 v14, vcc_lo, v14, v18
	ds_load_2addr_stride64_b64 v[5:8], v5 offset1:11
	v_add_co_ci_u32_e32 v15, vcc_lo, v15, v19, vcc_lo
	s_waitcnt lgkmcnt(4)
	v_add_co_u32 v16, vcc_lo, v20, v28
	v_add_co_ci_u32_e32 v17, vcc_lo, v21, v29, vcc_lo
	v_add_co_u32 v18, vcc_lo, v22, v30
	v_add_co_ci_u32_e32 v19, vcc_lo, v23, v31, vcc_lo
	s_waitcnt lgkmcnt(3)
	v_add_co_u32 v20, vcc_lo, v24, v32
	v_add_co_ci_u32_e32 v21, vcc_lo, v25, v33, vcc_lo
	v_add_co_u32 v22, vcc_lo, v26, v34
	;; [unrolled: 5-line block ×3, first 2 shown]
	v_add_co_ci_u32_e32 v4, vcc_lo, v39, v4, vcc_lo
	s_waitcnt lgkmcnt(0)
	v_add_co_u32 v5, vcc_lo, v5, v7
	v_add_co_ci_u32_e32 v6, vcc_lo, v6, v8, vcc_lo
	ds_store_2addr_b64 v11, v[9:10], v[40:41] offset1:1
	ds_store_2addr_b64 v11, v[12:13], v[14:15] offset0:2 offset1:3
	ds_store_2addr_b64 v11, v[16:17], v[18:19] offset0:4 offset1:5
	;; [unrolled: 1-line block ×4, first 2 shown]
	ds_store_b64 v11, v[5:6] offset:80
.LBB153_47:
	s_or_b32 exec_lo, exec_lo, s0
	s_delay_alu instid0(SALU_CYCLE_1)
	s_mov_b32 s0, exec_lo
	s_waitcnt lgkmcnt(0)
	s_barrier
	buffer_gl0_inv
	v_cmpx_gt_u32_e32 32, v0
	s_cbranch_execz .LBB153_49
; %bb.48:
	v_add_nc_u32_e32 v1, 0xb00, v11
	v_add_nc_u32_e32 v9, 0xb10, v11
	;; [unrolled: 1-line block ×4, first 2 shown]
	ds_load_2addr_b64 v[1:4], v1 offset1:1
	ds_load_2addr_b64 v[5:8], v11 offset1:1
	ds_load_2addr_b64 v[12:15], v11 offset0:2 offset1:3
	ds_load_2addr_b64 v[16:19], v9 offset1:1
	v_add_nc_u32_e32 v9, 0xb20, v11
	ds_load_2addr_b64 v[20:23], v11 offset0:4 offset1:5
	ds_load_2addr_b64 v[24:27], v11 offset0:6 offset1:7
	ds_load_2addr_b64 v[28:31], v9 offset1:1
	ds_load_2addr_b64 v[32:35], v10 offset1:1
	ds_load_b64 v[9:10], v11 offset:2896
	s_waitcnt lgkmcnt(7)
	v_add_co_u32 v36, vcc_lo, v5, v1
	v_add_co_ci_u32_e32 v37, vcc_lo, v6, v2, vcc_lo
	v_add_co_u32 v38, vcc_lo, v7, v3
	v_add_co_ci_u32_e32 v39, vcc_lo, v8, v4, vcc_lo
	ds_load_2addr_b64 v[1:4], v40 offset1:1
	ds_load_2addr_b64 v[5:8], v11 offset0:8 offset1:9
	s_waitcnt lgkmcnt(7)
	v_add_co_u32 v12, vcc_lo, v12, v16
	v_add_co_ci_u32_e32 v13, vcc_lo, v13, v17, vcc_lo
	v_add_co_u32 v14, vcc_lo, v14, v18
	v_add_co_ci_u32_e32 v15, vcc_lo, v15, v19, vcc_lo
	ds_load_b64 v[18:19], v11 offset:80
	s_waitcnt lgkmcnt(5)
	v_add_co_u32 v16, vcc_lo, v20, v28
	v_add_co_ci_u32_e32 v17, vcc_lo, v21, v29, vcc_lo
	v_add_co_u32 v20, vcc_lo, v22, v30
	v_add_co_ci_u32_e32 v21, vcc_lo, v23, v31, vcc_lo
	s_waitcnt lgkmcnt(4)
	v_add_co_u32 v22, vcc_lo, v24, v32
	v_add_co_ci_u32_e32 v23, vcc_lo, v25, v33, vcc_lo
	v_add_co_u32 v24, vcc_lo, v26, v34
	v_add_co_ci_u32_e32 v25, vcc_lo, v27, v35, vcc_lo
	;; [unrolled: 5-line block ×3, first 2 shown]
	s_waitcnt lgkmcnt(0)
	v_add_co_u32 v5, vcc_lo, v18, v9
	v_add_co_ci_u32_e32 v6, vcc_lo, v19, v10, vcc_lo
	ds_store_2addr_b64 v11, v[36:37], v[38:39] offset1:1
	ds_store_2addr_b64 v11, v[12:13], v[14:15] offset0:2 offset1:3
	ds_store_2addr_b64 v11, v[16:17], v[20:21] offset0:4 offset1:5
	;; [unrolled: 1-line block ×4, first 2 shown]
	ds_store_b64 v11, v[5:6] offset:80
.LBB153_49:
	s_or_b32 exec_lo, exec_lo, s0
	s_delay_alu instid0(SALU_CYCLE_1)
	s_mov_b32 s0, exec_lo
	s_waitcnt lgkmcnt(0)
	s_barrier
	buffer_gl0_inv
	v_cmpx_gt_u32_e32 16, v0
	s_cbranch_execz .LBB153_51
; %bb.50:
	ds_load_2addr_b64 v[1:4], v11 offset0:176 offset1:177
	ds_load_2addr_b64 v[5:8], v11 offset1:1
	ds_load_2addr_b64 v[12:15], v11 offset0:2 offset1:3
	ds_load_2addr_b64 v[16:19], v11 offset0:178 offset1:179
	ds_load_2addr_b64 v[20:23], v11 offset0:180 offset1:181
	ds_load_2addr_b64 v[24:27], v11 offset0:182 offset1:183
	ds_load_2addr_b64 v[28:31], v11 offset0:4 offset1:5
	ds_load_2addr_b64 v[32:35], v11 offset0:6 offset1:7
	ds_load_2addr_b64 v[36:39], v11 offset0:8 offset1:9
	s_waitcnt lgkmcnt(7)
	v_add_co_u32 v9, vcc_lo, v5, v1
	v_add_co_ci_u32_e32 v10, vcc_lo, v6, v2, vcc_lo
	v_add_co_u32 v40, vcc_lo, v7, v3
	v_add_co_ci_u32_e32 v41, vcc_lo, v8, v4, vcc_lo
	ds_load_2addr_b64 v[1:4], v11 offset0:184 offset1:185
	s_waitcnt lgkmcnt(6)
	v_add_co_u32 v12, vcc_lo, v12, v16
	v_add_co_ci_u32_e32 v13, vcc_lo, v13, v17, vcc_lo
	v_add_co_u32 v14, vcc_lo, v14, v18
	ds_load_2addr_b64 v[5:8], v11 offset0:10 offset1:186
	v_add_co_ci_u32_e32 v15, vcc_lo, v15, v19, vcc_lo
	s_waitcnt lgkmcnt(4)
	v_add_co_u32 v16, vcc_lo, v28, v20
	v_add_co_ci_u32_e32 v17, vcc_lo, v29, v21, vcc_lo
	v_add_co_u32 v18, vcc_lo, v30, v22
	v_add_co_ci_u32_e32 v19, vcc_lo, v31, v23, vcc_lo
	s_waitcnt lgkmcnt(3)
	v_add_co_u32 v20, vcc_lo, v32, v24
	v_add_co_ci_u32_e32 v21, vcc_lo, v33, v25, vcc_lo
	v_add_co_u32 v22, vcc_lo, v34, v26
	v_add_co_ci_u32_e32 v23, vcc_lo, v35, v27, vcc_lo
	s_waitcnt lgkmcnt(1)
	v_add_co_u32 v1, vcc_lo, v36, v1
	v_add_co_ci_u32_e32 v2, vcc_lo, v37, v2, vcc_lo
	v_add_co_u32 v3, vcc_lo, v38, v3
	v_add_co_ci_u32_e32 v4, vcc_lo, v39, v4, vcc_lo
	s_waitcnt lgkmcnt(0)
	v_add_co_u32 v5, vcc_lo, v5, v7
	v_add_co_ci_u32_e32 v6, vcc_lo, v6, v8, vcc_lo
	ds_store_2addr_b64 v11, v[9:10], v[40:41] offset1:1
	ds_store_2addr_b64 v11, v[12:13], v[14:15] offset0:2 offset1:3
	ds_store_2addr_b64 v11, v[16:17], v[18:19] offset0:4 offset1:5
	ds_store_2addr_b64 v11, v[20:21], v[22:23] offset0:6 offset1:7
	ds_store_2addr_b64 v11, v[1:2], v[3:4] offset0:8 offset1:9
	ds_store_b64 v11, v[5:6] offset:80
.LBB153_51:
	s_or_b32 exec_lo, exec_lo, s0
	s_delay_alu instid0(SALU_CYCLE_1)
	s_mov_b32 s0, exec_lo
	s_waitcnt lgkmcnt(0)
	s_barrier
	buffer_gl0_inv
	v_cmpx_gt_u32_e32 8, v0
	s_cbranch_execz .LBB153_53
; %bb.52:
	ds_load_2addr_b64 v[1:4], v11 offset0:88 offset1:89
	ds_load_2addr_b64 v[5:8], v11 offset1:1
	ds_load_2addr_b64 v[12:15], v11 offset0:2 offset1:3
	ds_load_2addr_b64 v[16:19], v11 offset0:90 offset1:91
	ds_load_2addr_b64 v[20:23], v11 offset0:92 offset1:93
	ds_load_2addr_b64 v[24:27], v11 offset0:94 offset1:95
	ds_load_2addr_b64 v[28:31], v11 offset0:4 offset1:5
	ds_load_2addr_b64 v[32:35], v11 offset0:6 offset1:7
	ds_load_2addr_b64 v[36:39], v11 offset0:8 offset1:9
	s_waitcnt lgkmcnt(7)
	v_add_co_u32 v9, vcc_lo, v5, v1
	v_add_co_ci_u32_e32 v10, vcc_lo, v6, v2, vcc_lo
	v_add_co_u32 v40, vcc_lo, v7, v3
	v_add_co_ci_u32_e32 v41, vcc_lo, v8, v4, vcc_lo
	ds_load_2addr_b64 v[1:4], v11 offset0:96 offset1:97
	s_waitcnt lgkmcnt(6)
	v_add_co_u32 v12, vcc_lo, v12, v16
	v_add_co_ci_u32_e32 v13, vcc_lo, v13, v17, vcc_lo
	v_add_co_u32 v14, vcc_lo, v14, v18
	ds_load_2addr_b64 v[5:8], v11 offset0:10 offset1:98
	v_add_co_ci_u32_e32 v15, vcc_lo, v15, v19, vcc_lo
	s_waitcnt lgkmcnt(4)
	v_add_co_u32 v16, vcc_lo, v28, v20
	v_add_co_ci_u32_e32 v17, vcc_lo, v29, v21, vcc_lo
	v_add_co_u32 v18, vcc_lo, v30, v22
	v_add_co_ci_u32_e32 v19, vcc_lo, v31, v23, vcc_lo
	s_waitcnt lgkmcnt(3)
	v_add_co_u32 v20, vcc_lo, v32, v24
	v_add_co_ci_u32_e32 v21, vcc_lo, v33, v25, vcc_lo
	v_add_co_u32 v22, vcc_lo, v34, v26
	v_add_co_ci_u32_e32 v23, vcc_lo, v35, v27, vcc_lo
	s_waitcnt lgkmcnt(1)
	v_add_co_u32 v1, vcc_lo, v36, v1
	v_add_co_ci_u32_e32 v2, vcc_lo, v37, v2, vcc_lo
	v_add_co_u32 v3, vcc_lo, v38, v3
	v_add_co_ci_u32_e32 v4, vcc_lo, v39, v4, vcc_lo
	s_waitcnt lgkmcnt(0)
	v_add_co_u32 v5, vcc_lo, v5, v7
	v_add_co_ci_u32_e32 v6, vcc_lo, v6, v8, vcc_lo
	ds_store_2addr_b64 v11, v[9:10], v[40:41] offset1:1
	ds_store_2addr_b64 v11, v[12:13], v[14:15] offset0:2 offset1:3
	ds_store_2addr_b64 v11, v[16:17], v[18:19] offset0:4 offset1:5
	ds_store_2addr_b64 v11, v[20:21], v[22:23] offset0:6 offset1:7
	ds_store_2addr_b64 v11, v[1:2], v[3:4] offset0:8 offset1:9
	ds_store_b64 v11, v[5:6] offset:80
.LBB153_53:
	;; [unrolled: 55-line block ×4, first 2 shown]
	s_or_b32 exec_lo, exec_lo, s0
	s_delay_alu instid0(SALU_CYCLE_1)
	s_mov_b32 s0, exec_lo
	s_waitcnt lgkmcnt(0)
	s_barrier
	buffer_gl0_inv
	v_cmpx_eq_u32_e32 0, v0
	s_cbranch_execz .LBB153_59
; %bb.58:
	v_mov_b32_e32 v41, 0
	ds_load_b128 v[1:4], v41 offset:80
	ds_load_b128 v[5:8], v41
	ds_load_b128 v[9:12], v41 offset:96
	ds_load_b128 v[13:16], v41 offset:16
	;; [unrolled: 1-line block ×8, first 2 shown]
	s_waitcnt lgkmcnt(8)
	v_add_co_u32 v3, vcc_lo, v5, v3
	v_add_co_ci_u32_e32 v4, vcc_lo, v6, v4, vcc_lo
	s_waitcnt lgkmcnt(7)
	v_add_co_u32 v5, vcc_lo, v7, v9
	v_add_co_ci_u32_e32 v6, vcc_lo, v8, v10, vcc_lo
	;; [unrolled: 3-line block ×3, first 2 shown]
	ds_load_b128 v[11:14], v41 offset:160
	s_waitcnt lgkmcnt(6)
	v_add_co_u32 v9, vcc_lo, v15, v17
	v_add_co_ci_u32_e32 v10, vcc_lo, v16, v18, vcc_lo
	s_waitcnt lgkmcnt(5)
	v_add_co_u32 v15, vcc_lo, v21, v19
	v_add_co_ci_u32_e32 v16, vcc_lo, v22, v20, vcc_lo
	;; [unrolled: 3-line block ×3, first 2 shown]
	v_add_co_u32 v19, vcc_lo, v25, v31
	v_add_co_ci_u32_e32 v20, vcc_lo, v26, v32, vcc_lo
	s_waitcnt lgkmcnt(2)
	v_add_co_u32 v21, vcc_lo, v27, v33
	v_add_co_ci_u32_e32 v22, vcc_lo, v28, v34, vcc_lo
	s_waitcnt lgkmcnt(1)
	;; [unrolled: 3-line block ×3, first 2 shown]
	v_add_co_u32 v25, vcc_lo, v39, v11
	v_add_co_ci_u32_e32 v26, vcc_lo, v40, v12, vcc_lo
	v_add_co_u32 v1, vcc_lo, v1, v13
	v_add_co_ci_u32_e32 v2, vcc_lo, v2, v14, vcc_lo
	ds_store_b128 v41, v[3:6]
	ds_store_b128 v41, v[7:10] offset:16
	ds_store_b128 v41, v[15:18] offset:32
	;; [unrolled: 1-line block ×4, first 2 shown]
	ds_store_b64 v41, v[1:2] offset:80
.LBB153_59:
	s_or_b32 exec_lo, exec_lo, s0
	s_waitcnt lgkmcnt(0)
	s_barrier
	buffer_gl0_inv
	s_mov_b32 s0, exec_lo
	v_cmpx_gt_u32_e32 11, v0
	s_cbranch_execz .LBB153_61
; %bb.60:
	v_lshlrev_b32_e32 v3, 3, v0
	v_mad_u64_u32 v[1:2], null, s15, 11, v[0:1]
	v_mov_b32_e32 v2, 0
	ds_load_b64 v[3:4], v3
	v_lshlrev_b64 v[0:1], 3, v[1:2]
	s_delay_alu instid0(VALU_DEP_1) | instskip(NEXT) | instid1(VALU_DEP_2)
	v_add_co_u32 v0, vcc_lo, s2, v0
	v_add_co_ci_u32_e32 v1, vcc_lo, s3, v1, vcc_lo
	s_waitcnt lgkmcnt(0)
	global_store_b64 v[0:1], v[3:4], off
.LBB153_61:
	s_nop 0
	s_sendmsg sendmsg(MSG_DEALLOC_VGPRS)
	s_endpgm
	.section	.rodata,"a",@progbits
	.p2align	6, 0x0
	.amdhsa_kernel _ZN9rocsparseL26csrgemm_group_reduce_part2ILj256ELj11E21rocsparse_complex_numIdEllEEvT3_PKT2_PS3_Pij
		.amdhsa_group_segment_fixed_size 22528
		.amdhsa_private_segment_fixed_size 0
		.amdhsa_kernarg_size 296
		.amdhsa_user_sgpr_count 15
		.amdhsa_user_sgpr_dispatch_ptr 0
		.amdhsa_user_sgpr_queue_ptr 0
		.amdhsa_user_sgpr_kernarg_segment_ptr 1
		.amdhsa_user_sgpr_dispatch_id 0
		.amdhsa_user_sgpr_private_segment_size 0
		.amdhsa_wavefront_size32 1
		.amdhsa_uses_dynamic_stack 0
		.amdhsa_enable_private_segment 0
		.amdhsa_system_sgpr_workgroup_id_x 1
		.amdhsa_system_sgpr_workgroup_id_y 0
		.amdhsa_system_sgpr_workgroup_id_z 0
		.amdhsa_system_sgpr_workgroup_info 0
		.amdhsa_system_vgpr_workitem_id 0
		.amdhsa_next_free_vgpr 43
		.amdhsa_next_free_sgpr 27
		.amdhsa_reserve_vcc 1
		.amdhsa_float_round_mode_32 0
		.amdhsa_float_round_mode_16_64 0
		.amdhsa_float_denorm_mode_32 3
		.amdhsa_float_denorm_mode_16_64 3
		.amdhsa_dx10_clamp 1
		.amdhsa_ieee_mode 1
		.amdhsa_fp16_overflow 0
		.amdhsa_workgroup_processor_mode 1
		.amdhsa_memory_ordered 1
		.amdhsa_forward_progress 0
		.amdhsa_shared_vgpr_count 0
		.amdhsa_exception_fp_ieee_invalid_op 0
		.amdhsa_exception_fp_denorm_src 0
		.amdhsa_exception_fp_ieee_div_zero 0
		.amdhsa_exception_fp_ieee_overflow 0
		.amdhsa_exception_fp_ieee_underflow 0
		.amdhsa_exception_fp_ieee_inexact 0
		.amdhsa_exception_int_div_zero 0
	.end_amdhsa_kernel
	.section	.text._ZN9rocsparseL26csrgemm_group_reduce_part2ILj256ELj11E21rocsparse_complex_numIdEllEEvT3_PKT2_PS3_Pij,"axG",@progbits,_ZN9rocsparseL26csrgemm_group_reduce_part2ILj256ELj11E21rocsparse_complex_numIdEllEEvT3_PKT2_PS3_Pij,comdat
.Lfunc_end153:
	.size	_ZN9rocsparseL26csrgemm_group_reduce_part2ILj256ELj11E21rocsparse_complex_numIdEllEEvT3_PKT2_PS3_Pij, .Lfunc_end153-_ZN9rocsparseL26csrgemm_group_reduce_part2ILj256ELj11E21rocsparse_complex_numIdEllEEvT3_PKT2_PS3_Pij
                                        ; -- End function
	.section	.AMDGPU.csdata,"",@progbits
; Kernel info:
; codeLenInByte = 4176
; NumSgprs: 29
; NumVgprs: 43
; ScratchSize: 0
; MemoryBound: 0
; FloatMode: 240
; IeeeMode: 1
; LDSByteSize: 22528 bytes/workgroup (compile time only)
; SGPRBlocks: 3
; VGPRBlocks: 5
; NumSGPRsForWavesPerEU: 29
; NumVGPRsForWavesPerEU: 43
; Occupancy: 10
; WaveLimiterHint : 0
; COMPUTE_PGM_RSRC2:SCRATCH_EN: 0
; COMPUTE_PGM_RSRC2:USER_SGPR: 15
; COMPUTE_PGM_RSRC2:TRAP_HANDLER: 0
; COMPUTE_PGM_RSRC2:TGID_X_EN: 1
; COMPUTE_PGM_RSRC2:TGID_Y_EN: 0
; COMPUTE_PGM_RSRC2:TGID_Z_EN: 0
; COMPUTE_PGM_RSRC2:TIDIG_COMP_CNT: 0
	.section	.text._ZN9rocsparseL23csrgemm_fill_wf_per_rowILj256ELj8ELj16ELj137Ell21rocsparse_complex_numIdEEEvT4_S3_PKS3_S5_NS_24const_host_device_scalarIT5_EEPKT3_S5_PKS7_SB_S5_SD_S8_SB_S5_SD_SB_PS3_PS7_21rocsparse_index_base_SG_SG_SG_bbb,"axG",@progbits,_ZN9rocsparseL23csrgemm_fill_wf_per_rowILj256ELj8ELj16ELj137Ell21rocsparse_complex_numIdEEEvT4_S3_PKS3_S5_NS_24const_host_device_scalarIT5_EEPKT3_S5_PKS7_SB_S5_SD_S8_SB_S5_SD_SB_PS3_PS7_21rocsparse_index_base_SG_SG_SG_bbb,comdat
	.globl	_ZN9rocsparseL23csrgemm_fill_wf_per_rowILj256ELj8ELj16ELj137Ell21rocsparse_complex_numIdEEEvT4_S3_PKS3_S5_NS_24const_host_device_scalarIT5_EEPKT3_S5_PKS7_SB_S5_SD_S8_SB_S5_SD_SB_PS3_PS7_21rocsparse_index_base_SG_SG_SG_bbb ; -- Begin function _ZN9rocsparseL23csrgemm_fill_wf_per_rowILj256ELj8ELj16ELj137Ell21rocsparse_complex_numIdEEEvT4_S3_PKS3_S5_NS_24const_host_device_scalarIT5_EEPKT3_S5_PKS7_SB_S5_SD_S8_SB_S5_SD_SB_PS3_PS7_21rocsparse_index_base_SG_SG_SG_bbb
	.p2align	8
	.type	_ZN9rocsparseL23csrgemm_fill_wf_per_rowILj256ELj8ELj16ELj137Ell21rocsparse_complex_numIdEEEvT4_S3_PKS3_S5_NS_24const_host_device_scalarIT5_EEPKT3_S5_PKS7_SB_S5_SD_S8_SB_S5_SD_SB_PS3_PS7_21rocsparse_index_base_SG_SG_SG_bbb,@function
_ZN9rocsparseL23csrgemm_fill_wf_per_rowILj256ELj8ELj16ELj137Ell21rocsparse_complex_numIdEEEvT4_S3_PKS3_S5_NS_24const_host_device_scalarIT5_EEPKT3_S5_PKS7_SB_S5_SD_S8_SB_S5_SD_SB_PS3_PS7_21rocsparse_index_base_SG_SG_SG_bbb: ; @_ZN9rocsparseL23csrgemm_fill_wf_per_rowILj256ELj8ELj16ELj137Ell21rocsparse_complex_numIdEEEvT4_S3_PKS3_S5_NS_24const_host_device_scalarIT5_EEPKT3_S5_PKS7_SB_S5_SD_S8_SB_S5_SD_SB_PS3_PS7_21rocsparse_index_base_SG_SG_SG_bbb
; %bb.0:
	s_load_b32 s14, s[2:3], 0xb0
	s_load_b64 s[8:9], s[0:1], 0x4
	s_clause 0x1
	s_load_b128 s[4:7], s[2:3], 0x20
	s_load_b128 s[44:47], s[2:3], 0x60
	v_dual_mov_b32 v4, 0 :: v_dual_and_b32 v1, 0x3ff, v0
	s_load_b128 s[24:27], s[2:3], 0xa0
	v_bfe_u32 v3, v0, 10, 10
	v_mov_b32_e32 v5, 0
	v_bfe_u32 v0, v0, 20, 10
	s_waitcnt lgkmcnt(0)
	s_bitcmp1_b32 s14, 0
	s_cselect_b32 s13, -1, 0
	s_bitcmp1_b32 s14, 16
	v_mov_b32_e32 v6, s44
	s_cselect_b32 s0, -1, 0
	s_lshr_b32 s1, s8, 16
	s_delay_alu instid0(SALU_CYCLE_1) | instskip(NEXT) | instid1(SALU_CYCLE_1)
	s_mul_i32 s1, s1, s9
	v_mul_lo_u32 v2, s1, v1
	s_xor_b32 s1, s0, -1
	s_bitcmp0_b32 s14, 0
	v_cndmask_b32_e64 v8, 0, 1, s1
	s_delay_alu instid0(VALU_DEP_2)
	v_mad_u32_u24 v9, v3, s9, v2
	v_dual_mov_b32 v2, s4 :: v_dual_mov_b32 v3, s5
	v_mov_b32_e32 v11, v5
	v_dual_mov_b32 v13, v5 :: v_dual_mov_b32 v12, v4
	v_dual_mov_b32 v7, s45 :: v_dual_mov_b32 v10, v4
	v_cmp_ne_u32_e32 vcc_lo, 1, v8
	v_add_lshl_u32 v0, v9, v0, 3
	ds_store_2addr_stride64_b64 v0, v[6:7], v[2:3] offset0:24 offset1:28
	s_cbranch_scc1 .LBB154_3
; %bb.1:
	s_mov_b64 s[8:9], src_shared_base
	s_and_b32 s8, s0, exec_lo
	s_cselect_b32 s8, s9, s5
	s_delay_alu instid0(SALU_CYCLE_1) | instskip(SKIP_2) | instid1(VALU_DEP_2)
	v_dual_mov_b32 v3, s8 :: v_dual_add_nc_u32 v2, 0x3800, v0
	v_dual_mov_b32 v13, s7 :: v_dual_mov_b32 v12, s6
	s_and_b32 vcc_lo, exec_lo, vcc_lo
	v_cndmask_b32_e64 v2, s4, v2, s0
	flat_load_b64 v[10:11], v[2:3]
	s_cbranch_vccnz .LBB154_3
; %bb.2:
	v_dual_mov_b32 v2, s4 :: v_dual_mov_b32 v3, s5
	flat_load_b64 v[12:13], v[2:3] offset:8
.LBB154_3:
	s_clause 0x4
	s_load_b128 s[28:31], s[2:3], 0x90
	s_load_b256 s[4:11], s[2:3], 0x70
	s_load_b128 s[36:39], s[2:3], 0x50
	s_load_b128 s[40:43], s[2:3], 0x10
	s_load_b256 s[16:23], s[2:3], 0x30
	s_bitcmp1_b32 s14, 8
	v_dual_mov_b32 v7, v5 :: v_dual_mov_b32 v6, v4
	s_cselect_b32 s12, -1, 0
	s_bfe_u32 s14, s14, 0x10008
	s_delay_alu instid0(SALU_CYCLE_1)
	s_cmp_eq_u32 s14, 0
	s_cbranch_scc1 .LBB154_6
; %bb.4:
	s_mov_b64 s[34:35], src_shared_base
	s_and_b32 s14, s0, exec_lo
	s_cselect_b32 s14, s35, s45
	s_delay_alu instid0(SALU_CYCLE_1) | instskip(SKIP_2) | instid1(VALU_DEP_2)
	v_dual_mov_b32 v3, s14 :: v_dual_add_nc_u32 v0, 0x3000, v0
	v_dual_mov_b32 v4, s46 :: v_dual_mov_b32 v5, s47
	s_and_not1_b32 vcc_lo, exec_lo, s1
	v_cndmask_b32_e64 v2, s44, v0, s0
	flat_load_b64 v[6:7], v[2:3]
	s_cbranch_vccnz .LBB154_6
; %bb.5:
	v_dual_mov_b32 v2, s44 :: v_dual_mov_b32 v3, s45
	flat_load_b64 v[4:5], v[2:3] offset:8
.LBB154_6:
	s_load_b128 s[0:3], s[2:3], 0x0
	v_lshrrev_b32_e32 v14, 3, v1
	v_dual_mov_b32 v0, 0 :: v_dual_and_b32 v35, 7, v1
	s_mov_b32 s14, 0
	s_delay_alu instid0(VALU_DEP_2) | instskip(NEXT) | instid1(VALU_DEP_2)
	v_lshlrev_b32_e32 v1, 7, v14
	v_lshlrev_b32_e32 v2, 3, v35
	;; [unrolled: 1-line block ×3, first 2 shown]
	v_or_b32_e32 v30, -8, v35
	s_delay_alu instid0(VALU_DEP_3) | instskip(NEXT) | instid1(VALU_DEP_3)
	v_or3_b32 v31, v1, v2, 0x2000
	v_lshl_or_b32 v32, v14, 8, v3
	v_mov_b32_e32 v1, v0
	v_mov_b32_e32 v2, v0
	;; [unrolled: 1-line block ×3, first 2 shown]
	s_delay_alu instid0(VALU_DEP_4)
	v_dual_mov_b32 v15, v31 :: v_dual_mov_b32 v16, v32
	v_mov_b32_e32 v17, v30
	s_waitcnt lgkmcnt(0)
	v_dual_mov_b32 v9, s3 :: v_dual_mov_b32 v8, s2
.LBB154_7:                              ; =>This Inner Loop Header: Depth=1
	s_delay_alu instid0(VALU_DEP_2) | instskip(NEXT) | instid1(VALU_DEP_1)
	v_add_co_u32 v17, s33, v17, 8
	s_xor_b32 s33, s33, -1
	ds_store_b64 v15, v[8:9]
	ds_store_b128 v16, v[0:3]
	v_add_nc_u32_e32 v16, 0x80, v16
	v_add_nc_u32_e32 v15, 64, v15
	s_and_b32 s33, exec_lo, s33
	s_delay_alu instid0(SALU_CYCLE_1) | instskip(NEXT) | instid1(SALU_CYCLE_1)
	s_or_b32 s14, s33, s14
	s_and_not1_b32 exec_lo, exec_lo, s14
	s_cbranch_execnz .LBB154_7
; %bb.8:
	s_or_b32 exec_lo, exec_lo, s14
	s_lshl_b32 s14, s15, 5
	v_mov_b32_e32 v1, 0
	v_and_or_b32 v0, 0x1fffffe0, s14, v14
	s_waitcnt vmcnt(0) lgkmcnt(0)
	buffer_gl0_inv
	v_cmp_gt_i64_e32 vcc_lo, s[0:1], v[0:1]
	s_and_saveexec_b32 s0, vcc_lo
	s_cbranch_execz .LBB154_68
; %bb.9:
	s_cmp_eq_u64 s[42:43], 0
	s_cbranch_scc1 .LBB154_11
; %bb.10:
	s_load_b64 s[0:1], s[40:41], 0x0
	v_lshlrev_b32_e32 v0, 3, v0
	s_waitcnt lgkmcnt(0)
	s_lshl_b64 s[0:1], s[0:1], 3
	s_delay_alu instid0(SALU_CYCLE_1)
	s_add_u32 s0, s42, s0
	s_addc_u32 s1, s43, s1
	global_load_b64 v[0:1], v0, s[0:1]
.LBB154_11:
	s_waitcnt vmcnt(0)
	v_lshlrev_b64 v[8:9], 3, v[0:1]
	v_lshl_or_b32 v33, v14, 7, 0x2000
	v_lshlrev_b32_e32 v34, 8, v14
	s_and_not1_b32 vcc_lo, exec_lo, s13
	s_cbranch_vccnz .LBB154_39
; %bb.12:
	s_delay_alu instid0(VALU_DEP_3) | instskip(SKIP_2) | instid1(VALU_DEP_1)
	v_add_co_u32 v0, vcc_lo, s16, v8
	v_add_co_ci_u32_e32 v1, vcc_lo, s17, v9, vcc_lo
	v_sub_co_u32 v16, s0, v35, s24
	v_sub_co_ci_u32_e64 v17, null, 0, 0, s0
	global_load_b128 v[0:3], v[0:1], off
	s_mov_b32 s1, 0
	s_mov_b32 s0, exec_lo
	s_waitcnt vmcnt(0)
	v_sub_co_u32 v14, vcc_lo, v2, s24
	v_subrev_co_ci_u32_e32 v15, vcc_lo, 0, v3, vcc_lo
	v_add_co_u32 v16, vcc_lo, v0, v16
	v_add_co_ci_u32_e32 v17, vcc_lo, v1, v17, vcc_lo
	s_delay_alu instid0(VALU_DEP_1)
	v_cmpx_lt_i64_e64 v[16:17], v[14:15]
	s_cbranch_execz .LBB154_38
; %bb.13:
	s_mov_b32 s13, s25
	s_branch .LBB154_15
.LBB154_14:                             ;   in Loop: Header=BB154_15 Depth=1
	s_or_b32 exec_lo, exec_lo, s14
	v_add_co_u32 v16, vcc_lo, v16, 8
	v_add_co_ci_u32_e32 v17, vcc_lo, 0, v17, vcc_lo
	s_delay_alu instid0(VALU_DEP_1) | instskip(SKIP_1) | instid1(SALU_CYCLE_1)
	v_cmp_ge_i64_e32 vcc_lo, v[16:17], v[14:15]
	s_or_b32 s1, vcc_lo, s1
	s_and_not1_b32 exec_lo, exec_lo, s1
	s_cbranch_execz .LBB154_38
.LBB154_15:                             ; =>This Loop Header: Depth=1
                                        ;     Child Loop BB154_18 Depth 2
                                        ;       Child Loop BB154_20 Depth 3
                                        ;         Child Loop BB154_26 Depth 4
                                        ;         Child Loop BB154_28 Depth 4
	;; [unrolled: 1-line block ×4, first 2 shown]
	v_lshlrev_b64 v[0:1], 3, v[16:17]
	s_mov_b32 s14, exec_lo
	s_delay_alu instid0(VALU_DEP_1) | instskip(NEXT) | instid1(VALU_DEP_2)
	v_add_co_u32 v0, vcc_lo, s18, v0
	v_add_co_ci_u32_e32 v1, vcc_lo, s19, v1, vcc_lo
	global_load_b64 v[0:1], v[0:1], off
	s_waitcnt vmcnt(0)
	v_sub_co_u32 v0, vcc_lo, v0, s24
	v_subrev_co_ci_u32_e32 v1, vcc_lo, 0, v1, vcc_lo
	s_delay_alu instid0(VALU_DEP_1) | instskip(NEXT) | instid1(VALU_DEP_1)
	v_lshlrev_b64 v[0:1], 3, v[0:1]
	v_add_co_u32 v0, vcc_lo, s22, v0
	s_delay_alu instid0(VALU_DEP_2)
	v_add_co_ci_u32_e32 v1, vcc_lo, s23, v1, vcc_lo
	global_load_b128 v[0:3], v[0:1], off
	s_waitcnt vmcnt(0)
	v_cmpx_lt_i64_e64 v[0:1], v[2:3]
	s_cbranch_execz .LBB154_14
; %bb.16:                               ;   in Loop: Header=BB154_15 Depth=1
	v_lshlrev_b64 v[18:19], 4, v[16:17]
	s_mov_b32 s15, 0
	s_delay_alu instid0(VALU_DEP_1) | instskip(NEXT) | instid1(VALU_DEP_2)
	v_add_co_u32 v18, vcc_lo, s20, v18
	v_add_co_ci_u32_e32 v19, vcc_lo, s21, v19, vcc_lo
	v_sub_co_u32 v2, vcc_lo, v2, s13
	v_subrev_co_ci_u32_e32 v3, vcc_lo, 0, v3, vcc_lo
	global_load_b128 v[20:23], v[18:19], off
	v_sub_co_u32 v0, vcc_lo, v0, s13
	v_subrev_co_ci_u32_e32 v1, vcc_lo, 0, v1, vcc_lo
	s_waitcnt vmcnt(0)
	v_mul_f64 v[18:19], v[22:23], -v[12:13]
	v_mul_f64 v[22:23], v[10:11], v[22:23]
	s_delay_alu instid0(VALU_DEP_2) | instskip(NEXT) | instid1(VALU_DEP_2)
	v_fma_f64 v[18:19], v[10:11], v[20:21], v[18:19]
	v_fma_f64 v[20:21], v[12:13], v[20:21], v[22:23]
	s_branch .LBB154_18
.LBB154_17:                             ;   in Loop: Header=BB154_18 Depth=2
	s_or_b32 exec_lo, exec_lo, s16
	v_add_co_u32 v0, vcc_lo, v0, 1
	v_add_co_ci_u32_e32 v1, vcc_lo, 0, v1, vcc_lo
	s_delay_alu instid0(VALU_DEP_1) | instskip(SKIP_1) | instid1(SALU_CYCLE_1)
	v_cmp_ge_i64_e32 vcc_lo, v[0:1], v[2:3]
	s_or_b32 s15, vcc_lo, s15
	s_and_not1_b32 exec_lo, exec_lo, s15
	s_cbranch_execz .LBB154_14
.LBB154_18:                             ;   Parent Loop BB154_15 Depth=1
                                        ; =>  This Loop Header: Depth=2
                                        ;       Child Loop BB154_20 Depth 3
                                        ;         Child Loop BB154_26 Depth 4
                                        ;         Child Loop BB154_28 Depth 4
	;; [unrolled: 1-line block ×4, first 2 shown]
	v_lshlrev_b64 v[22:23], 4, v[0:1]
	s_mov_b32 s16, 0
	s_delay_alu instid0(VALU_DEP_1) | instskip(NEXT) | instid1(VALU_DEP_2)
	v_add_co_u32 v22, vcc_lo, s38, v22
	v_add_co_ci_u32_e32 v23, vcc_lo, s39, v23, vcc_lo
	global_load_b128 v[24:27], v[22:23], off
	v_lshlrev_b64 v[22:23], 3, v[0:1]
	s_delay_alu instid0(VALU_DEP_1) | instskip(NEXT) | instid1(VALU_DEP_2)
	v_add_co_u32 v22, vcc_lo, s36, v22
	v_add_co_ci_u32_e32 v23, vcc_lo, s37, v23, vcc_lo
	global_load_b64 v[28:29], v[22:23], off
	s_waitcnt vmcnt(1)
	v_mul_f64 v[22:23], v[26:27], -v[20:21]
	v_mul_f64 v[26:27], v[18:19], v[26:27]
	s_delay_alu instid0(VALU_DEP_2) | instskip(NEXT) | instid1(VALU_DEP_2)
	v_fma_f64 v[22:23], v[18:19], v[24:25], v[22:23]
	v_fma_f64 v[24:25], v[20:21], v[24:25], v[26:27]
	s_waitcnt vmcnt(0)
	v_sub_co_u32 v26, vcc_lo, v28, s13
	v_subrev_co_ci_u32_e32 v27, vcc_lo, 0, v29, vcc_lo
	s_delay_alu instid0(VALU_DEP_2) | instskip(NEXT) | instid1(VALU_DEP_1)
	v_lshl_add_u32 v28, v26, 3, v26
	v_and_b32_e32 v36, 15, v28
	s_branch .LBB154_20
.LBB154_19:                             ;   in Loop: Header=BB154_20 Depth=3
	s_or_b32 exec_lo, exec_lo, s17
	s_xor_b32 s17, s25, -1
	s_delay_alu instid0(SALU_CYCLE_1) | instskip(NEXT) | instid1(SALU_CYCLE_1)
	s_and_b32 s17, exec_lo, s17
	s_or_b32 s16, s17, s16
	s_delay_alu instid0(SALU_CYCLE_1)
	s_and_not1_b32 exec_lo, exec_lo, s16
	s_cbranch_execz .LBB154_17
.LBB154_20:                             ;   Parent Loop BB154_15 Depth=1
                                        ;     Parent Loop BB154_18 Depth=2
                                        ; =>    This Loop Header: Depth=3
                                        ;         Child Loop BB154_26 Depth 4
                                        ;         Child Loop BB154_28 Depth 4
	;; [unrolled: 1-line block ×4, first 2 shown]
	s_delay_alu instid0(VALU_DEP_1)
	v_lshl_add_u32 v37, v36, 3, v33
	s_mov_b32 s17, exec_lo
                                        ; implicit-def: $sgpr25
	ds_load_b64 v[28:29], v37
	s_waitcnt lgkmcnt(0)
	v_cmpx_ne_u64_e64 v[28:29], v[26:27]
	s_xor_b32 s17, exec_lo, s17
	s_cbranch_execz .LBB154_32
; %bb.21:                               ;   in Loop: Header=BB154_20 Depth=3
	s_mov_b32 s33, exec_lo
                                        ; implicit-def: $sgpr25
	v_cmpx_ne_u64_e64 s[2:3], v[28:29]
	s_xor_b32 s33, exec_lo, s33
; %bb.22:                               ;   in Loop: Header=BB154_20 Depth=3
	v_add_nc_u32_e32 v28, 1, v36
	s_mov_b32 s25, -1
                                        ; implicit-def: $vgpr37
	s_delay_alu instid0(VALU_DEP_1)
	v_and_b32_e32 v36, 15, v28
; %bb.23:                               ;   in Loop: Header=BB154_20 Depth=3
	s_and_not1_saveexec_b32 s33, s33
	s_cbranch_execz .LBB154_31
; %bb.24:                               ;   in Loop: Header=BB154_20 Depth=3
	v_dual_mov_b32 v29, s3 :: v_dual_mov_b32 v28, s2
	s_mov_b32 s35, -1
	s_mov_b32 s34, exec_lo
	ds_cmpstore_rtn_b64 v[28:29], v37, v[26:27], v[28:29]
	s_waitcnt lgkmcnt(0)
	v_cmpx_eq_u64_e64 s[2:3], v[28:29]
	s_cbranch_execz .LBB154_30
; %bb.25:                               ;   in Loop: Header=BB154_20 Depth=3
	v_lshl_add_u32 v37, v36, 4, v34
	s_mov_b32 s35, 0
	ds_load_b64 v[28:29], v37
.LBB154_26:                             ;   Parent Loop BB154_15 Depth=1
                                        ;     Parent Loop BB154_18 Depth=2
                                        ;       Parent Loop BB154_20 Depth=3
                                        ; =>      This Inner Loop Header: Depth=4
	s_waitcnt lgkmcnt(0)
	v_add_f64 v[38:39], v[28:29], v[22:23]
	ds_cmpstore_rtn_b64 v[38:39], v37, v[38:39], v[28:29]
	s_waitcnt lgkmcnt(0)
	v_cmp_eq_u64_e32 vcc_lo, v[38:39], v[28:29]
	v_dual_mov_b32 v28, v38 :: v_dual_mov_b32 v29, v39
	s_or_b32 s35, vcc_lo, s35
	s_delay_alu instid0(SALU_CYCLE_1)
	s_and_not1_b32 exec_lo, exec_lo, s35
	s_cbranch_execnz .LBB154_26
; %bb.27:                               ;   in Loop: Header=BB154_20 Depth=3
	s_or_b32 exec_lo, exec_lo, s35
	ds_load_b64 v[28:29], v37 offset:8
	s_mov_b32 s35, 0
.LBB154_28:                             ;   Parent Loop BB154_15 Depth=1
                                        ;     Parent Loop BB154_18 Depth=2
                                        ;       Parent Loop BB154_20 Depth=3
                                        ; =>      This Inner Loop Header: Depth=4
	s_waitcnt lgkmcnt(0)
	v_add_f64 v[38:39], v[28:29], v[24:25]
	ds_cmpstore_rtn_b64 v[38:39], v37, v[38:39], v[28:29] offset:8
	s_waitcnt lgkmcnt(0)
	v_cmp_eq_u64_e32 vcc_lo, v[38:39], v[28:29]
	v_dual_mov_b32 v28, v38 :: v_dual_mov_b32 v29, v39
	s_or_b32 s35, vcc_lo, s35
	s_delay_alu instid0(SALU_CYCLE_1)
	s_and_not1_b32 exec_lo, exec_lo, s35
	s_cbranch_execnz .LBB154_28
; %bb.29:                               ;   in Loop: Header=BB154_20 Depth=3
	s_or_b32 exec_lo, exec_lo, s35
	s_delay_alu instid0(SALU_CYCLE_1)
	s_xor_b32 s35, exec_lo, -1
.LBB154_30:                             ;   in Loop: Header=BB154_20 Depth=3
	s_or_b32 exec_lo, exec_lo, s34
	s_delay_alu instid0(SALU_CYCLE_1) | instskip(SKIP_1) | instid1(SALU_CYCLE_1)
	s_and_not1_b32 s25, s25, exec_lo
	s_and_b32 s34, s35, exec_lo
	s_or_b32 s25, s25, s34
.LBB154_31:                             ;   in Loop: Header=BB154_20 Depth=3
	s_or_b32 exec_lo, exec_lo, s33
	s_delay_alu instid0(SALU_CYCLE_1)
	s_and_b32 s25, s25, exec_lo
.LBB154_32:                             ;   in Loop: Header=BB154_20 Depth=3
	s_and_not1_saveexec_b32 s17, s17
	s_cbranch_execz .LBB154_19
; %bb.33:                               ;   in Loop: Header=BB154_20 Depth=3
	v_lshl_add_u32 v37, v36, 4, v34
	s_mov_b32 s33, 0
	ds_load_b64 v[28:29], v37
.LBB154_34:                             ;   Parent Loop BB154_15 Depth=1
                                        ;     Parent Loop BB154_18 Depth=2
                                        ;       Parent Loop BB154_20 Depth=3
                                        ; =>      This Inner Loop Header: Depth=4
	s_waitcnt lgkmcnt(0)
	v_add_f64 v[38:39], v[28:29], v[22:23]
	ds_cmpstore_rtn_b64 v[38:39], v37, v[38:39], v[28:29]
	s_waitcnt lgkmcnt(0)
	v_cmp_eq_u64_e32 vcc_lo, v[38:39], v[28:29]
	v_dual_mov_b32 v28, v38 :: v_dual_mov_b32 v29, v39
	s_or_b32 s33, vcc_lo, s33
	s_delay_alu instid0(SALU_CYCLE_1)
	s_and_not1_b32 exec_lo, exec_lo, s33
	s_cbranch_execnz .LBB154_34
; %bb.35:                               ;   in Loop: Header=BB154_20 Depth=3
	s_or_b32 exec_lo, exec_lo, s33
	ds_load_b64 v[28:29], v37 offset:8
	s_mov_b32 s33, 0
.LBB154_36:                             ;   Parent Loop BB154_15 Depth=1
                                        ;     Parent Loop BB154_18 Depth=2
                                        ;       Parent Loop BB154_20 Depth=3
                                        ; =>      This Inner Loop Header: Depth=4
	s_waitcnt lgkmcnt(0)
	v_add_f64 v[38:39], v[28:29], v[24:25]
	ds_cmpstore_rtn_b64 v[38:39], v37, v[38:39], v[28:29] offset:8
	s_waitcnt lgkmcnt(0)
	v_cmp_eq_u64_e32 vcc_lo, v[38:39], v[28:29]
	v_dual_mov_b32 v28, v38 :: v_dual_mov_b32 v29, v39
	s_or_b32 s33, vcc_lo, s33
	s_delay_alu instid0(SALU_CYCLE_1)
	s_and_not1_b32 exec_lo, exec_lo, s33
	s_cbranch_execnz .LBB154_36
; %bb.37:                               ;   in Loop: Header=BB154_20 Depth=3
	s_or_b32 exec_lo, exec_lo, s33
	s_delay_alu instid0(SALU_CYCLE_1)
	s_and_not1_b32 s25, s25, exec_lo
	s_branch .LBB154_19
.LBB154_38:
	s_or_b32 exec_lo, exec_lo, s0
.LBB154_39:
	s_delay_alu instid0(SALU_CYCLE_1)
	s_and_not1_b32 vcc_lo, exec_lo, s12
	s_cbranch_vccnz .LBB154_64
; %bb.40:
	v_add_co_u32 v0, vcc_lo, s4, v8
	v_add_co_ci_u32_e32 v1, vcc_lo, s5, v9, vcc_lo
	v_sub_co_u32 v2, s0, v35, s27
	s_delay_alu instid0(VALU_DEP_1)
	v_sub_co_ci_u32_e64 v3, null, 0, 0, s0
	global_load_b128 v[10:13], v[0:1], off
	s_mov_b32 s0, 0
	s_mov_b32 s1, exec_lo
	s_waitcnt vmcnt(0)
	v_sub_co_u32 v0, vcc_lo, v12, s27
	v_subrev_co_ci_u32_e32 v1, vcc_lo, 0, v13, vcc_lo
	v_add_co_u32 v2, vcc_lo, v10, v2
	v_add_co_ci_u32_e32 v3, vcc_lo, v11, v3, vcc_lo
	s_delay_alu instid0(VALU_DEP_1)
	v_cmpx_lt_i64_e64 v[2:3], v[0:1]
	s_cbranch_execz .LBB154_63
; %bb.41:
	s_mov_b32 s4, s27
	s_branch .LBB154_43
.LBB154_42:                             ;   in Loop: Header=BB154_43 Depth=1
	s_or_b32 exec_lo, exec_lo, s5
	v_add_co_u32 v2, vcc_lo, v2, 8
	v_add_co_ci_u32_e32 v3, vcc_lo, 0, v3, vcc_lo
	s_delay_alu instid0(VALU_DEP_1) | instskip(SKIP_1) | instid1(SALU_CYCLE_1)
	v_cmp_ge_i64_e32 vcc_lo, v[2:3], v[0:1]
	s_or_b32 s0, vcc_lo, s0
	s_and_not1_b32 exec_lo, exec_lo, s0
	s_cbranch_execz .LBB154_63
.LBB154_43:                             ; =>This Loop Header: Depth=1
                                        ;     Child Loop BB154_45 Depth 2
                                        ;       Child Loop BB154_51 Depth 3
                                        ;       Child Loop BB154_53 Depth 3
	;; [unrolled: 1-line block ×4, first 2 shown]
	v_lshlrev_b64 v[10:11], 4, v[2:3]
	s_mov_b32 s5, 0
	s_delay_alu instid0(VALU_DEP_1) | instskip(NEXT) | instid1(VALU_DEP_2)
	v_add_co_u32 v10, vcc_lo, s8, v10
	v_add_co_ci_u32_e32 v11, vcc_lo, s9, v11, vcc_lo
	global_load_b128 v[12:15], v[10:11], off
	v_lshlrev_b64 v[10:11], 3, v[2:3]
	s_delay_alu instid0(VALU_DEP_1) | instskip(NEXT) | instid1(VALU_DEP_2)
	v_add_co_u32 v10, vcc_lo, s6, v10
	v_add_co_ci_u32_e32 v11, vcc_lo, s7, v11, vcc_lo
	global_load_b64 v[16:17], v[10:11], off
	s_waitcnt vmcnt(1)
	v_mul_f64 v[10:11], v[14:15], -v[4:5]
	v_mul_f64 v[14:15], v[6:7], v[14:15]
	s_delay_alu instid0(VALU_DEP_2) | instskip(NEXT) | instid1(VALU_DEP_2)
	v_fma_f64 v[10:11], v[6:7], v[12:13], v[10:11]
	v_fma_f64 v[12:13], v[4:5], v[12:13], v[14:15]
	s_waitcnt vmcnt(0)
	v_sub_co_u32 v14, vcc_lo, v16, s4
	v_subrev_co_ci_u32_e32 v15, vcc_lo, 0, v17, vcc_lo
	s_delay_alu instid0(VALU_DEP_2) | instskip(NEXT) | instid1(VALU_DEP_1)
	v_lshl_add_u32 v16, v14, 3, v14
	v_and_b32_e32 v18, 15, v16
	s_branch .LBB154_45
.LBB154_44:                             ;   in Loop: Header=BB154_45 Depth=2
	s_or_b32 exec_lo, exec_lo, s12
	s_xor_b32 s12, s13, -1
	s_delay_alu instid0(SALU_CYCLE_1) | instskip(NEXT) | instid1(SALU_CYCLE_1)
	s_and_b32 s12, exec_lo, s12
	s_or_b32 s5, s12, s5
	s_delay_alu instid0(SALU_CYCLE_1)
	s_and_not1_b32 exec_lo, exec_lo, s5
	s_cbranch_execz .LBB154_42
.LBB154_45:                             ;   Parent Loop BB154_43 Depth=1
                                        ; =>  This Loop Header: Depth=2
                                        ;       Child Loop BB154_51 Depth 3
                                        ;       Child Loop BB154_53 Depth 3
	;; [unrolled: 1-line block ×4, first 2 shown]
	s_delay_alu instid0(VALU_DEP_1)
	v_lshl_add_u32 v19, v18, 3, v33
	s_mov_b32 s12, exec_lo
                                        ; implicit-def: $sgpr13
	ds_load_b64 v[16:17], v19
	s_waitcnt lgkmcnt(0)
	v_cmpx_ne_u64_e64 v[16:17], v[14:15]
	s_xor_b32 s12, exec_lo, s12
	s_cbranch_execz .LBB154_57
; %bb.46:                               ;   in Loop: Header=BB154_45 Depth=2
	s_mov_b32 s14, exec_lo
                                        ; implicit-def: $sgpr13
	v_cmpx_ne_u64_e64 s[2:3], v[16:17]
	s_xor_b32 s14, exec_lo, s14
; %bb.47:                               ;   in Loop: Header=BB154_45 Depth=2
	v_add_nc_u32_e32 v16, 1, v18
	s_mov_b32 s13, -1
                                        ; implicit-def: $vgpr19
	s_delay_alu instid0(VALU_DEP_1)
	v_and_b32_e32 v18, 15, v16
; %bb.48:                               ;   in Loop: Header=BB154_45 Depth=2
	s_and_not1_saveexec_b32 s14, s14
	s_cbranch_execz .LBB154_56
; %bb.49:                               ;   in Loop: Header=BB154_45 Depth=2
	v_dual_mov_b32 v17, s3 :: v_dual_mov_b32 v16, s2
	s_mov_b32 s16, -1
	s_mov_b32 s15, exec_lo
	ds_cmpstore_rtn_b64 v[16:17], v19, v[14:15], v[16:17]
	s_waitcnt lgkmcnt(0)
	v_cmpx_eq_u64_e64 s[2:3], v[16:17]
	s_cbranch_execz .LBB154_55
; %bb.50:                               ;   in Loop: Header=BB154_45 Depth=2
	v_lshl_add_u32 v19, v18, 4, v34
	s_mov_b32 s16, 0
	ds_load_b64 v[16:17], v19
.LBB154_51:                             ;   Parent Loop BB154_43 Depth=1
                                        ;     Parent Loop BB154_45 Depth=2
                                        ; =>    This Inner Loop Header: Depth=3
	s_waitcnt lgkmcnt(0)
	v_add_f64 v[20:21], v[16:17], v[10:11]
	ds_cmpstore_rtn_b64 v[20:21], v19, v[20:21], v[16:17]
	s_waitcnt lgkmcnt(0)
	v_cmp_eq_u64_e32 vcc_lo, v[20:21], v[16:17]
	v_dual_mov_b32 v16, v20 :: v_dual_mov_b32 v17, v21
	s_or_b32 s16, vcc_lo, s16
	s_delay_alu instid0(SALU_CYCLE_1)
	s_and_not1_b32 exec_lo, exec_lo, s16
	s_cbranch_execnz .LBB154_51
; %bb.52:                               ;   in Loop: Header=BB154_45 Depth=2
	s_or_b32 exec_lo, exec_lo, s16
	ds_load_b64 v[16:17], v19 offset:8
	s_mov_b32 s16, 0
.LBB154_53:                             ;   Parent Loop BB154_43 Depth=1
                                        ;     Parent Loop BB154_45 Depth=2
                                        ; =>    This Inner Loop Header: Depth=3
	s_waitcnt lgkmcnt(0)
	v_add_f64 v[20:21], v[16:17], v[12:13]
	ds_cmpstore_rtn_b64 v[20:21], v19, v[20:21], v[16:17] offset:8
	s_waitcnt lgkmcnt(0)
	v_cmp_eq_u64_e32 vcc_lo, v[20:21], v[16:17]
	v_dual_mov_b32 v16, v20 :: v_dual_mov_b32 v17, v21
	s_or_b32 s16, vcc_lo, s16
	s_delay_alu instid0(SALU_CYCLE_1)
	s_and_not1_b32 exec_lo, exec_lo, s16
	s_cbranch_execnz .LBB154_53
; %bb.54:                               ;   in Loop: Header=BB154_45 Depth=2
	s_or_b32 exec_lo, exec_lo, s16
	s_delay_alu instid0(SALU_CYCLE_1)
	s_xor_b32 s16, exec_lo, -1
.LBB154_55:                             ;   in Loop: Header=BB154_45 Depth=2
	s_or_b32 exec_lo, exec_lo, s15
	s_delay_alu instid0(SALU_CYCLE_1) | instskip(SKIP_1) | instid1(SALU_CYCLE_1)
	s_and_not1_b32 s13, s13, exec_lo
	s_and_b32 s15, s16, exec_lo
	s_or_b32 s13, s13, s15
.LBB154_56:                             ;   in Loop: Header=BB154_45 Depth=2
	s_or_b32 exec_lo, exec_lo, s14
	s_delay_alu instid0(SALU_CYCLE_1)
	s_and_b32 s13, s13, exec_lo
.LBB154_57:                             ;   in Loop: Header=BB154_45 Depth=2
	s_and_not1_saveexec_b32 s12, s12
	s_cbranch_execz .LBB154_44
; %bb.58:                               ;   in Loop: Header=BB154_45 Depth=2
	v_lshl_add_u32 v19, v18, 4, v34
	s_mov_b32 s14, 0
	ds_load_b64 v[16:17], v19
.LBB154_59:                             ;   Parent Loop BB154_43 Depth=1
                                        ;     Parent Loop BB154_45 Depth=2
                                        ; =>    This Inner Loop Header: Depth=3
	s_waitcnt lgkmcnt(0)
	v_add_f64 v[20:21], v[16:17], v[10:11]
	ds_cmpstore_rtn_b64 v[20:21], v19, v[20:21], v[16:17]
	s_waitcnt lgkmcnt(0)
	v_cmp_eq_u64_e32 vcc_lo, v[20:21], v[16:17]
	v_dual_mov_b32 v16, v20 :: v_dual_mov_b32 v17, v21
	s_or_b32 s14, vcc_lo, s14
	s_delay_alu instid0(SALU_CYCLE_1)
	s_and_not1_b32 exec_lo, exec_lo, s14
	s_cbranch_execnz .LBB154_59
; %bb.60:                               ;   in Loop: Header=BB154_45 Depth=2
	s_or_b32 exec_lo, exec_lo, s14
	ds_load_b64 v[16:17], v19 offset:8
	s_mov_b32 s14, 0
.LBB154_61:                             ;   Parent Loop BB154_43 Depth=1
                                        ;     Parent Loop BB154_45 Depth=2
                                        ; =>    This Inner Loop Header: Depth=3
	s_waitcnt lgkmcnt(0)
	v_add_f64 v[20:21], v[16:17], v[12:13]
	ds_cmpstore_rtn_b64 v[20:21], v19, v[20:21], v[16:17] offset:8
	s_waitcnt lgkmcnt(0)
	v_cmp_eq_u64_e32 vcc_lo, v[20:21], v[16:17]
	v_dual_mov_b32 v16, v20 :: v_dual_mov_b32 v17, v21
	s_or_b32 s14, vcc_lo, s14
	s_delay_alu instid0(SALU_CYCLE_1)
	s_and_not1_b32 exec_lo, exec_lo, s14
	s_cbranch_execnz .LBB154_61
; %bb.62:                               ;   in Loop: Header=BB154_45 Depth=2
	s_or_b32 exec_lo, exec_lo, s14
	s_delay_alu instid0(SALU_CYCLE_1)
	s_and_not1_b32 s13, s13, exec_lo
	s_branch .LBB154_44
.LBB154_63:
	s_or_b32 exec_lo, exec_lo, s1
.LBB154_64:
	v_add_co_u32 v0, vcc_lo, s10, v8
	v_add_co_ci_u32_e32 v1, vcc_lo, s11, v9, vcc_lo
	buffer_gl0_inv
	s_mov_b32 s0, 0
	global_load_b64 v[0:1], v[0:1], off
	s_waitcnt vmcnt(0)
	v_sub_co_u32 v2, vcc_lo, v0, s26
	v_subrev_co_ci_u32_e32 v3, vcc_lo, 0, v1, vcc_lo
	s_branch .LBB154_66
.LBB154_65:                             ;   in Loop: Header=BB154_66 Depth=1
	s_or_b32 exec_lo, exec_lo, s1
	v_add_co_u32 v30, s1, v30, 8
	s_delay_alu instid0(VALU_DEP_1) | instskip(SKIP_3) | instid1(SALU_CYCLE_1)
	s_xor_b32 s1, s1, -1
	v_add_nc_u32_e32 v32, 0x80, v32
	v_add_nc_u32_e32 v31, 64, v31
	s_and_b32 s1, exec_lo, s1
	s_or_b32 s0, s1, s0
	s_delay_alu instid0(SALU_CYCLE_1)
	s_and_not1_b32 exec_lo, exec_lo, s0
	s_cbranch_execz .LBB154_68
.LBB154_66:                             ; =>This Inner Loop Header: Depth=1
	ds_load_b64 v[0:1], v31
	s_mov_b32 s1, exec_lo
	s_waitcnt lgkmcnt(0)
	v_cmpx_gt_i64_e64 s[2:3], v[0:1]
	s_cbranch_execz .LBB154_65
; %bb.67:                               ;   in Loop: Header=BB154_66 Depth=1
	ds_load_b128 v[4:7], v33
	ds_load_b128 v[8:11], v33 offset:16
	ds_load_b128 v[12:15], v33 offset:32
	;; [unrolled: 1-line block ×7, first 2 shown]
	s_waitcnt lgkmcnt(7)
	v_cmp_gt_i64_e32 vcc_lo, v[0:1], v[4:5]
	v_cndmask_b32_e64 v4, 0, 1, vcc_lo
	v_cmp_gt_i64_e32 vcc_lo, v[0:1], v[6:7]
	v_cndmask_b32_e64 v5, 0, 1, vcc_lo
	s_delay_alu instid0(VALU_DEP_3)
	v_add_co_u32 v4, vcc_lo, v2, v4
	v_add_co_ci_u32_e32 v6, vcc_lo, 0, v3, vcc_lo
	s_waitcnt lgkmcnt(6)
	v_cmp_gt_i64_e32 vcc_lo, v[0:1], v[8:9]
	v_cndmask_b32_e64 v7, 0, 1, vcc_lo
	v_add_co_u32 v4, vcc_lo, v4, v5
	v_add_co_ci_u32_e32 v5, vcc_lo, 0, v6, vcc_lo
	v_cmp_gt_i64_e32 vcc_lo, v[0:1], v[10:11]
	v_cndmask_b32_e64 v6, 0, 1, vcc_lo
	s_delay_alu instid0(VALU_DEP_4) | instskip(NEXT) | instid1(VALU_DEP_4)
	v_add_co_u32 v4, vcc_lo, v4, v7
	v_add_co_ci_u32_e32 v5, vcc_lo, 0, v5, vcc_lo
	s_waitcnt lgkmcnt(5)
	v_cmp_gt_i64_e32 vcc_lo, v[0:1], v[12:13]
	v_cndmask_b32_e64 v7, 0, 1, vcc_lo
	v_add_co_u32 v4, vcc_lo, v4, v6
	v_add_co_ci_u32_e32 v5, vcc_lo, 0, v5, vcc_lo
	v_cmp_gt_i64_e32 vcc_lo, v[0:1], v[14:15]
	v_cndmask_b32_e64 v6, 0, 1, vcc_lo
	s_delay_alu instid0(VALU_DEP_4) | instskip(NEXT) | instid1(VALU_DEP_4)
	;; [unrolled: 10-line block ×7, first 2 shown]
	v_add_co_u32 v4, vcc_lo, v4, v7
	v_add_co_ci_u32_e32 v5, vcc_lo, 0, v5, vcc_lo
	s_delay_alu instid0(VALU_DEP_2) | instskip(NEXT) | instid1(VALU_DEP_2)
	v_add_co_u32 v8, vcc_lo, v4, v6
	v_add_co_ci_u32_e32 v9, vcc_lo, 0, v5, vcc_lo
	ds_load_2addr_b64 v[4:7], v32 offset1:1
	v_add_co_u32 v0, vcc_lo, v0, s26
	v_lshlrev_b64 v[10:11], 3, v[8:9]
	v_lshlrev_b64 v[8:9], 4, v[8:9]
	v_add_co_ci_u32_e32 v1, vcc_lo, 0, v1, vcc_lo
	s_delay_alu instid0(VALU_DEP_3) | instskip(NEXT) | instid1(VALU_DEP_4)
	v_add_co_u32 v10, vcc_lo, s28, v10
	v_add_co_ci_u32_e32 v11, vcc_lo, s29, v11, vcc_lo
	s_delay_alu instid0(VALU_DEP_4)
	v_add_co_u32 v8, vcc_lo, s30, v8
	v_add_co_ci_u32_e32 v9, vcc_lo, s31, v9, vcc_lo
	global_store_b64 v[10:11], v[0:1], off
	s_waitcnt lgkmcnt(0)
	global_store_b128 v[8:9], v[4:7], off
	s_branch .LBB154_65
.LBB154_68:
	s_nop 0
	s_sendmsg sendmsg(MSG_DEALLOC_VGPRS)
	s_endpgm
	.section	.rodata,"a",@progbits
	.p2align	6, 0x0
	.amdhsa_kernel _ZN9rocsparseL23csrgemm_fill_wf_per_rowILj256ELj8ELj16ELj137Ell21rocsparse_complex_numIdEEEvT4_S3_PKS3_S5_NS_24const_host_device_scalarIT5_EEPKT3_S5_PKS7_SB_S5_SD_S8_SB_S5_SD_SB_PS3_PS7_21rocsparse_index_base_SG_SG_SG_bbb
		.amdhsa_group_segment_fixed_size 16384
		.amdhsa_private_segment_fixed_size 0
		.amdhsa_kernarg_size 180
		.amdhsa_user_sgpr_count 15
		.amdhsa_user_sgpr_dispatch_ptr 1
		.amdhsa_user_sgpr_queue_ptr 0
		.amdhsa_user_sgpr_kernarg_segment_ptr 1
		.amdhsa_user_sgpr_dispatch_id 0
		.amdhsa_user_sgpr_private_segment_size 0
		.amdhsa_wavefront_size32 1
		.amdhsa_uses_dynamic_stack 0
		.amdhsa_enable_private_segment 0
		.amdhsa_system_sgpr_workgroup_id_x 1
		.amdhsa_system_sgpr_workgroup_id_y 0
		.amdhsa_system_sgpr_workgroup_id_z 0
		.amdhsa_system_sgpr_workgroup_info 0
		.amdhsa_system_vgpr_workitem_id 2
		.amdhsa_next_free_vgpr 42
		.amdhsa_next_free_sgpr 48
		.amdhsa_reserve_vcc 1
		.amdhsa_float_round_mode_32 0
		.amdhsa_float_round_mode_16_64 0
		.amdhsa_float_denorm_mode_32 3
		.amdhsa_float_denorm_mode_16_64 3
		.amdhsa_dx10_clamp 1
		.amdhsa_ieee_mode 1
		.amdhsa_fp16_overflow 0
		.amdhsa_workgroup_processor_mode 1
		.amdhsa_memory_ordered 1
		.amdhsa_forward_progress 0
		.amdhsa_shared_vgpr_count 0
		.amdhsa_exception_fp_ieee_invalid_op 0
		.amdhsa_exception_fp_denorm_src 0
		.amdhsa_exception_fp_ieee_div_zero 0
		.amdhsa_exception_fp_ieee_overflow 0
		.amdhsa_exception_fp_ieee_underflow 0
		.amdhsa_exception_fp_ieee_inexact 0
		.amdhsa_exception_int_div_zero 0
	.end_amdhsa_kernel
	.section	.text._ZN9rocsparseL23csrgemm_fill_wf_per_rowILj256ELj8ELj16ELj137Ell21rocsparse_complex_numIdEEEvT4_S3_PKS3_S5_NS_24const_host_device_scalarIT5_EEPKT3_S5_PKS7_SB_S5_SD_S8_SB_S5_SD_SB_PS3_PS7_21rocsparse_index_base_SG_SG_SG_bbb,"axG",@progbits,_ZN9rocsparseL23csrgemm_fill_wf_per_rowILj256ELj8ELj16ELj137Ell21rocsparse_complex_numIdEEEvT4_S3_PKS3_S5_NS_24const_host_device_scalarIT5_EEPKT3_S5_PKS7_SB_S5_SD_S8_SB_S5_SD_SB_PS3_PS7_21rocsparse_index_base_SG_SG_SG_bbb,comdat
.Lfunc_end154:
	.size	_ZN9rocsparseL23csrgemm_fill_wf_per_rowILj256ELj8ELj16ELj137Ell21rocsparse_complex_numIdEEEvT4_S3_PKS3_S5_NS_24const_host_device_scalarIT5_EEPKT3_S5_PKS7_SB_S5_SD_S8_SB_S5_SD_SB_PS3_PS7_21rocsparse_index_base_SG_SG_SG_bbb, .Lfunc_end154-_ZN9rocsparseL23csrgemm_fill_wf_per_rowILj256ELj8ELj16ELj137Ell21rocsparse_complex_numIdEEEvT4_S3_PKS3_S5_NS_24const_host_device_scalarIT5_EEPKT3_S5_PKS7_SB_S5_SD_S8_SB_S5_SD_SB_PS3_PS7_21rocsparse_index_base_SG_SG_SG_bbb
                                        ; -- End function
	.section	.AMDGPU.csdata,"",@progbits
; Kernel info:
; codeLenInByte = 3320
; NumSgprs: 50
; NumVgprs: 42
; ScratchSize: 0
; MemoryBound: 0
; FloatMode: 240
; IeeeMode: 1
; LDSByteSize: 16384 bytes/workgroup (compile time only)
; SGPRBlocks: 6
; VGPRBlocks: 5
; NumSGPRsForWavesPerEU: 50
; NumVGPRsForWavesPerEU: 42
; Occupancy: 16
; WaveLimiterHint : 1
; COMPUTE_PGM_RSRC2:SCRATCH_EN: 0
; COMPUTE_PGM_RSRC2:USER_SGPR: 15
; COMPUTE_PGM_RSRC2:TRAP_HANDLER: 0
; COMPUTE_PGM_RSRC2:TGID_X_EN: 1
; COMPUTE_PGM_RSRC2:TGID_Y_EN: 0
; COMPUTE_PGM_RSRC2:TGID_Z_EN: 0
; COMPUTE_PGM_RSRC2:TIDIG_COMP_CNT: 2
	.section	.text._ZN9rocsparseL23csrgemm_fill_wf_per_rowILj256ELj16ELj32ELj137Ell21rocsparse_complex_numIdEEEvT4_S3_PKS3_S5_NS_24const_host_device_scalarIT5_EEPKT3_S5_PKS7_SB_S5_SD_S8_SB_S5_SD_SB_PS3_PS7_21rocsparse_index_base_SG_SG_SG_bbb,"axG",@progbits,_ZN9rocsparseL23csrgemm_fill_wf_per_rowILj256ELj16ELj32ELj137Ell21rocsparse_complex_numIdEEEvT4_S3_PKS3_S5_NS_24const_host_device_scalarIT5_EEPKT3_S5_PKS7_SB_S5_SD_S8_SB_S5_SD_SB_PS3_PS7_21rocsparse_index_base_SG_SG_SG_bbb,comdat
	.globl	_ZN9rocsparseL23csrgemm_fill_wf_per_rowILj256ELj16ELj32ELj137Ell21rocsparse_complex_numIdEEEvT4_S3_PKS3_S5_NS_24const_host_device_scalarIT5_EEPKT3_S5_PKS7_SB_S5_SD_S8_SB_S5_SD_SB_PS3_PS7_21rocsparse_index_base_SG_SG_SG_bbb ; -- Begin function _ZN9rocsparseL23csrgemm_fill_wf_per_rowILj256ELj16ELj32ELj137Ell21rocsparse_complex_numIdEEEvT4_S3_PKS3_S5_NS_24const_host_device_scalarIT5_EEPKT3_S5_PKS7_SB_S5_SD_S8_SB_S5_SD_SB_PS3_PS7_21rocsparse_index_base_SG_SG_SG_bbb
	.p2align	8
	.type	_ZN9rocsparseL23csrgemm_fill_wf_per_rowILj256ELj16ELj32ELj137Ell21rocsparse_complex_numIdEEEvT4_S3_PKS3_S5_NS_24const_host_device_scalarIT5_EEPKT3_S5_PKS7_SB_S5_SD_S8_SB_S5_SD_SB_PS3_PS7_21rocsparse_index_base_SG_SG_SG_bbb,@function
_ZN9rocsparseL23csrgemm_fill_wf_per_rowILj256ELj16ELj32ELj137Ell21rocsparse_complex_numIdEEEvT4_S3_PKS3_S5_NS_24const_host_device_scalarIT5_EEPKT3_S5_PKS7_SB_S5_SD_S8_SB_S5_SD_SB_PS3_PS7_21rocsparse_index_base_SG_SG_SG_bbb: ; @_ZN9rocsparseL23csrgemm_fill_wf_per_rowILj256ELj16ELj32ELj137Ell21rocsparse_complex_numIdEEEvT4_S3_PKS3_S5_NS_24const_host_device_scalarIT5_EEPKT3_S5_PKS7_SB_S5_SD_S8_SB_S5_SD_SB_PS3_PS7_21rocsparse_index_base_SG_SG_SG_bbb
; %bb.0:
	s_load_b32 s14, s[2:3], 0xb0
	s_load_b64 s[8:9], s[0:1], 0x4
	s_clause 0x1
	s_load_b128 s[4:7], s[2:3], 0x20
	s_load_b128 s[44:47], s[2:3], 0x60
	v_dual_mov_b32 v4, 0 :: v_dual_and_b32 v1, 0x3ff, v0
	s_load_b128 s[24:27], s[2:3], 0xa0
	v_bfe_u32 v3, v0, 10, 10
	v_mov_b32_e32 v5, 0
	v_bfe_u32 v0, v0, 20, 10
	s_waitcnt lgkmcnt(0)
	s_bitcmp1_b32 s14, 0
	s_cselect_b32 s13, -1, 0
	s_bitcmp1_b32 s14, 16
	v_mov_b32_e32 v6, s44
	s_cselect_b32 s0, -1, 0
	s_lshr_b32 s1, s8, 16
	s_delay_alu instid0(SALU_CYCLE_1) | instskip(NEXT) | instid1(SALU_CYCLE_1)
	s_mul_i32 s1, s1, s9
	v_mul_lo_u32 v2, s1, v1
	s_xor_b32 s1, s0, -1
	s_bitcmp0_b32 s14, 0
	v_cndmask_b32_e64 v8, 0, 1, s1
	s_delay_alu instid0(VALU_DEP_2)
	v_mad_u32_u24 v9, v3, s9, v2
	v_dual_mov_b32 v2, s4 :: v_dual_mov_b32 v3, s5
	v_mov_b32_e32 v11, v5
	v_dual_mov_b32 v13, v5 :: v_dual_mov_b32 v12, v4
	v_dual_mov_b32 v7, s45 :: v_dual_mov_b32 v10, v4
	v_cmp_ne_u32_e32 vcc_lo, 1, v8
	v_add_lshl_u32 v0, v9, v0, 3
	ds_store_2addr_stride64_b64 v0, v[6:7], v[2:3] offset0:24 offset1:28
	s_cbranch_scc1 .LBB155_3
; %bb.1:
	s_mov_b64 s[8:9], src_shared_base
	s_and_b32 s8, s0, exec_lo
	s_cselect_b32 s8, s9, s5
	s_delay_alu instid0(SALU_CYCLE_1) | instskip(SKIP_2) | instid1(VALU_DEP_2)
	v_dual_mov_b32 v3, s8 :: v_dual_add_nc_u32 v2, 0x3800, v0
	v_dual_mov_b32 v13, s7 :: v_dual_mov_b32 v12, s6
	s_and_b32 vcc_lo, exec_lo, vcc_lo
	v_cndmask_b32_e64 v2, s4, v2, s0
	flat_load_b64 v[10:11], v[2:3]
	s_cbranch_vccnz .LBB155_3
; %bb.2:
	v_dual_mov_b32 v2, s4 :: v_dual_mov_b32 v3, s5
	flat_load_b64 v[12:13], v[2:3] offset:8
.LBB155_3:
	s_clause 0x4
	s_load_b128 s[28:31], s[2:3], 0x90
	s_load_b256 s[4:11], s[2:3], 0x70
	s_load_b128 s[36:39], s[2:3], 0x50
	s_load_b128 s[40:43], s[2:3], 0x10
	s_load_b256 s[16:23], s[2:3], 0x30
	s_bitcmp1_b32 s14, 8
	v_dual_mov_b32 v7, v5 :: v_dual_mov_b32 v6, v4
	s_cselect_b32 s12, -1, 0
	s_bfe_u32 s14, s14, 0x10008
	s_delay_alu instid0(SALU_CYCLE_1)
	s_cmp_eq_u32 s14, 0
	s_cbranch_scc1 .LBB155_6
; %bb.4:
	s_mov_b64 s[34:35], src_shared_base
	s_and_b32 s14, s0, exec_lo
	s_cselect_b32 s14, s35, s45
	s_delay_alu instid0(SALU_CYCLE_1) | instskip(SKIP_2) | instid1(VALU_DEP_2)
	v_dual_mov_b32 v3, s14 :: v_dual_add_nc_u32 v0, 0x3000, v0
	v_dual_mov_b32 v4, s46 :: v_dual_mov_b32 v5, s47
	s_and_not1_b32 vcc_lo, exec_lo, s1
	v_cndmask_b32_e64 v2, s44, v0, s0
	flat_load_b64 v[6:7], v[2:3]
	s_cbranch_vccnz .LBB155_6
; %bb.5:
	v_dual_mov_b32 v2, s44 :: v_dual_mov_b32 v3, s45
	flat_load_b64 v[4:5], v[2:3] offset:8
.LBB155_6:
	s_load_b128 s[0:3], s[2:3], 0x0
	v_lshrrev_b32_e32 v14, 4, v1
	v_dual_mov_b32 v0, 0 :: v_dual_and_b32 v35, 15, v1
	s_mov_b32 s14, 0
	s_delay_alu instid0(VALU_DEP_2) | instskip(NEXT) | instid1(VALU_DEP_2)
	v_lshlrev_b32_e32 v1, 8, v14
	v_lshlrev_b32_e32 v2, 3, v35
	;; [unrolled: 1-line block ×3, first 2 shown]
	v_or_b32_e32 v30, -16, v35
	s_delay_alu instid0(VALU_DEP_3) | instskip(NEXT) | instid1(VALU_DEP_3)
	v_or3_b32 v31, v1, v2, 0x2000
	v_lshl_or_b32 v32, v14, 9, v3
	v_mov_b32_e32 v1, v0
	v_mov_b32_e32 v2, v0
	;; [unrolled: 1-line block ×3, first 2 shown]
	s_delay_alu instid0(VALU_DEP_4)
	v_dual_mov_b32 v15, v31 :: v_dual_mov_b32 v16, v32
	v_mov_b32_e32 v17, v30
	s_waitcnt lgkmcnt(0)
	v_dual_mov_b32 v9, s3 :: v_dual_mov_b32 v8, s2
.LBB155_7:                              ; =>This Inner Loop Header: Depth=1
	s_delay_alu instid0(VALU_DEP_2) | instskip(NEXT) | instid1(VALU_DEP_1)
	v_add_co_u32 v17, s33, v17, 16
	s_xor_b32 s33, s33, -1
	ds_store_b64 v15, v[8:9]
	ds_store_b128 v16, v[0:3]
	v_add_nc_u32_e32 v16, 0x100, v16
	v_add_nc_u32_e32 v15, 0x80, v15
	s_and_b32 s33, exec_lo, s33
	s_delay_alu instid0(SALU_CYCLE_1) | instskip(NEXT) | instid1(SALU_CYCLE_1)
	s_or_b32 s14, s33, s14
	s_and_not1_b32 exec_lo, exec_lo, s14
	s_cbranch_execnz .LBB155_7
; %bb.8:
	s_or_b32 exec_lo, exec_lo, s14
	s_lshl_b32 s14, s15, 4
	v_mov_b32_e32 v1, 0
	v_and_or_b32 v0, 0xffffff0, s14, v14
	s_waitcnt vmcnt(0) lgkmcnt(0)
	buffer_gl0_inv
	v_cmp_gt_i64_e32 vcc_lo, s[0:1], v[0:1]
	s_and_saveexec_b32 s0, vcc_lo
	s_cbranch_execz .LBB155_68
; %bb.9:
	s_cmp_eq_u64 s[42:43], 0
	s_cbranch_scc1 .LBB155_11
; %bb.10:
	s_load_b64 s[0:1], s[40:41], 0x0
	v_lshlrev_b32_e32 v0, 3, v0
	s_waitcnt lgkmcnt(0)
	s_lshl_b64 s[0:1], s[0:1], 3
	s_delay_alu instid0(SALU_CYCLE_1)
	s_add_u32 s0, s42, s0
	s_addc_u32 s1, s43, s1
	global_load_b64 v[0:1], v0, s[0:1]
.LBB155_11:
	s_waitcnt vmcnt(0)
	v_lshlrev_b64 v[8:9], 3, v[0:1]
	v_lshl_or_b32 v33, v14, 8, 0x2000
	v_lshlrev_b32_e32 v34, 9, v14
	s_and_not1_b32 vcc_lo, exec_lo, s13
	s_cbranch_vccnz .LBB155_39
; %bb.12:
	s_delay_alu instid0(VALU_DEP_3) | instskip(SKIP_2) | instid1(VALU_DEP_1)
	v_add_co_u32 v0, vcc_lo, s16, v8
	v_add_co_ci_u32_e32 v1, vcc_lo, s17, v9, vcc_lo
	v_sub_co_u32 v16, s0, v35, s24
	v_sub_co_ci_u32_e64 v17, null, 0, 0, s0
	global_load_b128 v[0:3], v[0:1], off
	s_mov_b32 s1, 0
	s_mov_b32 s0, exec_lo
	s_waitcnt vmcnt(0)
	v_sub_co_u32 v14, vcc_lo, v2, s24
	v_subrev_co_ci_u32_e32 v15, vcc_lo, 0, v3, vcc_lo
	v_add_co_u32 v16, vcc_lo, v0, v16
	v_add_co_ci_u32_e32 v17, vcc_lo, v1, v17, vcc_lo
	s_delay_alu instid0(VALU_DEP_1)
	v_cmpx_lt_i64_e64 v[16:17], v[14:15]
	s_cbranch_execz .LBB155_38
; %bb.13:
	s_mov_b32 s13, s25
	s_branch .LBB155_15
.LBB155_14:                             ;   in Loop: Header=BB155_15 Depth=1
	s_or_b32 exec_lo, exec_lo, s14
	v_add_co_u32 v16, vcc_lo, v16, 16
	v_add_co_ci_u32_e32 v17, vcc_lo, 0, v17, vcc_lo
	s_delay_alu instid0(VALU_DEP_1) | instskip(SKIP_1) | instid1(SALU_CYCLE_1)
	v_cmp_ge_i64_e32 vcc_lo, v[16:17], v[14:15]
	s_or_b32 s1, vcc_lo, s1
	s_and_not1_b32 exec_lo, exec_lo, s1
	s_cbranch_execz .LBB155_38
.LBB155_15:                             ; =>This Loop Header: Depth=1
                                        ;     Child Loop BB155_18 Depth 2
                                        ;       Child Loop BB155_20 Depth 3
                                        ;         Child Loop BB155_26 Depth 4
                                        ;         Child Loop BB155_28 Depth 4
	;; [unrolled: 1-line block ×4, first 2 shown]
	v_lshlrev_b64 v[0:1], 3, v[16:17]
	s_mov_b32 s14, exec_lo
	s_delay_alu instid0(VALU_DEP_1) | instskip(NEXT) | instid1(VALU_DEP_2)
	v_add_co_u32 v0, vcc_lo, s18, v0
	v_add_co_ci_u32_e32 v1, vcc_lo, s19, v1, vcc_lo
	global_load_b64 v[0:1], v[0:1], off
	s_waitcnt vmcnt(0)
	v_sub_co_u32 v0, vcc_lo, v0, s24
	v_subrev_co_ci_u32_e32 v1, vcc_lo, 0, v1, vcc_lo
	s_delay_alu instid0(VALU_DEP_1) | instskip(NEXT) | instid1(VALU_DEP_1)
	v_lshlrev_b64 v[0:1], 3, v[0:1]
	v_add_co_u32 v0, vcc_lo, s22, v0
	s_delay_alu instid0(VALU_DEP_2)
	v_add_co_ci_u32_e32 v1, vcc_lo, s23, v1, vcc_lo
	global_load_b128 v[0:3], v[0:1], off
	s_waitcnt vmcnt(0)
	v_cmpx_lt_i64_e64 v[0:1], v[2:3]
	s_cbranch_execz .LBB155_14
; %bb.16:                               ;   in Loop: Header=BB155_15 Depth=1
	v_lshlrev_b64 v[18:19], 4, v[16:17]
	s_mov_b32 s15, 0
	s_delay_alu instid0(VALU_DEP_1) | instskip(NEXT) | instid1(VALU_DEP_2)
	v_add_co_u32 v18, vcc_lo, s20, v18
	v_add_co_ci_u32_e32 v19, vcc_lo, s21, v19, vcc_lo
	v_sub_co_u32 v2, vcc_lo, v2, s13
	v_subrev_co_ci_u32_e32 v3, vcc_lo, 0, v3, vcc_lo
	global_load_b128 v[20:23], v[18:19], off
	v_sub_co_u32 v0, vcc_lo, v0, s13
	v_subrev_co_ci_u32_e32 v1, vcc_lo, 0, v1, vcc_lo
	s_waitcnt vmcnt(0)
	v_mul_f64 v[18:19], v[22:23], -v[12:13]
	v_mul_f64 v[22:23], v[10:11], v[22:23]
	s_delay_alu instid0(VALU_DEP_2) | instskip(NEXT) | instid1(VALU_DEP_2)
	v_fma_f64 v[18:19], v[10:11], v[20:21], v[18:19]
	v_fma_f64 v[20:21], v[12:13], v[20:21], v[22:23]
	s_branch .LBB155_18
.LBB155_17:                             ;   in Loop: Header=BB155_18 Depth=2
	s_or_b32 exec_lo, exec_lo, s16
	v_add_co_u32 v0, vcc_lo, v0, 1
	v_add_co_ci_u32_e32 v1, vcc_lo, 0, v1, vcc_lo
	s_delay_alu instid0(VALU_DEP_1) | instskip(SKIP_1) | instid1(SALU_CYCLE_1)
	v_cmp_ge_i64_e32 vcc_lo, v[0:1], v[2:3]
	s_or_b32 s15, vcc_lo, s15
	s_and_not1_b32 exec_lo, exec_lo, s15
	s_cbranch_execz .LBB155_14
.LBB155_18:                             ;   Parent Loop BB155_15 Depth=1
                                        ; =>  This Loop Header: Depth=2
                                        ;       Child Loop BB155_20 Depth 3
                                        ;         Child Loop BB155_26 Depth 4
                                        ;         Child Loop BB155_28 Depth 4
	;; [unrolled: 1-line block ×4, first 2 shown]
	v_lshlrev_b64 v[22:23], 4, v[0:1]
	s_mov_b32 s16, 0
	s_delay_alu instid0(VALU_DEP_1) | instskip(NEXT) | instid1(VALU_DEP_2)
	v_add_co_u32 v22, vcc_lo, s38, v22
	v_add_co_ci_u32_e32 v23, vcc_lo, s39, v23, vcc_lo
	global_load_b128 v[24:27], v[22:23], off
	v_lshlrev_b64 v[22:23], 3, v[0:1]
	s_delay_alu instid0(VALU_DEP_1) | instskip(NEXT) | instid1(VALU_DEP_2)
	v_add_co_u32 v22, vcc_lo, s36, v22
	v_add_co_ci_u32_e32 v23, vcc_lo, s37, v23, vcc_lo
	global_load_b64 v[28:29], v[22:23], off
	s_waitcnt vmcnt(1)
	v_mul_f64 v[22:23], v[26:27], -v[20:21]
	v_mul_f64 v[26:27], v[18:19], v[26:27]
	s_delay_alu instid0(VALU_DEP_2) | instskip(NEXT) | instid1(VALU_DEP_2)
	v_fma_f64 v[22:23], v[18:19], v[24:25], v[22:23]
	v_fma_f64 v[24:25], v[20:21], v[24:25], v[26:27]
	s_waitcnt vmcnt(0)
	v_sub_co_u32 v26, vcc_lo, v28, s13
	v_subrev_co_ci_u32_e32 v27, vcc_lo, 0, v29, vcc_lo
	s_delay_alu instid0(VALU_DEP_2) | instskip(NEXT) | instid1(VALU_DEP_1)
	v_lshl_add_u32 v28, v26, 3, v26
	v_and_b32_e32 v36, 31, v28
	s_branch .LBB155_20
.LBB155_19:                             ;   in Loop: Header=BB155_20 Depth=3
	s_or_b32 exec_lo, exec_lo, s17
	s_xor_b32 s17, s25, -1
	s_delay_alu instid0(SALU_CYCLE_1) | instskip(NEXT) | instid1(SALU_CYCLE_1)
	s_and_b32 s17, exec_lo, s17
	s_or_b32 s16, s17, s16
	s_delay_alu instid0(SALU_CYCLE_1)
	s_and_not1_b32 exec_lo, exec_lo, s16
	s_cbranch_execz .LBB155_17
.LBB155_20:                             ;   Parent Loop BB155_15 Depth=1
                                        ;     Parent Loop BB155_18 Depth=2
                                        ; =>    This Loop Header: Depth=3
                                        ;         Child Loop BB155_26 Depth 4
                                        ;         Child Loop BB155_28 Depth 4
	;; [unrolled: 1-line block ×4, first 2 shown]
	s_delay_alu instid0(VALU_DEP_1)
	v_lshl_add_u32 v37, v36, 3, v33
	s_mov_b32 s17, exec_lo
                                        ; implicit-def: $sgpr25
	ds_load_b64 v[28:29], v37
	s_waitcnt lgkmcnt(0)
	v_cmpx_ne_u64_e64 v[28:29], v[26:27]
	s_xor_b32 s17, exec_lo, s17
	s_cbranch_execz .LBB155_32
; %bb.21:                               ;   in Loop: Header=BB155_20 Depth=3
	s_mov_b32 s33, exec_lo
                                        ; implicit-def: $sgpr25
	v_cmpx_ne_u64_e64 s[2:3], v[28:29]
	s_xor_b32 s33, exec_lo, s33
; %bb.22:                               ;   in Loop: Header=BB155_20 Depth=3
	v_add_nc_u32_e32 v28, 1, v36
	s_mov_b32 s25, -1
                                        ; implicit-def: $vgpr37
	s_delay_alu instid0(VALU_DEP_1)
	v_and_b32_e32 v36, 31, v28
; %bb.23:                               ;   in Loop: Header=BB155_20 Depth=3
	s_and_not1_saveexec_b32 s33, s33
	s_cbranch_execz .LBB155_31
; %bb.24:                               ;   in Loop: Header=BB155_20 Depth=3
	v_dual_mov_b32 v29, s3 :: v_dual_mov_b32 v28, s2
	s_mov_b32 s35, -1
	s_mov_b32 s34, exec_lo
	ds_cmpstore_rtn_b64 v[28:29], v37, v[26:27], v[28:29]
	s_waitcnt lgkmcnt(0)
	v_cmpx_eq_u64_e64 s[2:3], v[28:29]
	s_cbranch_execz .LBB155_30
; %bb.25:                               ;   in Loop: Header=BB155_20 Depth=3
	v_lshl_add_u32 v37, v36, 4, v34
	s_mov_b32 s35, 0
	ds_load_b64 v[28:29], v37
.LBB155_26:                             ;   Parent Loop BB155_15 Depth=1
                                        ;     Parent Loop BB155_18 Depth=2
                                        ;       Parent Loop BB155_20 Depth=3
                                        ; =>      This Inner Loop Header: Depth=4
	s_waitcnt lgkmcnt(0)
	v_add_f64 v[38:39], v[28:29], v[22:23]
	ds_cmpstore_rtn_b64 v[38:39], v37, v[38:39], v[28:29]
	s_waitcnt lgkmcnt(0)
	v_cmp_eq_u64_e32 vcc_lo, v[38:39], v[28:29]
	v_dual_mov_b32 v28, v38 :: v_dual_mov_b32 v29, v39
	s_or_b32 s35, vcc_lo, s35
	s_delay_alu instid0(SALU_CYCLE_1)
	s_and_not1_b32 exec_lo, exec_lo, s35
	s_cbranch_execnz .LBB155_26
; %bb.27:                               ;   in Loop: Header=BB155_20 Depth=3
	s_or_b32 exec_lo, exec_lo, s35
	ds_load_b64 v[28:29], v37 offset:8
	s_mov_b32 s35, 0
.LBB155_28:                             ;   Parent Loop BB155_15 Depth=1
                                        ;     Parent Loop BB155_18 Depth=2
                                        ;       Parent Loop BB155_20 Depth=3
                                        ; =>      This Inner Loop Header: Depth=4
	s_waitcnt lgkmcnt(0)
	v_add_f64 v[38:39], v[28:29], v[24:25]
	ds_cmpstore_rtn_b64 v[38:39], v37, v[38:39], v[28:29] offset:8
	s_waitcnt lgkmcnt(0)
	v_cmp_eq_u64_e32 vcc_lo, v[38:39], v[28:29]
	v_dual_mov_b32 v28, v38 :: v_dual_mov_b32 v29, v39
	s_or_b32 s35, vcc_lo, s35
	s_delay_alu instid0(SALU_CYCLE_1)
	s_and_not1_b32 exec_lo, exec_lo, s35
	s_cbranch_execnz .LBB155_28
; %bb.29:                               ;   in Loop: Header=BB155_20 Depth=3
	s_or_b32 exec_lo, exec_lo, s35
	s_delay_alu instid0(SALU_CYCLE_1)
	s_xor_b32 s35, exec_lo, -1
.LBB155_30:                             ;   in Loop: Header=BB155_20 Depth=3
	s_or_b32 exec_lo, exec_lo, s34
	s_delay_alu instid0(SALU_CYCLE_1) | instskip(SKIP_1) | instid1(SALU_CYCLE_1)
	s_and_not1_b32 s25, s25, exec_lo
	s_and_b32 s34, s35, exec_lo
	s_or_b32 s25, s25, s34
.LBB155_31:                             ;   in Loop: Header=BB155_20 Depth=3
	s_or_b32 exec_lo, exec_lo, s33
	s_delay_alu instid0(SALU_CYCLE_1)
	s_and_b32 s25, s25, exec_lo
.LBB155_32:                             ;   in Loop: Header=BB155_20 Depth=3
	s_and_not1_saveexec_b32 s17, s17
	s_cbranch_execz .LBB155_19
; %bb.33:                               ;   in Loop: Header=BB155_20 Depth=3
	v_lshl_add_u32 v37, v36, 4, v34
	s_mov_b32 s33, 0
	ds_load_b64 v[28:29], v37
.LBB155_34:                             ;   Parent Loop BB155_15 Depth=1
                                        ;     Parent Loop BB155_18 Depth=2
                                        ;       Parent Loop BB155_20 Depth=3
                                        ; =>      This Inner Loop Header: Depth=4
	s_waitcnt lgkmcnt(0)
	v_add_f64 v[38:39], v[28:29], v[22:23]
	ds_cmpstore_rtn_b64 v[38:39], v37, v[38:39], v[28:29]
	s_waitcnt lgkmcnt(0)
	v_cmp_eq_u64_e32 vcc_lo, v[38:39], v[28:29]
	v_dual_mov_b32 v28, v38 :: v_dual_mov_b32 v29, v39
	s_or_b32 s33, vcc_lo, s33
	s_delay_alu instid0(SALU_CYCLE_1)
	s_and_not1_b32 exec_lo, exec_lo, s33
	s_cbranch_execnz .LBB155_34
; %bb.35:                               ;   in Loop: Header=BB155_20 Depth=3
	s_or_b32 exec_lo, exec_lo, s33
	ds_load_b64 v[28:29], v37 offset:8
	s_mov_b32 s33, 0
.LBB155_36:                             ;   Parent Loop BB155_15 Depth=1
                                        ;     Parent Loop BB155_18 Depth=2
                                        ;       Parent Loop BB155_20 Depth=3
                                        ; =>      This Inner Loop Header: Depth=4
	s_waitcnt lgkmcnt(0)
	v_add_f64 v[38:39], v[28:29], v[24:25]
	ds_cmpstore_rtn_b64 v[38:39], v37, v[38:39], v[28:29] offset:8
	s_waitcnt lgkmcnt(0)
	v_cmp_eq_u64_e32 vcc_lo, v[38:39], v[28:29]
	v_dual_mov_b32 v28, v38 :: v_dual_mov_b32 v29, v39
	s_or_b32 s33, vcc_lo, s33
	s_delay_alu instid0(SALU_CYCLE_1)
	s_and_not1_b32 exec_lo, exec_lo, s33
	s_cbranch_execnz .LBB155_36
; %bb.37:                               ;   in Loop: Header=BB155_20 Depth=3
	s_or_b32 exec_lo, exec_lo, s33
	s_delay_alu instid0(SALU_CYCLE_1)
	s_and_not1_b32 s25, s25, exec_lo
	s_branch .LBB155_19
.LBB155_38:
	s_or_b32 exec_lo, exec_lo, s0
.LBB155_39:
	s_delay_alu instid0(SALU_CYCLE_1)
	s_and_not1_b32 vcc_lo, exec_lo, s12
	s_cbranch_vccnz .LBB155_64
; %bb.40:
	v_add_co_u32 v0, vcc_lo, s4, v8
	v_add_co_ci_u32_e32 v1, vcc_lo, s5, v9, vcc_lo
	v_sub_co_u32 v2, s0, v35, s27
	s_delay_alu instid0(VALU_DEP_1)
	v_sub_co_ci_u32_e64 v3, null, 0, 0, s0
	global_load_b128 v[10:13], v[0:1], off
	s_mov_b32 s0, 0
	s_mov_b32 s1, exec_lo
	s_waitcnt vmcnt(0)
	v_sub_co_u32 v0, vcc_lo, v12, s27
	v_subrev_co_ci_u32_e32 v1, vcc_lo, 0, v13, vcc_lo
	v_add_co_u32 v2, vcc_lo, v10, v2
	v_add_co_ci_u32_e32 v3, vcc_lo, v11, v3, vcc_lo
	s_delay_alu instid0(VALU_DEP_1)
	v_cmpx_lt_i64_e64 v[2:3], v[0:1]
	s_cbranch_execz .LBB155_63
; %bb.41:
	s_mov_b32 s4, s27
	s_branch .LBB155_43
.LBB155_42:                             ;   in Loop: Header=BB155_43 Depth=1
	s_or_b32 exec_lo, exec_lo, s5
	v_add_co_u32 v2, vcc_lo, v2, 16
	v_add_co_ci_u32_e32 v3, vcc_lo, 0, v3, vcc_lo
	s_delay_alu instid0(VALU_DEP_1) | instskip(SKIP_1) | instid1(SALU_CYCLE_1)
	v_cmp_ge_i64_e32 vcc_lo, v[2:3], v[0:1]
	s_or_b32 s0, vcc_lo, s0
	s_and_not1_b32 exec_lo, exec_lo, s0
	s_cbranch_execz .LBB155_63
.LBB155_43:                             ; =>This Loop Header: Depth=1
                                        ;     Child Loop BB155_45 Depth 2
                                        ;       Child Loop BB155_51 Depth 3
                                        ;       Child Loop BB155_53 Depth 3
	;; [unrolled: 1-line block ×4, first 2 shown]
	v_lshlrev_b64 v[10:11], 4, v[2:3]
	s_mov_b32 s5, 0
	s_delay_alu instid0(VALU_DEP_1) | instskip(NEXT) | instid1(VALU_DEP_2)
	v_add_co_u32 v10, vcc_lo, s8, v10
	v_add_co_ci_u32_e32 v11, vcc_lo, s9, v11, vcc_lo
	global_load_b128 v[12:15], v[10:11], off
	v_lshlrev_b64 v[10:11], 3, v[2:3]
	s_delay_alu instid0(VALU_DEP_1) | instskip(NEXT) | instid1(VALU_DEP_2)
	v_add_co_u32 v10, vcc_lo, s6, v10
	v_add_co_ci_u32_e32 v11, vcc_lo, s7, v11, vcc_lo
	global_load_b64 v[16:17], v[10:11], off
	s_waitcnt vmcnt(1)
	v_mul_f64 v[10:11], v[14:15], -v[4:5]
	v_mul_f64 v[14:15], v[6:7], v[14:15]
	s_delay_alu instid0(VALU_DEP_2) | instskip(NEXT) | instid1(VALU_DEP_2)
	v_fma_f64 v[10:11], v[6:7], v[12:13], v[10:11]
	v_fma_f64 v[12:13], v[4:5], v[12:13], v[14:15]
	s_waitcnt vmcnt(0)
	v_sub_co_u32 v14, vcc_lo, v16, s4
	v_subrev_co_ci_u32_e32 v15, vcc_lo, 0, v17, vcc_lo
	s_delay_alu instid0(VALU_DEP_2) | instskip(NEXT) | instid1(VALU_DEP_1)
	v_lshl_add_u32 v16, v14, 3, v14
	v_and_b32_e32 v18, 31, v16
	s_branch .LBB155_45
.LBB155_44:                             ;   in Loop: Header=BB155_45 Depth=2
	s_or_b32 exec_lo, exec_lo, s12
	s_xor_b32 s12, s13, -1
	s_delay_alu instid0(SALU_CYCLE_1) | instskip(NEXT) | instid1(SALU_CYCLE_1)
	s_and_b32 s12, exec_lo, s12
	s_or_b32 s5, s12, s5
	s_delay_alu instid0(SALU_CYCLE_1)
	s_and_not1_b32 exec_lo, exec_lo, s5
	s_cbranch_execz .LBB155_42
.LBB155_45:                             ;   Parent Loop BB155_43 Depth=1
                                        ; =>  This Loop Header: Depth=2
                                        ;       Child Loop BB155_51 Depth 3
                                        ;       Child Loop BB155_53 Depth 3
	;; [unrolled: 1-line block ×4, first 2 shown]
	s_delay_alu instid0(VALU_DEP_1)
	v_lshl_add_u32 v19, v18, 3, v33
	s_mov_b32 s12, exec_lo
                                        ; implicit-def: $sgpr13
	ds_load_b64 v[16:17], v19
	s_waitcnt lgkmcnt(0)
	v_cmpx_ne_u64_e64 v[16:17], v[14:15]
	s_xor_b32 s12, exec_lo, s12
	s_cbranch_execz .LBB155_57
; %bb.46:                               ;   in Loop: Header=BB155_45 Depth=2
	s_mov_b32 s14, exec_lo
                                        ; implicit-def: $sgpr13
	v_cmpx_ne_u64_e64 s[2:3], v[16:17]
	s_xor_b32 s14, exec_lo, s14
; %bb.47:                               ;   in Loop: Header=BB155_45 Depth=2
	v_add_nc_u32_e32 v16, 1, v18
	s_mov_b32 s13, -1
                                        ; implicit-def: $vgpr19
	s_delay_alu instid0(VALU_DEP_1)
	v_and_b32_e32 v18, 31, v16
; %bb.48:                               ;   in Loop: Header=BB155_45 Depth=2
	s_and_not1_saveexec_b32 s14, s14
	s_cbranch_execz .LBB155_56
; %bb.49:                               ;   in Loop: Header=BB155_45 Depth=2
	v_dual_mov_b32 v17, s3 :: v_dual_mov_b32 v16, s2
	s_mov_b32 s16, -1
	s_mov_b32 s15, exec_lo
	ds_cmpstore_rtn_b64 v[16:17], v19, v[14:15], v[16:17]
	s_waitcnt lgkmcnt(0)
	v_cmpx_eq_u64_e64 s[2:3], v[16:17]
	s_cbranch_execz .LBB155_55
; %bb.50:                               ;   in Loop: Header=BB155_45 Depth=2
	v_lshl_add_u32 v19, v18, 4, v34
	s_mov_b32 s16, 0
	ds_load_b64 v[16:17], v19
.LBB155_51:                             ;   Parent Loop BB155_43 Depth=1
                                        ;     Parent Loop BB155_45 Depth=2
                                        ; =>    This Inner Loop Header: Depth=3
	s_waitcnt lgkmcnt(0)
	v_add_f64 v[20:21], v[16:17], v[10:11]
	ds_cmpstore_rtn_b64 v[20:21], v19, v[20:21], v[16:17]
	s_waitcnt lgkmcnt(0)
	v_cmp_eq_u64_e32 vcc_lo, v[20:21], v[16:17]
	v_dual_mov_b32 v16, v20 :: v_dual_mov_b32 v17, v21
	s_or_b32 s16, vcc_lo, s16
	s_delay_alu instid0(SALU_CYCLE_1)
	s_and_not1_b32 exec_lo, exec_lo, s16
	s_cbranch_execnz .LBB155_51
; %bb.52:                               ;   in Loop: Header=BB155_45 Depth=2
	s_or_b32 exec_lo, exec_lo, s16
	ds_load_b64 v[16:17], v19 offset:8
	s_mov_b32 s16, 0
.LBB155_53:                             ;   Parent Loop BB155_43 Depth=1
                                        ;     Parent Loop BB155_45 Depth=2
                                        ; =>    This Inner Loop Header: Depth=3
	s_waitcnt lgkmcnt(0)
	v_add_f64 v[20:21], v[16:17], v[12:13]
	ds_cmpstore_rtn_b64 v[20:21], v19, v[20:21], v[16:17] offset:8
	s_waitcnt lgkmcnt(0)
	v_cmp_eq_u64_e32 vcc_lo, v[20:21], v[16:17]
	v_dual_mov_b32 v16, v20 :: v_dual_mov_b32 v17, v21
	s_or_b32 s16, vcc_lo, s16
	s_delay_alu instid0(SALU_CYCLE_1)
	s_and_not1_b32 exec_lo, exec_lo, s16
	s_cbranch_execnz .LBB155_53
; %bb.54:                               ;   in Loop: Header=BB155_45 Depth=2
	s_or_b32 exec_lo, exec_lo, s16
	s_delay_alu instid0(SALU_CYCLE_1)
	s_xor_b32 s16, exec_lo, -1
.LBB155_55:                             ;   in Loop: Header=BB155_45 Depth=2
	s_or_b32 exec_lo, exec_lo, s15
	s_delay_alu instid0(SALU_CYCLE_1) | instskip(SKIP_1) | instid1(SALU_CYCLE_1)
	s_and_not1_b32 s13, s13, exec_lo
	s_and_b32 s15, s16, exec_lo
	s_or_b32 s13, s13, s15
.LBB155_56:                             ;   in Loop: Header=BB155_45 Depth=2
	s_or_b32 exec_lo, exec_lo, s14
	s_delay_alu instid0(SALU_CYCLE_1)
	s_and_b32 s13, s13, exec_lo
.LBB155_57:                             ;   in Loop: Header=BB155_45 Depth=2
	s_and_not1_saveexec_b32 s12, s12
	s_cbranch_execz .LBB155_44
; %bb.58:                               ;   in Loop: Header=BB155_45 Depth=2
	v_lshl_add_u32 v19, v18, 4, v34
	s_mov_b32 s14, 0
	ds_load_b64 v[16:17], v19
.LBB155_59:                             ;   Parent Loop BB155_43 Depth=1
                                        ;     Parent Loop BB155_45 Depth=2
                                        ; =>    This Inner Loop Header: Depth=3
	s_waitcnt lgkmcnt(0)
	v_add_f64 v[20:21], v[16:17], v[10:11]
	ds_cmpstore_rtn_b64 v[20:21], v19, v[20:21], v[16:17]
	s_waitcnt lgkmcnt(0)
	v_cmp_eq_u64_e32 vcc_lo, v[20:21], v[16:17]
	v_dual_mov_b32 v16, v20 :: v_dual_mov_b32 v17, v21
	s_or_b32 s14, vcc_lo, s14
	s_delay_alu instid0(SALU_CYCLE_1)
	s_and_not1_b32 exec_lo, exec_lo, s14
	s_cbranch_execnz .LBB155_59
; %bb.60:                               ;   in Loop: Header=BB155_45 Depth=2
	s_or_b32 exec_lo, exec_lo, s14
	ds_load_b64 v[16:17], v19 offset:8
	s_mov_b32 s14, 0
.LBB155_61:                             ;   Parent Loop BB155_43 Depth=1
                                        ;     Parent Loop BB155_45 Depth=2
                                        ; =>    This Inner Loop Header: Depth=3
	s_waitcnt lgkmcnt(0)
	v_add_f64 v[20:21], v[16:17], v[12:13]
	ds_cmpstore_rtn_b64 v[20:21], v19, v[20:21], v[16:17] offset:8
	s_waitcnt lgkmcnt(0)
	v_cmp_eq_u64_e32 vcc_lo, v[20:21], v[16:17]
	v_dual_mov_b32 v16, v20 :: v_dual_mov_b32 v17, v21
	s_or_b32 s14, vcc_lo, s14
	s_delay_alu instid0(SALU_CYCLE_1)
	s_and_not1_b32 exec_lo, exec_lo, s14
	s_cbranch_execnz .LBB155_61
; %bb.62:                               ;   in Loop: Header=BB155_45 Depth=2
	s_or_b32 exec_lo, exec_lo, s14
	s_delay_alu instid0(SALU_CYCLE_1)
	s_and_not1_b32 s13, s13, exec_lo
	s_branch .LBB155_44
.LBB155_63:
	s_or_b32 exec_lo, exec_lo, s1
.LBB155_64:
	v_add_co_u32 v0, vcc_lo, s10, v8
	v_add_co_ci_u32_e32 v1, vcc_lo, s11, v9, vcc_lo
	buffer_gl0_inv
	s_mov_b32 s0, 0
	global_load_b64 v[0:1], v[0:1], off
	s_waitcnt vmcnt(0)
	v_sub_co_u32 v2, vcc_lo, v0, s26
	v_subrev_co_ci_u32_e32 v3, vcc_lo, 0, v1, vcc_lo
	s_branch .LBB155_66
.LBB155_65:                             ;   in Loop: Header=BB155_66 Depth=1
	s_or_b32 exec_lo, exec_lo, s1
	v_add_co_u32 v30, s1, v30, 16
	s_delay_alu instid0(VALU_DEP_1) | instskip(SKIP_3) | instid1(SALU_CYCLE_1)
	s_xor_b32 s1, s1, -1
	v_add_nc_u32_e32 v32, 0x100, v32
	v_add_nc_u32_e32 v31, 0x80, v31
	s_and_b32 s1, exec_lo, s1
	s_or_b32 s0, s1, s0
	s_delay_alu instid0(SALU_CYCLE_1)
	s_and_not1_b32 exec_lo, exec_lo, s0
	s_cbranch_execz .LBB155_68
.LBB155_66:                             ; =>This Inner Loop Header: Depth=1
	ds_load_b64 v[0:1], v31
	s_mov_b32 s1, exec_lo
	s_waitcnt lgkmcnt(0)
	v_cmpx_gt_i64_e64 s[2:3], v[0:1]
	s_cbranch_execz .LBB155_65
; %bb.67:                               ;   in Loop: Header=BB155_66 Depth=1
	ds_load_b128 v[4:7], v33
	ds_load_b128 v[8:11], v33 offset:16
	ds_load_b128 v[12:15], v33 offset:32
	;; [unrolled: 1-line block ×7, first 2 shown]
	s_waitcnt lgkmcnt(7)
	v_cmp_gt_i64_e32 vcc_lo, v[0:1], v[4:5]
	v_cndmask_b32_e64 v4, 0, 1, vcc_lo
	v_cmp_gt_i64_e32 vcc_lo, v[0:1], v[6:7]
	v_cndmask_b32_e64 v5, 0, 1, vcc_lo
	s_delay_alu instid0(VALU_DEP_3)
	v_add_co_u32 v4, vcc_lo, v2, v4
	v_add_co_ci_u32_e32 v6, vcc_lo, 0, v3, vcc_lo
	s_waitcnt lgkmcnt(6)
	v_cmp_gt_i64_e32 vcc_lo, v[0:1], v[8:9]
	v_cndmask_b32_e64 v7, 0, 1, vcc_lo
	v_add_co_u32 v4, vcc_lo, v4, v5
	v_add_co_ci_u32_e32 v5, vcc_lo, 0, v6, vcc_lo
	v_cmp_gt_i64_e32 vcc_lo, v[0:1], v[10:11]
	v_cndmask_b32_e64 v6, 0, 1, vcc_lo
	s_delay_alu instid0(VALU_DEP_4) | instskip(NEXT) | instid1(VALU_DEP_4)
	v_add_co_u32 v4, vcc_lo, v4, v7
	v_add_co_ci_u32_e32 v5, vcc_lo, 0, v5, vcc_lo
	s_waitcnt lgkmcnt(5)
	v_cmp_gt_i64_e32 vcc_lo, v[0:1], v[12:13]
	v_cndmask_b32_e64 v7, 0, 1, vcc_lo
	v_add_co_u32 v4, vcc_lo, v4, v6
	v_add_co_ci_u32_e32 v5, vcc_lo, 0, v5, vcc_lo
	v_cmp_gt_i64_e32 vcc_lo, v[0:1], v[14:15]
	v_cndmask_b32_e64 v6, 0, 1, vcc_lo
	s_delay_alu instid0(VALU_DEP_4) | instskip(NEXT) | instid1(VALU_DEP_4)
	;; [unrolled: 10-line block ×5, first 2 shown]
	v_add_co_u32 v4, vcc_lo, v4, v7
	v_add_co_ci_u32_e32 v5, vcc_lo, 0, v5, vcc_lo
	s_delay_alu instid0(VALU_DEP_2) | instskip(NEXT) | instid1(VALU_DEP_2)
	v_add_co_u32 v8, vcc_lo, v4, v6
	v_add_co_ci_u32_e32 v9, vcc_lo, 0, v5, vcc_lo
	s_waitcnt lgkmcnt(1)
	v_cmp_gt_i64_e32 vcc_lo, v[0:1], v[34:35]
	ds_load_b128 v[4:7], v33 offset:128
	v_cndmask_b32_e64 v10, 0, 1, vcc_lo
	v_cmp_gt_i64_e32 vcc_lo, v[0:1], v[36:37]
	v_cndmask_b32_e64 v11, 0, 1, vcc_lo
	s_delay_alu instid0(VALU_DEP_3) | instskip(SKIP_1) | instid1(VALU_DEP_2)
	v_add_co_u32 v8, vcc_lo, v8, v10
	v_add_co_ci_u32_e32 v9, vcc_lo, 0, v9, vcc_lo
	v_add_co_u32 v12, vcc_lo, v8, v11
	s_delay_alu instid0(VALU_DEP_2)
	v_add_co_ci_u32_e32 v13, vcc_lo, 0, v9, vcc_lo
	ds_load_b128 v[8:11], v33 offset:144
	s_waitcnt lgkmcnt(2)
	v_cmp_gt_i64_e32 vcc_lo, v[0:1], v[38:39]
	v_cndmask_b32_e64 v14, 0, 1, vcc_lo
	v_cmp_gt_i64_e32 vcc_lo, v[0:1], v[40:41]
	v_cndmask_b32_e64 v15, 0, 1, vcc_lo
	s_delay_alu instid0(VALU_DEP_3) | instskip(SKIP_1) | instid1(VALU_DEP_2)
	v_add_co_u32 v12, vcc_lo, v12, v14
	v_add_co_ci_u32_e32 v13, vcc_lo, 0, v13, vcc_lo
	v_add_co_u32 v12, vcc_lo, v12, v15
	s_delay_alu instid0(VALU_DEP_2)
	v_add_co_ci_u32_e32 v13, vcc_lo, 0, v13, vcc_lo
	s_waitcnt lgkmcnt(1)
	v_cmp_gt_i64_e32 vcc_lo, v[0:1], v[4:5]
	v_cndmask_b32_e64 v14, 0, 1, vcc_lo
	v_cmp_gt_i64_e32 vcc_lo, v[0:1], v[6:7]
	ds_load_b128 v[4:7], v33 offset:160
	v_cndmask_b32_e64 v15, 0, 1, vcc_lo
	v_add_co_u32 v12, vcc_lo, v12, v14
	v_add_co_ci_u32_e32 v13, vcc_lo, 0, v13, vcc_lo
	s_waitcnt lgkmcnt(1)
	v_cmp_gt_i64_e32 vcc_lo, v[0:1], v[8:9]
	v_cndmask_b32_e64 v8, 0, 1, vcc_lo
	v_add_co_u32 v9, vcc_lo, v12, v15
	v_add_co_ci_u32_e32 v12, vcc_lo, 0, v13, vcc_lo
	v_cmp_gt_i64_e32 vcc_lo, v[0:1], v[10:11]
	v_cndmask_b32_e64 v13, 0, 1, vcc_lo
	s_delay_alu instid0(VALU_DEP_4) | instskip(SKIP_3) | instid1(VALU_DEP_2)
	v_add_co_u32 v14, vcc_lo, v9, v8
	ds_load_b128 v[8:11], v33 offset:176
	v_add_co_ci_u32_e32 v12, vcc_lo, 0, v12, vcc_lo
	v_add_co_u32 v16, vcc_lo, v14, v13
	v_add_co_ci_u32_e32 v17, vcc_lo, 0, v12, vcc_lo
	s_waitcnt lgkmcnt(1)
	v_cmp_gt_i64_e32 vcc_lo, v[0:1], v[4:5]
	ds_load_b128 v[12:15], v33 offset:192
	v_cndmask_b32_e64 v4, 0, 1, vcc_lo
	v_cmp_gt_i64_e32 vcc_lo, v[0:1], v[6:7]
	v_cndmask_b32_e64 v5, 0, 1, vcc_lo
	s_delay_alu instid0(VALU_DEP_3) | instskip(SKIP_1) | instid1(VALU_DEP_2)
	v_add_co_u32 v4, vcc_lo, v16, v4
	v_add_co_ci_u32_e32 v6, vcc_lo, 0, v17, vcc_lo
	v_add_co_u32 v16, vcc_lo, v4, v5
	s_delay_alu instid0(VALU_DEP_2)
	v_add_co_ci_u32_e32 v17, vcc_lo, 0, v6, vcc_lo
	ds_load_b128 v[4:7], v33 offset:208
	s_waitcnt lgkmcnt(2)
	v_cmp_gt_i64_e32 vcc_lo, v[0:1], v[8:9]
	v_cndmask_b32_e64 v8, 0, 1, vcc_lo
	v_cmp_gt_i64_e32 vcc_lo, v[0:1], v[10:11]
	v_cndmask_b32_e64 v9, 0, 1, vcc_lo
	s_delay_alu instid0(VALU_DEP_3)
	v_add_co_u32 v8, vcc_lo, v16, v8
	v_add_co_ci_u32_e32 v10, vcc_lo, 0, v17, vcc_lo
	s_waitcnt lgkmcnt(1)
	v_cmp_gt_i64_e32 vcc_lo, v[0:1], v[12:13]
	v_cndmask_b32_e64 v12, 0, 1, vcc_lo
	v_add_co_u32 v13, vcc_lo, v8, v9
	v_add_co_ci_u32_e32 v16, vcc_lo, 0, v10, vcc_lo
	ds_load_b128 v[8:11], v33 offset:224
	v_add_co_u32 v17, vcc_lo, v13, v12
	v_add_co_ci_u32_e32 v16, vcc_lo, 0, v16, vcc_lo
	v_cmp_gt_i64_e32 vcc_lo, v[0:1], v[14:15]
	ds_load_b128 v[12:15], v33 offset:240
	v_cndmask_b32_e64 v18, 0, 1, vcc_lo
	s_waitcnt lgkmcnt(2)
	v_cmp_gt_i64_e32 vcc_lo, v[0:1], v[4:5]
	v_cndmask_b32_e64 v4, 0, 1, vcc_lo
	s_delay_alu instid0(VALU_DEP_3) | instskip(SKIP_3) | instid1(VALU_DEP_4)
	v_add_co_u32 v5, vcc_lo, v17, v18
	v_add_co_ci_u32_e32 v16, vcc_lo, 0, v16, vcc_lo
	v_cmp_gt_i64_e32 vcc_lo, v[0:1], v[6:7]
	v_cndmask_b32_e64 v6, 0, 1, vcc_lo
	v_add_co_u32 v4, vcc_lo, v5, v4
	s_delay_alu instid0(VALU_DEP_4)
	v_add_co_ci_u32_e32 v5, vcc_lo, 0, v16, vcc_lo
	s_waitcnt lgkmcnt(1)
	v_cmp_gt_i64_e32 vcc_lo, v[0:1], v[8:9]
	v_cndmask_b32_e64 v7, 0, 1, vcc_lo
	v_add_co_u32 v4, vcc_lo, v4, v6
	v_add_co_ci_u32_e32 v5, vcc_lo, 0, v5, vcc_lo
	v_cmp_gt_i64_e32 vcc_lo, v[0:1], v[10:11]
	v_cndmask_b32_e64 v6, 0, 1, vcc_lo
	s_delay_alu instid0(VALU_DEP_4) | instskip(NEXT) | instid1(VALU_DEP_4)
	v_add_co_u32 v4, vcc_lo, v4, v7
	v_add_co_ci_u32_e32 v5, vcc_lo, 0, v5, vcc_lo
	s_waitcnt lgkmcnt(0)
	v_cmp_gt_i64_e32 vcc_lo, v[0:1], v[12:13]
	v_cndmask_b32_e64 v7, 0, 1, vcc_lo
	v_add_co_u32 v4, vcc_lo, v4, v6
	v_add_co_ci_u32_e32 v5, vcc_lo, 0, v5, vcc_lo
	v_cmp_gt_i64_e32 vcc_lo, v[0:1], v[14:15]
	v_cndmask_b32_e64 v6, 0, 1, vcc_lo
	s_delay_alu instid0(VALU_DEP_4) | instskip(NEXT) | instid1(VALU_DEP_4)
	v_add_co_u32 v4, vcc_lo, v4, v7
	v_add_co_ci_u32_e32 v5, vcc_lo, 0, v5, vcc_lo
	s_delay_alu instid0(VALU_DEP_2) | instskip(NEXT) | instid1(VALU_DEP_2)
	v_add_co_u32 v8, vcc_lo, v4, v6
	v_add_co_ci_u32_e32 v9, vcc_lo, 0, v5, vcc_lo
	ds_load_2addr_b64 v[4:7], v32 offset1:1
	v_add_co_u32 v0, vcc_lo, v0, s26
	v_lshlrev_b64 v[10:11], 3, v[8:9]
	v_lshlrev_b64 v[8:9], 4, v[8:9]
	v_add_co_ci_u32_e32 v1, vcc_lo, 0, v1, vcc_lo
	s_delay_alu instid0(VALU_DEP_3) | instskip(NEXT) | instid1(VALU_DEP_4)
	v_add_co_u32 v10, vcc_lo, s28, v10
	v_add_co_ci_u32_e32 v11, vcc_lo, s29, v11, vcc_lo
	s_delay_alu instid0(VALU_DEP_4)
	v_add_co_u32 v8, vcc_lo, s30, v8
	v_add_co_ci_u32_e32 v9, vcc_lo, s31, v9, vcc_lo
	global_store_b64 v[10:11], v[0:1], off
	s_waitcnt lgkmcnt(0)
	global_store_b128 v[8:9], v[4:7], off
	s_branch .LBB155_65
.LBB155_68:
	s_nop 0
	s_sendmsg sendmsg(MSG_DEALLOC_VGPRS)
	s_endpgm
	.section	.rodata,"a",@progbits
	.p2align	6, 0x0
	.amdhsa_kernel _ZN9rocsparseL23csrgemm_fill_wf_per_rowILj256ELj16ELj32ELj137Ell21rocsparse_complex_numIdEEEvT4_S3_PKS3_S5_NS_24const_host_device_scalarIT5_EEPKT3_S5_PKS7_SB_S5_SD_S8_SB_S5_SD_SB_PS3_PS7_21rocsparse_index_base_SG_SG_SG_bbb
		.amdhsa_group_segment_fixed_size 16384
		.amdhsa_private_segment_fixed_size 0
		.amdhsa_kernarg_size 180
		.amdhsa_user_sgpr_count 15
		.amdhsa_user_sgpr_dispatch_ptr 1
		.amdhsa_user_sgpr_queue_ptr 0
		.amdhsa_user_sgpr_kernarg_segment_ptr 1
		.amdhsa_user_sgpr_dispatch_id 0
		.amdhsa_user_sgpr_private_segment_size 0
		.amdhsa_wavefront_size32 1
		.amdhsa_uses_dynamic_stack 0
		.amdhsa_enable_private_segment 0
		.amdhsa_system_sgpr_workgroup_id_x 1
		.amdhsa_system_sgpr_workgroup_id_y 0
		.amdhsa_system_sgpr_workgroup_id_z 0
		.amdhsa_system_sgpr_workgroup_info 0
		.amdhsa_system_vgpr_workitem_id 2
		.amdhsa_next_free_vgpr 42
		.amdhsa_next_free_sgpr 48
		.amdhsa_reserve_vcc 1
		.amdhsa_float_round_mode_32 0
		.amdhsa_float_round_mode_16_64 0
		.amdhsa_float_denorm_mode_32 3
		.amdhsa_float_denorm_mode_16_64 3
		.amdhsa_dx10_clamp 1
		.amdhsa_ieee_mode 1
		.amdhsa_fp16_overflow 0
		.amdhsa_workgroup_processor_mode 1
		.amdhsa_memory_ordered 1
		.amdhsa_forward_progress 0
		.amdhsa_shared_vgpr_count 0
		.amdhsa_exception_fp_ieee_invalid_op 0
		.amdhsa_exception_fp_denorm_src 0
		.amdhsa_exception_fp_ieee_div_zero 0
		.amdhsa_exception_fp_ieee_overflow 0
		.amdhsa_exception_fp_ieee_underflow 0
		.amdhsa_exception_fp_ieee_inexact 0
		.amdhsa_exception_int_div_zero 0
	.end_amdhsa_kernel
	.section	.text._ZN9rocsparseL23csrgemm_fill_wf_per_rowILj256ELj16ELj32ELj137Ell21rocsparse_complex_numIdEEEvT4_S3_PKS3_S5_NS_24const_host_device_scalarIT5_EEPKT3_S5_PKS7_SB_S5_SD_S8_SB_S5_SD_SB_PS3_PS7_21rocsparse_index_base_SG_SG_SG_bbb,"axG",@progbits,_ZN9rocsparseL23csrgemm_fill_wf_per_rowILj256ELj16ELj32ELj137Ell21rocsparse_complex_numIdEEEvT4_S3_PKS3_S5_NS_24const_host_device_scalarIT5_EEPKT3_S5_PKS7_SB_S5_SD_S8_SB_S5_SD_SB_PS3_PS7_21rocsparse_index_base_SG_SG_SG_bbb,comdat
.Lfunc_end155:
	.size	_ZN9rocsparseL23csrgemm_fill_wf_per_rowILj256ELj16ELj32ELj137Ell21rocsparse_complex_numIdEEEvT4_S3_PKS3_S5_NS_24const_host_device_scalarIT5_EEPKT3_S5_PKS7_SB_S5_SD_S8_SB_S5_SD_SB_PS3_PS7_21rocsparse_index_base_SG_SG_SG_bbb, .Lfunc_end155-_ZN9rocsparseL23csrgemm_fill_wf_per_rowILj256ELj16ELj32ELj137Ell21rocsparse_complex_numIdEEEvT4_S3_PKS3_S5_NS_24const_host_device_scalarIT5_EEPKT3_S5_PKS7_SB_S5_SD_S8_SB_S5_SD_SB_PS3_PS7_21rocsparse_index_base_SG_SG_SG_bbb
                                        ; -- End function
	.section	.AMDGPU.csdata,"",@progbits
; Kernel info:
; codeLenInByte = 3852
; NumSgprs: 50
; NumVgprs: 42
; ScratchSize: 0
; MemoryBound: 0
; FloatMode: 240
; IeeeMode: 1
; LDSByteSize: 16384 bytes/workgroup (compile time only)
; SGPRBlocks: 6
; VGPRBlocks: 5
; NumSGPRsForWavesPerEU: 50
; NumVGPRsForWavesPerEU: 42
; Occupancy: 16
; WaveLimiterHint : 1
; COMPUTE_PGM_RSRC2:SCRATCH_EN: 0
; COMPUTE_PGM_RSRC2:USER_SGPR: 15
; COMPUTE_PGM_RSRC2:TRAP_HANDLER: 0
; COMPUTE_PGM_RSRC2:TGID_X_EN: 1
; COMPUTE_PGM_RSRC2:TGID_Y_EN: 0
; COMPUTE_PGM_RSRC2:TGID_Z_EN: 0
; COMPUTE_PGM_RSRC2:TIDIG_COMP_CNT: 2
	.section	.text._ZN9rocsparseL26csrgemm_fill_block_per_rowILj128ELj16ELj256ELj137ELj32Ell21rocsparse_complex_numIdEEEvT5_PKS3_S5_NS_24const_host_device_scalarIT6_EEPKT4_S5_PKS7_SB_S5_SD_S8_SB_S5_SD_SB_PS3_PS7_21rocsparse_index_base_SG_SG_SG_bbb,"axG",@progbits,_ZN9rocsparseL26csrgemm_fill_block_per_rowILj128ELj16ELj256ELj137ELj32Ell21rocsparse_complex_numIdEEEvT5_PKS3_S5_NS_24const_host_device_scalarIT6_EEPKT4_S5_PKS7_SB_S5_SD_S8_SB_S5_SD_SB_PS3_PS7_21rocsparse_index_base_SG_SG_SG_bbb,comdat
	.globl	_ZN9rocsparseL26csrgemm_fill_block_per_rowILj128ELj16ELj256ELj137ELj32Ell21rocsparse_complex_numIdEEEvT5_PKS3_S5_NS_24const_host_device_scalarIT6_EEPKT4_S5_PKS7_SB_S5_SD_S8_SB_S5_SD_SB_PS3_PS7_21rocsparse_index_base_SG_SG_SG_bbb ; -- Begin function _ZN9rocsparseL26csrgemm_fill_block_per_rowILj128ELj16ELj256ELj137ELj32Ell21rocsparse_complex_numIdEEEvT5_PKS3_S5_NS_24const_host_device_scalarIT6_EEPKT4_S5_PKS7_SB_S5_SD_S8_SB_S5_SD_SB_PS3_PS7_21rocsparse_index_base_SG_SG_SG_bbb
	.p2align	8
	.type	_ZN9rocsparseL26csrgemm_fill_block_per_rowILj128ELj16ELj256ELj137ELj32Ell21rocsparse_complex_numIdEEEvT5_PKS3_S5_NS_24const_host_device_scalarIT6_EEPKT4_S5_PKS7_SB_S5_SD_S8_SB_S5_SD_SB_PS3_PS7_21rocsparse_index_base_SG_SG_SG_bbb,@function
_ZN9rocsparseL26csrgemm_fill_block_per_rowILj128ELj16ELj256ELj137ELj32Ell21rocsparse_complex_numIdEEEvT5_PKS3_S5_NS_24const_host_device_scalarIT6_EEPKT4_S5_PKS7_SB_S5_SD_S8_SB_S5_SD_SB_PS3_PS7_21rocsparse_index_base_SG_SG_SG_bbb: ; @_ZN9rocsparseL26csrgemm_fill_block_per_rowILj128ELj16ELj256ELj137ELj32Ell21rocsparse_complex_numIdEEEvT5_PKS3_S5_NS_24const_host_device_scalarIT6_EEPKT4_S5_PKS7_SB_S5_SD_S8_SB_S5_SD_SB_PS3_PS7_21rocsparse_index_base_SG_SG_SG_bbb
; %bb.0:
	s_clause 0x2
	s_load_b32 s12, s[0:1], 0xa8
	s_load_b128 s[8:11], s[0:1], 0x18
	s_load_b128 s[4:7], s[0:1], 0x58
	v_mov_b32_e32 v1, 0
	v_mov_b32_e32 v2, 0
	s_mov_b32 s34, s15
	s_waitcnt lgkmcnt(0)
	s_bitcmp1_b32 s12, 0
	v_mov_b32_e32 v3, s8
	s_cselect_b32 s42, -1, 0
	s_bitcmp1_b32 s12, 16
	v_dual_mov_b32 v6, v2 :: v_dual_mov_b32 v5, v1
	s_cselect_b32 s2, -1, 0
	v_mov_b32_e32 v4, s9
	s_xor_b32 s3, s2, -1
	v_dual_mov_b32 v10, s5 :: v_dual_mov_b32 v9, s4
	v_cndmask_b32_e64 v7, 0, 1, s3
	s_bitcmp0_b32 s12, 0
	s_clause 0x1
	scratch_store_b64 off, v[3:4], off offset:16
	scratch_store_b64 off, v[9:10], off offset:24
	v_cmp_ne_u32_e32 vcc_lo, 1, v7
	v_dual_mov_b32 v8, v2 :: v_dual_mov_b32 v7, v1
	s_cbranch_scc1 .LBB156_3
; %bb.1:
	s_mov_b64 s[14:15], src_private_base
	s_and_b32 s13, s2, exec_lo
	s_cselect_b32 s13, s15, s9
	s_delay_alu instid0(SALU_CYCLE_1) | instskip(SKIP_2) | instid1(VALU_DEP_2)
	v_dual_mov_b32 v3, 16 :: v_dual_mov_b32 v4, s13
	v_dual_mov_b32 v7, s10 :: v_dual_mov_b32 v8, s11
	s_and_b32 vcc_lo, exec_lo, vcc_lo
	v_cndmask_b32_e64 v3, s8, v3, s2
	flat_load_b64 v[5:6], v[3:4]
	s_cbranch_vccnz .LBB156_3
; %bb.2:
	v_dual_mov_b32 v3, s8 :: v_dual_mov_b32 v4, s9
	flat_load_b64 v[7:8], v[3:4] offset:8
.LBB156_3:
	s_load_b128 s[20:23], s[0:1], 0x98
	s_bitcmp1_b32 s12, 8
	v_dual_mov_b32 v4, v2 :: v_dual_mov_b32 v3, v1
	s_cselect_b32 s33, -1, 0
	s_bfe_u32 s8, s12, 0x10008
	s_delay_alu instid0(SALU_CYCLE_1)
	s_cmp_eq_u32 s8, 0
	s_cbranch_scc1 .LBB156_6
; %bb.4:
	s_mov_b64 s[8:9], src_private_base
	s_and_b32 s8, s2, exec_lo
	s_cselect_b32 s8, s9, s5
	s_delay_alu instid0(SALU_CYCLE_1) | instskip(SKIP_1) | instid1(VALU_DEP_1)
	v_dual_mov_b32 v1, 24 :: v_dual_mov_b32 v2, s8
	s_and_not1_b32 vcc_lo, exec_lo, s3
	v_cndmask_b32_e64 v1, s4, v1, s2
	flat_load_b64 v[3:4], v[1:2]
	v_dual_mov_b32 v1, s6 :: v_dual_mov_b32 v2, s7
	s_cbranch_vccnz .LBB156_6
; %bb.5:
	v_dual_mov_b32 v1, s4 :: v_dual_mov_b32 v2, s5
	flat_load_b64 v[1:2], v[1:2] offset:8
.LBB156_6:
	s_clause 0x5
	s_load_b128 s[24:27], s[0:1], 0x88
	s_load_b256 s[4:11], s[0:1], 0x68
	s_load_b128 s[36:39], s[0:1], 0x48
	s_load_b128 s[28:31], s[0:1], 0x0
	s_load_b64 s[2:3], s[0:1], 0x10
	s_load_b256 s[12:19], s[0:1], 0x28
	v_cmp_gt_u32_e64 s0, 0x100, v0
	v_lshlrev_b32_e32 v29, 4, v0
	v_or_b32_e32 v27, 0xffffff80, v0
	v_lshl_add_u32 v28, v0, 3, 0
	s_delay_alu instid0(VALU_DEP_4)
	s_and_saveexec_b32 s1, s0
	s_cbranch_execz .LBB156_9
; %bb.7:
	s_mov_b32 s40, 0
	v_add3_u32 v15, v29, 0, 0x800
	s_mov_b32 s41, s40
	s_mov_b32 s44, s40
	;; [unrolled: 1-line block ×3, first 2 shown]
	v_or_b32_e32 v16, 0xffffff80, v0
	v_lshl_add_u32 v17, v0, 3, 0
	s_waitcnt lgkmcnt(0)
	v_dual_mov_b32 v9, s28 :: v_dual_mov_b32 v10, s29
	v_dual_mov_b32 v11, s40 :: v_dual_mov_b32 v12, s41
	v_dual_mov_b32 v13, s44 :: v_dual_mov_b32 v14, s45
.LBB156_8:                              ; =>This Inner Loop Header: Depth=1
	v_add_co_u32 v16, s35, 0x80, v16
	s_delay_alu instid0(VALU_DEP_1)
	s_xor_b32 s35, s35, -1
	ds_store_b64 v17, v[9:10]
	ds_store_2addr_b64 v15, v[11:12], v[13:14] offset1:1
	v_add_nc_u32_e32 v15, 0x800, v15
	v_add_nc_u32_e32 v17, 0x400, v17
	s_and_b32 s35, exec_lo, s35
	s_delay_alu instid0(SALU_CYCLE_1) | instskip(NEXT) | instid1(SALU_CYCLE_1)
	s_or_b32 s40, s35, s40
	s_and_not1_b32 exec_lo, exec_lo, s40
	s_cbranch_execnz .LBB156_8
.LBB156_9:
	s_or_b32 exec_lo, exec_lo, s1
	s_waitcnt vmcnt(0) lgkmcnt(0)
	s_waitcnt_vscnt null, 0x0
	s_barrier
	buffer_gl0_inv
	s_load_b64 s[30:31], s[30:31], 0x0
	s_mov_b32 s35, 0
	s_waitcnt lgkmcnt(0)
	s_lshl_b64 s[30:31], s[30:31], 3
	s_delay_alu instid0(SALU_CYCLE_1) | instskip(SKIP_2) | instid1(SALU_CYCLE_1)
	s_add_u32 s1, s2, s30
	s_addc_u32 s30, s3, s31
	s_lshl_b64 s[2:3], s[34:35], 3
	s_add_u32 s2, s1, s2
	s_addc_u32 s3, s30, s3
	s_and_b32 vcc_lo, exec_lo, s42
	s_load_b64 s[30:31], s[2:3], 0x0
	s_cbranch_vccz .LBB156_37
; %bb.10:
	s_waitcnt lgkmcnt(0)
	s_lshl_b64 s[2:3], s[30:31], 3
	v_lshrrev_b32_e32 v9, 4, v0
	s_add_u32 s2, s12, s2
	s_addc_u32 s3, s13, s3
	s_load_b128 s[40:43], s[2:3], 0x0
	s_delay_alu instid0(VALU_DEP_1) | instskip(NEXT) | instid1(VALU_DEP_1)
	v_sub_co_u32 v9, s1, v9, s20
	v_sub_co_ci_u32_e64 v10, null, 0, 0, s1
	s_mov_b32 s1, exec_lo
	s_waitcnt lgkmcnt(0)
	s_delay_alu instid0(VALU_DEP_2) | instskip(NEXT) | instid1(VALU_DEP_2)
	v_add_co_u32 v9, vcc_lo, s40, v9
	v_add_co_ci_u32_e32 v10, vcc_lo, s41, v10, vcc_lo
	s_sub_u32 s2, s42, s20
	s_subb_u32 s3, s43, 0
	s_delay_alu instid0(VALU_DEP_1) | instid1(SALU_CYCLE_1)
	v_cmpx_gt_i64_e64 s[2:3], v[9:10]
	s_cbranch_execz .LBB156_36
; %bb.11:
	v_and_b32_e32 v11, 15, v0
	s_mov_b32 s13, s21
	s_delay_alu instid0(VALU_DEP_1) | instskip(NEXT) | instid1(VALU_DEP_1)
	v_sub_co_u32 v30, s12, v11, s21
	v_sub_co_ci_u32_e64 v31, null, 0, 0, s12
	s_mov_b32 s12, 0
	s_branch .LBB156_13
.LBB156_12:                             ;   in Loop: Header=BB156_13 Depth=1
	s_or_b32 exec_lo, exec_lo, s21
	v_add_co_u32 v9, vcc_lo, v9, 8
	v_add_co_ci_u32_e32 v10, vcc_lo, 0, v10, vcc_lo
	s_delay_alu instid0(VALU_DEP_1) | instskip(SKIP_1) | instid1(SALU_CYCLE_1)
	v_cmp_le_i64_e32 vcc_lo, s[2:3], v[9:10]
	s_or_b32 s12, vcc_lo, s12
	s_and_not1_b32 exec_lo, exec_lo, s12
	s_cbranch_execz .LBB156_36
.LBB156_13:                             ; =>This Loop Header: Depth=1
                                        ;     Child Loop BB156_16 Depth 2
                                        ;       Child Loop BB156_18 Depth 3
                                        ;         Child Loop BB156_24 Depth 4
                                        ;         Child Loop BB156_26 Depth 4
	;; [unrolled: 1-line block ×4, first 2 shown]
	v_lshlrev_b64 v[11:12], 3, v[9:10]
	s_mov_b32 s21, exec_lo
	s_delay_alu instid0(VALU_DEP_1) | instskip(NEXT) | instid1(VALU_DEP_2)
	v_add_co_u32 v11, vcc_lo, s14, v11
	v_add_co_ci_u32_e32 v12, vcc_lo, s15, v12, vcc_lo
	global_load_b64 v[11:12], v[11:12], off
	s_waitcnt vmcnt(0)
	v_sub_co_u32 v11, vcc_lo, v11, s20
	v_subrev_co_ci_u32_e32 v12, vcc_lo, 0, v12, vcc_lo
	s_delay_alu instid0(VALU_DEP_1) | instskip(NEXT) | instid1(VALU_DEP_1)
	v_lshlrev_b64 v[11:12], 3, v[11:12]
	v_add_co_u32 v11, vcc_lo, s18, v11
	s_delay_alu instid0(VALU_DEP_2)
	v_add_co_ci_u32_e32 v12, vcc_lo, s19, v12, vcc_lo
	global_load_b128 v[13:16], v[11:12], off
	s_waitcnt vmcnt(0)
	v_sub_co_u32 v11, vcc_lo, v15, s13
	v_subrev_co_ci_u32_e32 v12, vcc_lo, 0, v16, vcc_lo
	v_add_co_u32 v13, vcc_lo, v13, v30
	v_add_co_ci_u32_e32 v14, vcc_lo, v14, v31, vcc_lo
	s_delay_alu instid0(VALU_DEP_1)
	v_cmpx_lt_i64_e64 v[13:14], v[11:12]
	s_cbranch_execz .LBB156_12
; %bb.14:                               ;   in Loop: Header=BB156_13 Depth=1
	v_lshlrev_b64 v[15:16], 4, v[9:10]
	s_mov_b32 s34, 0
	s_delay_alu instid0(VALU_DEP_1) | instskip(NEXT) | instid1(VALU_DEP_2)
	v_add_co_u32 v15, vcc_lo, s16, v15
	v_add_co_ci_u32_e32 v16, vcc_lo, s17, v16, vcc_lo
	global_load_b128 v[17:20], v[15:16], off
	s_waitcnt vmcnt(0)
	v_mul_f64 v[15:16], v[19:20], -v[7:8]
	v_mul_f64 v[19:20], v[5:6], v[19:20]
	s_delay_alu instid0(VALU_DEP_2) | instskip(NEXT) | instid1(VALU_DEP_2)
	v_fma_f64 v[15:16], v[5:6], v[17:18], v[15:16]
	v_fma_f64 v[17:18], v[7:8], v[17:18], v[19:20]
	s_branch .LBB156_16
.LBB156_15:                             ;   in Loop: Header=BB156_16 Depth=2
	s_or_b32 exec_lo, exec_lo, s35
	v_add_co_u32 v13, vcc_lo, v13, 16
	v_add_co_ci_u32_e32 v14, vcc_lo, 0, v14, vcc_lo
	s_delay_alu instid0(VALU_DEP_1) | instskip(SKIP_1) | instid1(SALU_CYCLE_1)
	v_cmp_ge_i64_e32 vcc_lo, v[13:14], v[11:12]
	s_or_b32 s34, vcc_lo, s34
	s_and_not1_b32 exec_lo, exec_lo, s34
	s_cbranch_execz .LBB156_12
.LBB156_16:                             ;   Parent Loop BB156_13 Depth=1
                                        ; =>  This Loop Header: Depth=2
                                        ;       Child Loop BB156_18 Depth 3
                                        ;         Child Loop BB156_24 Depth 4
                                        ;         Child Loop BB156_26 Depth 4
	;; [unrolled: 1-line block ×4, first 2 shown]
	v_lshlrev_b64 v[19:20], 4, v[13:14]
	s_mov_b32 s35, 0
	s_delay_alu instid0(VALU_DEP_1) | instskip(NEXT) | instid1(VALU_DEP_2)
	v_add_co_u32 v19, vcc_lo, s38, v19
	v_add_co_ci_u32_e32 v20, vcc_lo, s39, v20, vcc_lo
	global_load_b128 v[21:24], v[19:20], off
	v_lshlrev_b64 v[19:20], 3, v[13:14]
	s_delay_alu instid0(VALU_DEP_1) | instskip(NEXT) | instid1(VALU_DEP_2)
	v_add_co_u32 v19, vcc_lo, s36, v19
	v_add_co_ci_u32_e32 v20, vcc_lo, s37, v20, vcc_lo
	global_load_b64 v[25:26], v[19:20], off
	s_waitcnt vmcnt(1)
	v_mul_f64 v[19:20], v[23:24], -v[17:18]
	v_mul_f64 v[23:24], v[15:16], v[23:24]
	s_delay_alu instid0(VALU_DEP_2) | instskip(NEXT) | instid1(VALU_DEP_2)
	v_fma_f64 v[19:20], v[15:16], v[21:22], v[19:20]
	v_fma_f64 v[21:22], v[17:18], v[21:22], v[23:24]
	s_waitcnt vmcnt(0)
	v_sub_co_u32 v23, vcc_lo, v25, s13
	v_subrev_co_ci_u32_e32 v24, vcc_lo, 0, v26, vcc_lo
	s_delay_alu instid0(VALU_DEP_2) | instskip(NEXT) | instid1(VALU_DEP_1)
	v_mul_lo_u32 v25, 0x89, v23
	v_and_b32_e32 v32, 0xff, v25
	s_branch .LBB156_18
.LBB156_17:                             ;   in Loop: Header=BB156_18 Depth=3
	s_or_b32 exec_lo, exec_lo, s40
	s_xor_b32 s40, s41, -1
	s_delay_alu instid0(SALU_CYCLE_1) | instskip(NEXT) | instid1(SALU_CYCLE_1)
	s_and_b32 s40, exec_lo, s40
	s_or_b32 s35, s40, s35
	s_delay_alu instid0(SALU_CYCLE_1)
	s_and_not1_b32 exec_lo, exec_lo, s35
	s_cbranch_execz .LBB156_15
.LBB156_18:                             ;   Parent Loop BB156_13 Depth=1
                                        ;     Parent Loop BB156_16 Depth=2
                                        ; =>    This Loop Header: Depth=3
                                        ;         Child Loop BB156_24 Depth 4
                                        ;         Child Loop BB156_26 Depth 4
	;; [unrolled: 1-line block ×4, first 2 shown]
	s_delay_alu instid0(VALU_DEP_1)
	v_lshl_add_u32 v33, v32, 3, 0
	s_mov_b32 s40, exec_lo
                                        ; implicit-def: $sgpr41
	ds_load_b64 v[25:26], v33
	s_waitcnt lgkmcnt(0)
	v_cmpx_ne_u64_e64 v[25:26], v[23:24]
	s_xor_b32 s40, exec_lo, s40
	s_cbranch_execz .LBB156_30
; %bb.19:                               ;   in Loop: Header=BB156_18 Depth=3
	s_mov_b32 s42, exec_lo
                                        ; implicit-def: $sgpr41
	v_cmpx_ne_u64_e64 s[28:29], v[25:26]
	s_xor_b32 s42, exec_lo, s42
; %bb.20:                               ;   in Loop: Header=BB156_18 Depth=3
	v_add_nc_u32_e32 v25, 1, v32
	s_mov_b32 s41, -1
                                        ; implicit-def: $vgpr33
	s_delay_alu instid0(VALU_DEP_1)
	v_and_b32_e32 v32, 0xff, v25
; %bb.21:                               ;   in Loop: Header=BB156_18 Depth=3
	s_and_not1_saveexec_b32 s42, s42
	s_cbranch_execz .LBB156_29
; %bb.22:                               ;   in Loop: Header=BB156_18 Depth=3
	v_dual_mov_b32 v25, s28 :: v_dual_mov_b32 v26, s29
	s_mov_b32 s44, -1
	s_mov_b32 s43, exec_lo
	ds_cmpstore_rtn_b64 v[25:26], v33, v[23:24], v[25:26]
	s_waitcnt lgkmcnt(0)
	v_cmpx_eq_u64_e64 s[28:29], v[25:26]
	s_cbranch_execz .LBB156_28
; %bb.23:                               ;   in Loop: Header=BB156_18 Depth=3
	v_lshlrev_b32_e32 v25, 3, v32
	s_mov_b32 s44, 0
	s_delay_alu instid0(VALU_DEP_1)
	v_add_nc_u32_e32 v33, v33, v25
	ds_load_b64 v[25:26], v33 offset:2048
.LBB156_24:                             ;   Parent Loop BB156_13 Depth=1
                                        ;     Parent Loop BB156_16 Depth=2
                                        ;       Parent Loop BB156_18 Depth=3
                                        ; =>      This Inner Loop Header: Depth=4
	s_waitcnt lgkmcnt(0)
	v_add_f64 v[34:35], v[25:26], v[19:20]
	ds_cmpstore_rtn_b64 v[34:35], v33, v[34:35], v[25:26] offset:2048
	s_waitcnt lgkmcnt(0)
	v_cmp_eq_u64_e32 vcc_lo, v[34:35], v[25:26]
	v_dual_mov_b32 v25, v34 :: v_dual_mov_b32 v26, v35
	s_or_b32 s44, vcc_lo, s44
	s_delay_alu instid0(SALU_CYCLE_1)
	s_and_not1_b32 exec_lo, exec_lo, s44
	s_cbranch_execnz .LBB156_24
; %bb.25:                               ;   in Loop: Header=BB156_18 Depth=3
	s_or_b32 exec_lo, exec_lo, s44
	ds_load_b64 v[25:26], v33 offset:2056
	s_mov_b32 s44, 0
.LBB156_26:                             ;   Parent Loop BB156_13 Depth=1
                                        ;     Parent Loop BB156_16 Depth=2
                                        ;       Parent Loop BB156_18 Depth=3
                                        ; =>      This Inner Loop Header: Depth=4
	s_waitcnt lgkmcnt(0)
	v_add_f64 v[34:35], v[25:26], v[21:22]
	ds_cmpstore_rtn_b64 v[34:35], v33, v[34:35], v[25:26] offset:2056
	s_waitcnt lgkmcnt(0)
	v_cmp_eq_u64_e32 vcc_lo, v[34:35], v[25:26]
	v_dual_mov_b32 v25, v34 :: v_dual_mov_b32 v26, v35
	s_or_b32 s44, vcc_lo, s44
	s_delay_alu instid0(SALU_CYCLE_1)
	s_and_not1_b32 exec_lo, exec_lo, s44
	s_cbranch_execnz .LBB156_26
; %bb.27:                               ;   in Loop: Header=BB156_18 Depth=3
	s_or_b32 exec_lo, exec_lo, s44
	s_delay_alu instid0(SALU_CYCLE_1)
	s_xor_b32 s44, exec_lo, -1
.LBB156_28:                             ;   in Loop: Header=BB156_18 Depth=3
	s_or_b32 exec_lo, exec_lo, s43
	s_delay_alu instid0(SALU_CYCLE_1) | instskip(SKIP_1) | instid1(SALU_CYCLE_1)
	s_and_not1_b32 s41, s41, exec_lo
	s_and_b32 s43, s44, exec_lo
	s_or_b32 s41, s41, s43
.LBB156_29:                             ;   in Loop: Header=BB156_18 Depth=3
	s_or_b32 exec_lo, exec_lo, s42
	s_delay_alu instid0(SALU_CYCLE_1)
	s_and_b32 s41, s41, exec_lo
                                        ; implicit-def: $vgpr33
.LBB156_30:                             ;   in Loop: Header=BB156_18 Depth=3
	s_and_not1_saveexec_b32 s40, s40
	s_cbranch_execz .LBB156_17
; %bb.31:                               ;   in Loop: Header=BB156_18 Depth=3
	v_lshlrev_b32_e32 v25, 3, v32
	s_mov_b32 s42, 0
	s_delay_alu instid0(VALU_DEP_1)
	v_add_nc_u32_e32 v33, v33, v25
	ds_load_b64 v[25:26], v33 offset:2048
.LBB156_32:                             ;   Parent Loop BB156_13 Depth=1
                                        ;     Parent Loop BB156_16 Depth=2
                                        ;       Parent Loop BB156_18 Depth=3
                                        ; =>      This Inner Loop Header: Depth=4
	s_waitcnt lgkmcnt(0)
	v_add_f64 v[34:35], v[25:26], v[19:20]
	ds_cmpstore_rtn_b64 v[34:35], v33, v[34:35], v[25:26] offset:2048
	s_waitcnt lgkmcnt(0)
	v_cmp_eq_u64_e32 vcc_lo, v[34:35], v[25:26]
	v_dual_mov_b32 v25, v34 :: v_dual_mov_b32 v26, v35
	s_or_b32 s42, vcc_lo, s42
	s_delay_alu instid0(SALU_CYCLE_1)
	s_and_not1_b32 exec_lo, exec_lo, s42
	s_cbranch_execnz .LBB156_32
; %bb.33:                               ;   in Loop: Header=BB156_18 Depth=3
	s_or_b32 exec_lo, exec_lo, s42
	ds_load_b64 v[25:26], v33 offset:2056
	s_mov_b32 s42, 0
.LBB156_34:                             ;   Parent Loop BB156_13 Depth=1
                                        ;     Parent Loop BB156_16 Depth=2
                                        ;       Parent Loop BB156_18 Depth=3
                                        ; =>      This Inner Loop Header: Depth=4
	s_waitcnt lgkmcnt(0)
	v_add_f64 v[34:35], v[25:26], v[21:22]
	ds_cmpstore_rtn_b64 v[34:35], v33, v[34:35], v[25:26] offset:2056
	s_waitcnt lgkmcnt(0)
	v_cmp_eq_u64_e32 vcc_lo, v[34:35], v[25:26]
	v_dual_mov_b32 v25, v34 :: v_dual_mov_b32 v26, v35
	s_or_b32 s42, vcc_lo, s42
	s_delay_alu instid0(SALU_CYCLE_1)
	s_and_not1_b32 exec_lo, exec_lo, s42
	s_cbranch_execnz .LBB156_34
; %bb.35:                               ;   in Loop: Header=BB156_18 Depth=3
	s_or_b32 exec_lo, exec_lo, s42
	s_delay_alu instid0(SALU_CYCLE_1)
	s_and_not1_b32 s41, s41, exec_lo
	s_branch .LBB156_17
.LBB156_36:
	s_or_b32 exec_lo, exec_lo, s1
.LBB156_37:
	s_delay_alu instid0(SALU_CYCLE_1)
	s_and_not1_b32 vcc_lo, exec_lo, s33
	s_cbranch_vccnz .LBB156_62
; %bb.38:
	s_waitcnt lgkmcnt(0)
	s_lshl_b64 s[2:3], s[30:31], 3
	v_sub_co_u32 v5, s1, v0, s23
	s_add_u32 s2, s4, s2
	s_addc_u32 s3, s5, s3
	v_sub_co_ci_u32_e64 v6, null, 0, 0, s1
	s_load_b128 s[12:15], s[2:3], 0x0
	s_mov_b32 s1, 0
	s_mov_b32 s4, exec_lo
	s_waitcnt lgkmcnt(0)
	v_add_co_u32 v5, vcc_lo, s12, v5
	v_add_co_ci_u32_e32 v6, vcc_lo, s13, v6, vcc_lo
	s_sub_u32 s2, s14, s23
	s_subb_u32 s3, s15, 0
	s_delay_alu instid0(VALU_DEP_1) | instid1(SALU_CYCLE_1)
	v_cmpx_gt_i64_e64 s[2:3], v[5:6]
	s_cbranch_execz .LBB156_61
; %bb.39:
	s_mov_b32 s5, s23
	s_branch .LBB156_41
.LBB156_40:                             ;   in Loop: Header=BB156_41 Depth=1
	s_or_b32 exec_lo, exec_lo, s12
	v_add_co_u32 v5, vcc_lo, 0x80, v5
	v_add_co_ci_u32_e32 v6, vcc_lo, 0, v6, vcc_lo
	s_delay_alu instid0(VALU_DEP_1) | instskip(SKIP_1) | instid1(SALU_CYCLE_1)
	v_cmp_le_i64_e32 vcc_lo, s[2:3], v[5:6]
	s_or_b32 s1, vcc_lo, s1
	s_and_not1_b32 exec_lo, exec_lo, s1
	s_cbranch_execz .LBB156_61
.LBB156_41:                             ; =>This Loop Header: Depth=1
                                        ;     Child Loop BB156_43 Depth 2
                                        ;       Child Loop BB156_49 Depth 3
                                        ;       Child Loop BB156_51 Depth 3
	;; [unrolled: 1-line block ×4, first 2 shown]
	v_lshlrev_b64 v[7:8], 4, v[5:6]
	s_mov_b32 s12, 0
	s_delay_alu instid0(VALU_DEP_1) | instskip(NEXT) | instid1(VALU_DEP_2)
	v_add_co_u32 v7, vcc_lo, s8, v7
	v_add_co_ci_u32_e32 v8, vcc_lo, s9, v8, vcc_lo
	global_load_b128 v[9:12], v[7:8], off
	v_lshlrev_b64 v[7:8], 3, v[5:6]
	s_delay_alu instid0(VALU_DEP_1) | instskip(NEXT) | instid1(VALU_DEP_2)
	v_add_co_u32 v7, vcc_lo, s6, v7
	v_add_co_ci_u32_e32 v8, vcc_lo, s7, v8, vcc_lo
	global_load_b64 v[13:14], v[7:8], off
	s_waitcnt vmcnt(1)
	v_mul_f64 v[7:8], v[11:12], -v[1:2]
	v_mul_f64 v[11:12], v[3:4], v[11:12]
	s_delay_alu instid0(VALU_DEP_2) | instskip(NEXT) | instid1(VALU_DEP_2)
	v_fma_f64 v[7:8], v[3:4], v[9:10], v[7:8]
	v_fma_f64 v[9:10], v[1:2], v[9:10], v[11:12]
	s_waitcnt vmcnt(0)
	v_sub_co_u32 v11, vcc_lo, v13, s5
	v_subrev_co_ci_u32_e32 v12, vcc_lo, 0, v14, vcc_lo
	s_delay_alu instid0(VALU_DEP_2) | instskip(NEXT) | instid1(VALU_DEP_1)
	v_mul_lo_u32 v13, 0x89, v11
	v_and_b32_e32 v15, 0xff, v13
	s_branch .LBB156_43
.LBB156_42:                             ;   in Loop: Header=BB156_43 Depth=2
	s_or_b32 exec_lo, exec_lo, s13
	s_xor_b32 s13, s14, -1
	s_delay_alu instid0(SALU_CYCLE_1) | instskip(NEXT) | instid1(SALU_CYCLE_1)
	s_and_b32 s13, exec_lo, s13
	s_or_b32 s12, s13, s12
	s_delay_alu instid0(SALU_CYCLE_1)
	s_and_not1_b32 exec_lo, exec_lo, s12
	s_cbranch_execz .LBB156_40
.LBB156_43:                             ;   Parent Loop BB156_41 Depth=1
                                        ; =>  This Loop Header: Depth=2
                                        ;       Child Loop BB156_49 Depth 3
                                        ;       Child Loop BB156_51 Depth 3
	;; [unrolled: 1-line block ×4, first 2 shown]
	s_delay_alu instid0(VALU_DEP_1)
	v_lshl_add_u32 v16, v15, 3, 0
	s_mov_b32 s13, exec_lo
                                        ; implicit-def: $sgpr14
	ds_load_b64 v[13:14], v16
	s_waitcnt lgkmcnt(0)
	v_cmpx_ne_u64_e64 v[13:14], v[11:12]
	s_xor_b32 s13, exec_lo, s13
	s_cbranch_execz .LBB156_55
; %bb.44:                               ;   in Loop: Header=BB156_43 Depth=2
	s_mov_b32 s15, exec_lo
                                        ; implicit-def: $sgpr14
	v_cmpx_ne_u64_e64 s[28:29], v[13:14]
	s_xor_b32 s15, exec_lo, s15
; %bb.45:                               ;   in Loop: Header=BB156_43 Depth=2
	v_add_nc_u32_e32 v13, 1, v15
	s_mov_b32 s14, -1
                                        ; implicit-def: $vgpr16
	s_delay_alu instid0(VALU_DEP_1)
	v_and_b32_e32 v15, 0xff, v13
; %bb.46:                               ;   in Loop: Header=BB156_43 Depth=2
	s_and_not1_saveexec_b32 s15, s15
	s_cbranch_execz .LBB156_54
; %bb.47:                               ;   in Loop: Header=BB156_43 Depth=2
	v_dual_mov_b32 v13, s28 :: v_dual_mov_b32 v14, s29
	s_mov_b32 s17, -1
	s_mov_b32 s16, exec_lo
	ds_cmpstore_rtn_b64 v[13:14], v16, v[11:12], v[13:14]
	s_waitcnt lgkmcnt(0)
	v_cmpx_eq_u64_e64 s[28:29], v[13:14]
	s_cbranch_execz .LBB156_53
; %bb.48:                               ;   in Loop: Header=BB156_43 Depth=2
	v_lshlrev_b32_e32 v13, 3, v15
	s_mov_b32 s17, 0
	s_delay_alu instid0(VALU_DEP_1)
	v_add_nc_u32_e32 v16, v16, v13
	ds_load_b64 v[13:14], v16 offset:2048
.LBB156_49:                             ;   Parent Loop BB156_41 Depth=1
                                        ;     Parent Loop BB156_43 Depth=2
                                        ; =>    This Inner Loop Header: Depth=3
	s_waitcnt lgkmcnt(0)
	v_add_f64 v[17:18], v[13:14], v[7:8]
	ds_cmpstore_rtn_b64 v[17:18], v16, v[17:18], v[13:14] offset:2048
	s_waitcnt lgkmcnt(0)
	v_cmp_eq_u64_e32 vcc_lo, v[17:18], v[13:14]
	v_dual_mov_b32 v13, v17 :: v_dual_mov_b32 v14, v18
	s_or_b32 s17, vcc_lo, s17
	s_delay_alu instid0(SALU_CYCLE_1)
	s_and_not1_b32 exec_lo, exec_lo, s17
	s_cbranch_execnz .LBB156_49
; %bb.50:                               ;   in Loop: Header=BB156_43 Depth=2
	s_or_b32 exec_lo, exec_lo, s17
	ds_load_b64 v[13:14], v16 offset:2056
	s_mov_b32 s17, 0
.LBB156_51:                             ;   Parent Loop BB156_41 Depth=1
                                        ;     Parent Loop BB156_43 Depth=2
                                        ; =>    This Inner Loop Header: Depth=3
	s_waitcnt lgkmcnt(0)
	v_add_f64 v[17:18], v[13:14], v[9:10]
	ds_cmpstore_rtn_b64 v[17:18], v16, v[17:18], v[13:14] offset:2056
	s_waitcnt lgkmcnt(0)
	v_cmp_eq_u64_e32 vcc_lo, v[17:18], v[13:14]
	v_dual_mov_b32 v13, v17 :: v_dual_mov_b32 v14, v18
	s_or_b32 s17, vcc_lo, s17
	s_delay_alu instid0(SALU_CYCLE_1)
	s_and_not1_b32 exec_lo, exec_lo, s17
	s_cbranch_execnz .LBB156_51
; %bb.52:                               ;   in Loop: Header=BB156_43 Depth=2
	s_or_b32 exec_lo, exec_lo, s17
	s_delay_alu instid0(SALU_CYCLE_1)
	s_xor_b32 s17, exec_lo, -1
.LBB156_53:                             ;   in Loop: Header=BB156_43 Depth=2
	s_or_b32 exec_lo, exec_lo, s16
	s_delay_alu instid0(SALU_CYCLE_1) | instskip(SKIP_1) | instid1(SALU_CYCLE_1)
	s_and_not1_b32 s14, s14, exec_lo
	s_and_b32 s16, s17, exec_lo
	s_or_b32 s14, s14, s16
.LBB156_54:                             ;   in Loop: Header=BB156_43 Depth=2
	s_or_b32 exec_lo, exec_lo, s15
	s_delay_alu instid0(SALU_CYCLE_1)
	s_and_b32 s14, s14, exec_lo
                                        ; implicit-def: $vgpr16
.LBB156_55:                             ;   in Loop: Header=BB156_43 Depth=2
	s_and_not1_saveexec_b32 s13, s13
	s_cbranch_execz .LBB156_42
; %bb.56:                               ;   in Loop: Header=BB156_43 Depth=2
	v_lshlrev_b32_e32 v13, 3, v15
	s_mov_b32 s15, 0
	s_delay_alu instid0(VALU_DEP_1)
	v_add_nc_u32_e32 v16, v16, v13
	ds_load_b64 v[13:14], v16 offset:2048
.LBB156_57:                             ;   Parent Loop BB156_41 Depth=1
                                        ;     Parent Loop BB156_43 Depth=2
                                        ; =>    This Inner Loop Header: Depth=3
	s_waitcnt lgkmcnt(0)
	v_add_f64 v[17:18], v[13:14], v[7:8]
	ds_cmpstore_rtn_b64 v[17:18], v16, v[17:18], v[13:14] offset:2048
	s_waitcnt lgkmcnt(0)
	v_cmp_eq_u64_e32 vcc_lo, v[17:18], v[13:14]
	v_dual_mov_b32 v13, v17 :: v_dual_mov_b32 v14, v18
	s_or_b32 s15, vcc_lo, s15
	s_delay_alu instid0(SALU_CYCLE_1)
	s_and_not1_b32 exec_lo, exec_lo, s15
	s_cbranch_execnz .LBB156_57
; %bb.58:                               ;   in Loop: Header=BB156_43 Depth=2
	s_or_b32 exec_lo, exec_lo, s15
	ds_load_b64 v[13:14], v16 offset:2056
	s_mov_b32 s15, 0
.LBB156_59:                             ;   Parent Loop BB156_41 Depth=1
                                        ;     Parent Loop BB156_43 Depth=2
                                        ; =>    This Inner Loop Header: Depth=3
	s_waitcnt lgkmcnt(0)
	v_add_f64 v[17:18], v[13:14], v[9:10]
	ds_cmpstore_rtn_b64 v[17:18], v16, v[17:18], v[13:14] offset:2056
	s_waitcnt lgkmcnt(0)
	v_cmp_eq_u64_e32 vcc_lo, v[17:18], v[13:14]
	v_dual_mov_b32 v13, v17 :: v_dual_mov_b32 v14, v18
	s_or_b32 s15, vcc_lo, s15
	s_delay_alu instid0(SALU_CYCLE_1)
	s_and_not1_b32 exec_lo, exec_lo, s15
	s_cbranch_execnz .LBB156_59
; %bb.60:                               ;   in Loop: Header=BB156_43 Depth=2
	s_or_b32 exec_lo, exec_lo, s15
	s_delay_alu instid0(SALU_CYCLE_1)
	s_and_not1_b32 s14, s14, exec_lo
	s_branch .LBB156_42
.LBB156_61:
	s_or_b32 exec_lo, exec_lo, s4
.LBB156_62:
	s_waitcnt lgkmcnt(0)
	s_barrier
	buffer_gl0_inv
	s_and_saveexec_b32 s4, s0
	s_cbranch_execz .LBB156_75
; %bb.63:
	v_mbcnt_lo_u32_b32 v1, -1, 0
	v_lshrrev_b32_e32 v2, 2, v0
	v_cmp_eq_u32_e32 vcc_lo, 0x7f, v0
	v_cmp_lt_u32_e64 s0, 31, v0
	v_cmp_lt_u32_e64 s1, 63, v0
	v_xor_b32_e32 v1, 63, v1
	v_and_b32_e32 v3, 24, v2
	v_cmp_lt_u32_e64 s2, 0x5f, v0
	v_add3_u32 v10, v29, 0, 0x800
	v_mov_b32_e32 v5, 0
	v_lshrrev_b64 v[1:2], v1, -1
	v_dual_mov_b32 v2, 0 :: v_dual_add_nc_u32 v11, 0, v3
	v_mov_b32_e32 v3, 0
	s_mov_b32 s5, 0
	s_branch .LBB156_65
.LBB156_64:                             ;   in Loop: Header=BB156_65 Depth=1
	s_or_b32 exec_lo, exec_lo, s3
	s_waitcnt lgkmcnt(0)
	s_barrier
	buffer_gl0_inv
	ds_load_b64 v[6:7], v5 offset:6168
	v_add_co_u32 v27, s3, 0x80, v27
	s_delay_alu instid0(VALU_DEP_1) | instskip(SKIP_4) | instid1(VALU_DEP_1)
	s_xor_b32 s6, s3, -1
	v_add_nc_u32_e32 v10, 0x800, v10
	v_add_nc_u32_e32 v28, 0x400, v28
	s_waitcnt lgkmcnt(0)
	v_add_co_u32 v2, s3, v6, v2
	v_add_co_ci_u32_e64 v3, s3, v7, v3, s3
	s_and_b32 s3, exec_lo, s6
	s_delay_alu instid0(SALU_CYCLE_1) | instskip(NEXT) | instid1(SALU_CYCLE_1)
	s_or_b32 s5, s3, s5
	s_and_not1_b32 exec_lo, exec_lo, s5
	s_cbranch_execz .LBB156_75
.LBB156_65:                             ; =>This Inner Loop Header: Depth=1
	ds_load_b64 v[6:7], v28
	ds_load_2addr_b64 v[12:15], v10 offset1:1
	s_waitcnt lgkmcnt(1)
	v_cmp_gt_i64_e64 s3, s[28:29], v[6:7]
	s_waitcnt lgkmcnt(0)
	scratch_store_b128 off, v[12:15], off
	s_waitcnt_vscnt null, 0x0
	s_barrier
	buffer_gl0_inv
	v_and_b32_e32 v8, s3, v1
	s_bcnt1_i32_b32 s6, s3
	s_delay_alu instid0(SALU_CYCLE_1) | instskip(NEXT) | instid1(VALU_DEP_2)
	v_mov_b32_e32 v4, s6
	v_bcnt_u32_b32 v8, v8, 0
	ds_store_b64 v11, v[4:5] offset:6144
	s_waitcnt lgkmcnt(0)
	s_barrier
	buffer_gl0_inv
	s_and_saveexec_b32 s6, s0
	s_cbranch_execnz .LBB156_70
; %bb.66:                               ;   in Loop: Header=BB156_65 Depth=1
	s_or_b32 exec_lo, exec_lo, s6
	s_and_saveexec_b32 s6, s1
	s_cbranch_execnz .LBB156_71
.LBB156_67:                             ;   in Loop: Header=BB156_65 Depth=1
	s_or_b32 exec_lo, exec_lo, s6
	s_and_saveexec_b32 s6, s2
	s_cbranch_execnz .LBB156_72
.LBB156_68:                             ;   in Loop: Header=BB156_65 Depth=1
	s_or_b32 exec_lo, exec_lo, s6
	v_ashrrev_i32_e32 v9, 31, v8
	s_and_saveexec_b32 s6, s3
	s_cbranch_execnz .LBB156_73
.LBB156_69:                             ;   in Loop: Header=BB156_65 Depth=1
	s_or_b32 exec_lo, exec_lo, s6
	s_and_saveexec_b32 s3, vcc_lo
	s_cbranch_execz .LBB156_64
	s_branch .LBB156_74
.LBB156_70:                             ;   in Loop: Header=BB156_65 Depth=1
	ds_load_b32 v4, v5 offset:6144
	s_waitcnt lgkmcnt(0)
	v_add_nc_u32_e32 v8, v4, v8
	s_or_b32 exec_lo, exec_lo, s6
	s_and_saveexec_b32 s6, s1
	s_cbranch_execz .LBB156_67
.LBB156_71:                             ;   in Loop: Header=BB156_65 Depth=1
	ds_load_b32 v4, v5 offset:6152
	s_waitcnt lgkmcnt(0)
	v_add_nc_u32_e32 v8, v8, v4
	s_or_b32 exec_lo, exec_lo, s6
	s_and_saveexec_b32 s6, s2
	s_cbranch_execz .LBB156_68
.LBB156_72:                             ;   in Loop: Header=BB156_65 Depth=1
	ds_load_b32 v4, v5 offset:6160
	s_waitcnt lgkmcnt(0)
	v_add_nc_u32_e32 v8, v8, v4
	s_or_b32 exec_lo, exec_lo, s6
	s_delay_alu instid0(VALU_DEP_1)
	v_ashrrev_i32_e32 v9, 31, v8
	s_and_saveexec_b32 s6, s3
	s_cbranch_execz .LBB156_69
.LBB156_73:                             ;   in Loop: Header=BB156_65 Depth=1
	scratch_load_b128 v[12:15], off, off
	v_add3_u32 v4, v2, -1, v8
	s_delay_alu instid0(VALU_DEP_1) | instskip(SKIP_1) | instid1(VALU_DEP_2)
	v_lshlrev_b32_e32 v16, 4, v4
	v_lshl_add_u32 v4, v4, 3, 0
	v_add3_u32 v16, 0, v16, 0x800
	ds_store_b64 v4, v[6:7]
	s_waitcnt vmcnt(0)
	ds_store_2addr_b64 v16, v[12:13], v[14:15] offset1:1
	s_or_b32 exec_lo, exec_lo, s6
	s_and_saveexec_b32 s3, vcc_lo
	s_cbranch_execz .LBB156_64
.LBB156_74:                             ;   in Loop: Header=BB156_65 Depth=1
	ds_store_b64 v5, v[8:9] offset:6168
	s_branch .LBB156_64
.LBB156_75:
	s_or_b32 exec_lo, exec_lo, s4
	s_lshl_b64 s[0:1], s[30:31], 3
	v_mov_b32_e32 v1, 0
	s_add_u32 s0, s10, s0
	s_addc_u32 s1, s11, s1
	s_mov_b32 s6, exec_lo
	s_load_b128 s[0:3], s[0:1], 0x0
	s_waitcnt lgkmcnt(0)
	s_sub_u32 s4, s2, s0
	s_subb_u32 s5, s3, s1
	s_delay_alu instid0(SALU_CYCLE_1)
	v_cmpx_gt_i64_e64 s[4:5], v[0:1]
	s_cbranch_execz .LBB156_85
; %bb.76:
	s_sub_u32 s8, s0, s22
	s_subb_u32 s9, s1, 0
	s_and_b32 s6, s4, 7
	s_sub_u32 s0, s0, s2
	s_subb_u32 s1, s1, s3
	s_mov_b32 s7, 0
	v_cmp_lt_u64_e64 s12, s[0:1], -7
	s_and_b32 s2, s4, -8
	s_cmp_lg_u64 s[6:7], 0
	s_mov_b32 s3, s5
	s_cselect_b32 s13, -1, 0
	s_mov_b32 s14, s7
	s_branch .LBB156_78
.LBB156_77:                             ;   in Loop: Header=BB156_78 Depth=1
	v_lshlrev_b32_e32 v7, 3, v0
	s_waitcnt lgkmcnt(0)
	v_add_co_u32 v2, vcc_lo, v2, s22
	v_lshlrev_b64 v[10:11], 3, v[4:5]
	v_add_co_ci_u32_e32 v3, vcc_lo, 0, v3, vcc_lo
	v_add3_u32 v6, v6, v7, 0x800
	v_add_co_u32 v0, vcc_lo, 0x80, v0
	v_add_co_ci_u32_e32 v1, vcc_lo, 0, v1, vcc_lo
	ds_load_2addr_b64 v[6:9], v6 offset1:1
	v_lshlrev_b64 v[4:5], 4, v[4:5]
	v_add_co_u32 v10, vcc_lo, s24, v10
	v_add_co_ci_u32_e32 v11, vcc_lo, s25, v11, vcc_lo
	v_cmp_le_i64_e32 vcc_lo, s[4:5], v[0:1]
	s_delay_alu instid0(VALU_DEP_4) | instskip(NEXT) | instid1(VALU_DEP_1)
	v_add_co_u32 v4, s0, s26, v4
	v_add_co_ci_u32_e64 v5, s0, s27, v5, s0
	global_store_b64 v[10:11], v[2:3], off
	s_waitcnt lgkmcnt(0)
	global_store_b128 v[4:5], v[6:9], off
	s_or_b32 s14, vcc_lo, s14
	s_delay_alu instid0(SALU_CYCLE_1)
	s_and_not1_b32 exec_lo, exec_lo, s14
	s_cbranch_execz .LBB156_85
.LBB156_78:                             ; =>This Loop Header: Depth=1
                                        ;     Child Loop BB156_80 Depth 2
                                        ;     Child Loop BB156_84 Depth 2
	v_lshl_add_u32 v6, v0, 3, 0
	v_dual_mov_b32 v4, s8 :: v_dual_mov_b32 v5, s9
	s_and_not1_b32 vcc_lo, exec_lo, s12
	s_mov_b64 s[0:1], 0
	ds_load_b64 v[2:3], v6
	s_cbranch_vccnz .LBB156_82
; %bb.79:                               ;   in Loop: Header=BB156_78 Depth=1
	v_dual_mov_b32 v4, s8 :: v_dual_mov_b32 v5, s9
	s_mov_b64 s[10:11], 0
	s_mov_b32 s1, 0
.LBB156_80:                             ;   Parent Loop BB156_78 Depth=1
                                        ; =>  This Inner Loop Header: Depth=2
	s_delay_alu instid0(SALU_CYCLE_1)
	v_mov_b32_e32 v19, s1
	s_add_u32 s10, s10, 8
	s_addc_u32 s11, s11, 0
	s_add_i32 s1, s1, 64
	s_cmp_eq_u64 s[2:3], s[10:11]
	ds_load_2addr_b64 v[7:10], v19 offset1:1
	ds_load_2addr_b64 v[11:14], v19 offset0:2 offset1:3
	ds_load_2addr_b64 v[15:18], v19 offset0:4 offset1:5
	;; [unrolled: 1-line block ×3, first 2 shown]
	s_waitcnt lgkmcnt(3)
	v_cmp_gt_i64_e32 vcc_lo, v[2:3], v[7:8]
	v_cndmask_b32_e64 v7, 0, 1, vcc_lo
	v_cmp_gt_i64_e32 vcc_lo, v[2:3], v[9:10]
	v_cndmask_b32_e64 v8, 0, 1, vcc_lo
	s_waitcnt lgkmcnt(2)
	v_cmp_gt_i64_e32 vcc_lo, v[2:3], v[11:12]
	v_cndmask_b32_e64 v9, 0, 1, vcc_lo
	v_cmp_gt_i64_e32 vcc_lo, v[2:3], v[13:14]
	v_cndmask_b32_e64 v10, 0, 1, vcc_lo
	s_waitcnt lgkmcnt(1)
	v_cmp_gt_i64_e32 vcc_lo, v[2:3], v[15:16]
	v_cndmask_b32_e64 v11, 0, 1, vcc_lo
	v_add_co_u32 v4, vcc_lo, v4, v7
	v_add_co_ci_u32_e32 v5, vcc_lo, 0, v5, vcc_lo
	v_cmp_gt_i64_e32 vcc_lo, v[2:3], v[17:18]
	s_delay_alu instid0(VALU_DEP_3) | instskip(NEXT) | instid1(VALU_DEP_1)
	v_add_co_u32 v4, s0, v4, v8
	v_add_co_ci_u32_e64 v5, s0, 0, v5, s0
	v_cndmask_b32_e64 v7, 0, 1, vcc_lo
	s_delay_alu instid0(VALU_DEP_3) | instskip(NEXT) | instid1(VALU_DEP_3)
	v_add_co_u32 v4, vcc_lo, v4, v9
	v_add_co_ci_u32_e32 v5, vcc_lo, 0, v5, vcc_lo
	s_waitcnt lgkmcnt(0)
	v_cmp_gt_i64_e32 vcc_lo, v[2:3], v[19:20]
	s_delay_alu instid0(VALU_DEP_3) | instskip(NEXT) | instid1(VALU_DEP_1)
	v_add_co_u32 v4, s0, v4, v10
	v_add_co_ci_u32_e64 v5, s0, 0, v5, s0
	v_cndmask_b32_e64 v8, 0, 1, vcc_lo
	s_delay_alu instid0(VALU_DEP_3) | instskip(NEXT) | instid1(VALU_DEP_3)
	v_add_co_u32 v4, vcc_lo, v4, v11
	v_add_co_ci_u32_e32 v5, vcc_lo, 0, v5, vcc_lo
	v_cmp_gt_i64_e32 vcc_lo, v[2:3], v[21:22]
	s_delay_alu instid0(VALU_DEP_3) | instskip(NEXT) | instid1(VALU_DEP_1)
	v_add_co_u32 v4, s0, v4, v7
	v_add_co_ci_u32_e64 v5, s0, 0, v5, s0
	v_cndmask_b32_e64 v7, 0, 1, vcc_lo
	s_delay_alu instid0(VALU_DEP_3) | instskip(NEXT) | instid1(VALU_DEP_3)
	v_add_co_u32 v4, vcc_lo, v4, v8
	v_add_co_ci_u32_e32 v5, vcc_lo, 0, v5, vcc_lo
	s_delay_alu instid0(VALU_DEP_2) | instskip(NEXT) | instid1(VALU_DEP_2)
	v_add_co_u32 v4, vcc_lo, v4, v7
	v_add_co_ci_u32_e32 v5, vcc_lo, 0, v5, vcc_lo
	s_cbranch_scc0 .LBB156_80
; %bb.81:                               ;   in Loop: Header=BB156_78 Depth=1
	s_mov_b64 s[0:1], s[2:3]
.LBB156_82:                             ;   in Loop: Header=BB156_78 Depth=1
	s_and_not1_b32 vcc_lo, exec_lo, s13
	s_cbranch_vccnz .LBB156_77
; %bb.83:                               ;   in Loop: Header=BB156_78 Depth=1
	s_lshl_b32 s0, s0, 3
	s_delay_alu instid0(SALU_CYCLE_1)
	s_add_i32 s10, s0, 0
	s_mov_b64 s[0:1], s[6:7]
.LBB156_84:                             ;   Parent Loop BB156_78 Depth=1
                                        ; =>  This Inner Loop Header: Depth=2
	v_mov_b32_e32 v7, s10
	s_add_i32 s10, s10, 8
	s_add_u32 s0, s0, -1
	s_addc_u32 s1, s1, -1
	s_delay_alu instid0(SALU_CYCLE_1) | instskip(SKIP_4) | instid1(VALU_DEP_1)
	s_cmp_lg_u64 s[0:1], 0
	ds_load_b64 v[7:8], v7
	s_waitcnt lgkmcnt(0)
	v_cmp_gt_i64_e32 vcc_lo, v[2:3], v[7:8]
	v_cndmask_b32_e64 v7, 0, 1, vcc_lo
	v_add_co_u32 v4, vcc_lo, v4, v7
	v_add_co_ci_u32_e32 v5, vcc_lo, 0, v5, vcc_lo
	s_cbranch_scc1 .LBB156_84
	s_branch .LBB156_77
.LBB156_85:
	s_nop 0
	s_sendmsg sendmsg(MSG_DEALLOC_VGPRS)
	s_endpgm
	.section	.rodata,"a",@progbits
	.p2align	6, 0x0
	.amdhsa_kernel _ZN9rocsparseL26csrgemm_fill_block_per_rowILj128ELj16ELj256ELj137ELj32Ell21rocsparse_complex_numIdEEEvT5_PKS3_S5_NS_24const_host_device_scalarIT6_EEPKT4_S5_PKS7_SB_S5_SD_S8_SB_S5_SD_SB_PS3_PS7_21rocsparse_index_base_SG_SG_SG_bbb
		.amdhsa_group_segment_fixed_size 0
		.amdhsa_private_segment_fixed_size 40
		.amdhsa_kernarg_size 172
		.amdhsa_user_sgpr_count 15
		.amdhsa_user_sgpr_dispatch_ptr 0
		.amdhsa_user_sgpr_queue_ptr 0
		.amdhsa_user_sgpr_kernarg_segment_ptr 1
		.amdhsa_user_sgpr_dispatch_id 0
		.amdhsa_user_sgpr_private_segment_size 0
		.amdhsa_wavefront_size32 1
		.amdhsa_uses_dynamic_stack 0
		.amdhsa_enable_private_segment 1
		.amdhsa_system_sgpr_workgroup_id_x 1
		.amdhsa_system_sgpr_workgroup_id_y 0
		.amdhsa_system_sgpr_workgroup_id_z 0
		.amdhsa_system_sgpr_workgroup_info 0
		.amdhsa_system_vgpr_workitem_id 0
		.amdhsa_next_free_vgpr 36
		.amdhsa_next_free_sgpr 46
		.amdhsa_reserve_vcc 1
		.amdhsa_float_round_mode_32 0
		.amdhsa_float_round_mode_16_64 0
		.amdhsa_float_denorm_mode_32 3
		.amdhsa_float_denorm_mode_16_64 3
		.amdhsa_dx10_clamp 1
		.amdhsa_ieee_mode 1
		.amdhsa_fp16_overflow 0
		.amdhsa_workgroup_processor_mode 1
		.amdhsa_memory_ordered 1
		.amdhsa_forward_progress 0
		.amdhsa_shared_vgpr_count 0
		.amdhsa_exception_fp_ieee_invalid_op 0
		.amdhsa_exception_fp_denorm_src 0
		.amdhsa_exception_fp_ieee_div_zero 0
		.amdhsa_exception_fp_ieee_overflow 0
		.amdhsa_exception_fp_ieee_underflow 0
		.amdhsa_exception_fp_ieee_inexact 0
		.amdhsa_exception_int_div_zero 0
	.end_amdhsa_kernel
	.section	.text._ZN9rocsparseL26csrgemm_fill_block_per_rowILj128ELj16ELj256ELj137ELj32Ell21rocsparse_complex_numIdEEEvT5_PKS3_S5_NS_24const_host_device_scalarIT6_EEPKT4_S5_PKS7_SB_S5_SD_S8_SB_S5_SD_SB_PS3_PS7_21rocsparse_index_base_SG_SG_SG_bbb,"axG",@progbits,_ZN9rocsparseL26csrgemm_fill_block_per_rowILj128ELj16ELj256ELj137ELj32Ell21rocsparse_complex_numIdEEEvT5_PKS3_S5_NS_24const_host_device_scalarIT6_EEPKT4_S5_PKS7_SB_S5_SD_S8_SB_S5_SD_SB_PS3_PS7_21rocsparse_index_base_SG_SG_SG_bbb,comdat
.Lfunc_end156:
	.size	_ZN9rocsparseL26csrgemm_fill_block_per_rowILj128ELj16ELj256ELj137ELj32Ell21rocsparse_complex_numIdEEEvT5_PKS3_S5_NS_24const_host_device_scalarIT6_EEPKT4_S5_PKS7_SB_S5_SD_S8_SB_S5_SD_SB_PS3_PS7_21rocsparse_index_base_SG_SG_SG_bbb, .Lfunc_end156-_ZN9rocsparseL26csrgemm_fill_block_per_rowILj128ELj16ELj256ELj137ELj32Ell21rocsparse_complex_numIdEEEvT5_PKS3_S5_NS_24const_host_device_scalarIT6_EEPKT4_S5_PKS7_SB_S5_SD_S8_SB_S5_SD_SB_PS3_PS7_21rocsparse_index_base_SG_SG_SG_bbb
                                        ; -- End function
	.section	.AMDGPU.csdata,"",@progbits
; Kernel info:
; codeLenInByte = 3860
; NumSgprs: 48
; NumVgprs: 36
; ScratchSize: 40
; MemoryBound: 0
; FloatMode: 240
; IeeeMode: 1
; LDSByteSize: 0 bytes/workgroup (compile time only)
; SGPRBlocks: 5
; VGPRBlocks: 4
; NumSGPRsForWavesPerEU: 48
; NumVGPRsForWavesPerEU: 36
; Occupancy: 16
; WaveLimiterHint : 1
; COMPUTE_PGM_RSRC2:SCRATCH_EN: 1
; COMPUTE_PGM_RSRC2:USER_SGPR: 15
; COMPUTE_PGM_RSRC2:TRAP_HANDLER: 0
; COMPUTE_PGM_RSRC2:TGID_X_EN: 1
; COMPUTE_PGM_RSRC2:TGID_Y_EN: 0
; COMPUTE_PGM_RSRC2:TGID_Z_EN: 0
; COMPUTE_PGM_RSRC2:TIDIG_COMP_CNT: 0
	.section	.text._ZN9rocsparseL26csrgemm_fill_block_per_rowILj128ELj16ELj256ELj137ELj64Ell21rocsparse_complex_numIdEEEvT5_PKS3_S5_NS_24const_host_device_scalarIT6_EEPKT4_S5_PKS7_SB_S5_SD_S8_SB_S5_SD_SB_PS3_PS7_21rocsparse_index_base_SG_SG_SG_bbb,"axG",@progbits,_ZN9rocsparseL26csrgemm_fill_block_per_rowILj128ELj16ELj256ELj137ELj64Ell21rocsparse_complex_numIdEEEvT5_PKS3_S5_NS_24const_host_device_scalarIT6_EEPKT4_S5_PKS7_SB_S5_SD_S8_SB_S5_SD_SB_PS3_PS7_21rocsparse_index_base_SG_SG_SG_bbb,comdat
	.globl	_ZN9rocsparseL26csrgemm_fill_block_per_rowILj128ELj16ELj256ELj137ELj64Ell21rocsparse_complex_numIdEEEvT5_PKS3_S5_NS_24const_host_device_scalarIT6_EEPKT4_S5_PKS7_SB_S5_SD_S8_SB_S5_SD_SB_PS3_PS7_21rocsparse_index_base_SG_SG_SG_bbb ; -- Begin function _ZN9rocsparseL26csrgemm_fill_block_per_rowILj128ELj16ELj256ELj137ELj64Ell21rocsparse_complex_numIdEEEvT5_PKS3_S5_NS_24const_host_device_scalarIT6_EEPKT4_S5_PKS7_SB_S5_SD_S8_SB_S5_SD_SB_PS3_PS7_21rocsparse_index_base_SG_SG_SG_bbb
	.p2align	8
	.type	_ZN9rocsparseL26csrgemm_fill_block_per_rowILj128ELj16ELj256ELj137ELj64Ell21rocsparse_complex_numIdEEEvT5_PKS3_S5_NS_24const_host_device_scalarIT6_EEPKT4_S5_PKS7_SB_S5_SD_S8_SB_S5_SD_SB_PS3_PS7_21rocsparse_index_base_SG_SG_SG_bbb,@function
_ZN9rocsparseL26csrgemm_fill_block_per_rowILj128ELj16ELj256ELj137ELj64Ell21rocsparse_complex_numIdEEEvT5_PKS3_S5_NS_24const_host_device_scalarIT6_EEPKT4_S5_PKS7_SB_S5_SD_S8_SB_S5_SD_SB_PS3_PS7_21rocsparse_index_base_SG_SG_SG_bbb: ; @_ZN9rocsparseL26csrgemm_fill_block_per_rowILj128ELj16ELj256ELj137ELj64Ell21rocsparse_complex_numIdEEEvT5_PKS3_S5_NS_24const_host_device_scalarIT6_EEPKT4_S5_PKS7_SB_S5_SD_S8_SB_S5_SD_SB_PS3_PS7_21rocsparse_index_base_SG_SG_SG_bbb
; %bb.0:
	s_clause 0x2
	s_load_b32 s12, s[0:1], 0xa8
	s_load_b128 s[8:11], s[0:1], 0x18
	s_load_b128 s[4:7], s[0:1], 0x58
	v_mov_b32_e32 v1, 0
	v_mov_b32_e32 v2, 0
	s_mov_b32 s34, s15
	s_waitcnt lgkmcnt(0)
	s_bitcmp1_b32 s12, 0
	v_mov_b32_e32 v3, s8
	s_cselect_b32 s42, -1, 0
	s_bitcmp1_b32 s12, 16
	v_dual_mov_b32 v6, v2 :: v_dual_mov_b32 v5, v1
	s_cselect_b32 s2, -1, 0
	v_mov_b32_e32 v4, s9
	s_xor_b32 s3, s2, -1
	v_dual_mov_b32 v10, s5 :: v_dual_mov_b32 v9, s4
	v_cndmask_b32_e64 v7, 0, 1, s3
	s_bitcmp0_b32 s12, 0
	s_clause 0x1
	scratch_store_b64 off, v[3:4], off offset:16
	scratch_store_b64 off, v[9:10], off offset:24
	v_cmp_ne_u32_e32 vcc_lo, 1, v7
	v_dual_mov_b32 v8, v2 :: v_dual_mov_b32 v7, v1
	s_cbranch_scc1 .LBB157_3
; %bb.1:
	s_mov_b64 s[14:15], src_private_base
	s_and_b32 s13, s2, exec_lo
	s_cselect_b32 s13, s15, s9
	s_delay_alu instid0(SALU_CYCLE_1) | instskip(SKIP_2) | instid1(VALU_DEP_2)
	v_dual_mov_b32 v3, 16 :: v_dual_mov_b32 v4, s13
	v_dual_mov_b32 v7, s10 :: v_dual_mov_b32 v8, s11
	s_and_b32 vcc_lo, exec_lo, vcc_lo
	v_cndmask_b32_e64 v3, s8, v3, s2
	flat_load_b64 v[5:6], v[3:4]
	s_cbranch_vccnz .LBB157_3
; %bb.2:
	v_dual_mov_b32 v3, s8 :: v_dual_mov_b32 v4, s9
	flat_load_b64 v[7:8], v[3:4] offset:8
.LBB157_3:
	s_load_b128 s[20:23], s[0:1], 0x98
	s_bitcmp1_b32 s12, 8
	v_dual_mov_b32 v4, v2 :: v_dual_mov_b32 v3, v1
	s_cselect_b32 s33, -1, 0
	s_bfe_u32 s8, s12, 0x10008
	s_delay_alu instid0(SALU_CYCLE_1)
	s_cmp_eq_u32 s8, 0
	s_cbranch_scc1 .LBB157_6
; %bb.4:
	s_mov_b64 s[8:9], src_private_base
	s_and_b32 s8, s2, exec_lo
	s_cselect_b32 s8, s9, s5
	s_delay_alu instid0(SALU_CYCLE_1) | instskip(SKIP_1) | instid1(VALU_DEP_1)
	v_dual_mov_b32 v1, 24 :: v_dual_mov_b32 v2, s8
	s_and_not1_b32 vcc_lo, exec_lo, s3
	v_cndmask_b32_e64 v1, s4, v1, s2
	flat_load_b64 v[3:4], v[1:2]
	v_dual_mov_b32 v1, s6 :: v_dual_mov_b32 v2, s7
	s_cbranch_vccnz .LBB157_6
; %bb.5:
	v_dual_mov_b32 v1, s4 :: v_dual_mov_b32 v2, s5
	flat_load_b64 v[1:2], v[1:2] offset:8
.LBB157_6:
	s_clause 0x5
	s_load_b128 s[24:27], s[0:1], 0x88
	s_load_b256 s[4:11], s[0:1], 0x68
	s_load_b128 s[36:39], s[0:1], 0x48
	s_load_b128 s[28:31], s[0:1], 0x0
	s_load_b64 s[2:3], s[0:1], 0x10
	s_load_b256 s[12:19], s[0:1], 0x28
	v_cmp_gt_u32_e64 s0, 0x100, v0
	v_lshlrev_b32_e32 v29, 4, v0
	v_or_b32_e32 v27, 0xffffff80, v0
	v_lshl_add_u32 v28, v0, 3, 0
	s_delay_alu instid0(VALU_DEP_4)
	s_and_saveexec_b32 s1, s0
	s_cbranch_execz .LBB157_9
; %bb.7:
	s_mov_b32 s40, 0
	v_add3_u32 v15, v29, 0, 0x800
	s_mov_b32 s41, s40
	s_mov_b32 s44, s40
	;; [unrolled: 1-line block ×3, first 2 shown]
	v_or_b32_e32 v16, 0xffffff80, v0
	v_lshl_add_u32 v17, v0, 3, 0
	s_waitcnt lgkmcnt(0)
	v_dual_mov_b32 v9, s28 :: v_dual_mov_b32 v10, s29
	v_dual_mov_b32 v11, s40 :: v_dual_mov_b32 v12, s41
	;; [unrolled: 1-line block ×3, first 2 shown]
.LBB157_8:                              ; =>This Inner Loop Header: Depth=1
	v_add_co_u32 v16, s35, 0x80, v16
	s_delay_alu instid0(VALU_DEP_1)
	s_xor_b32 s35, s35, -1
	ds_store_b64 v17, v[9:10]
	ds_store_2addr_b64 v15, v[11:12], v[13:14] offset1:1
	v_add_nc_u32_e32 v15, 0x800, v15
	v_add_nc_u32_e32 v17, 0x400, v17
	s_and_b32 s35, exec_lo, s35
	s_delay_alu instid0(SALU_CYCLE_1) | instskip(NEXT) | instid1(SALU_CYCLE_1)
	s_or_b32 s40, s35, s40
	s_and_not1_b32 exec_lo, exec_lo, s40
	s_cbranch_execnz .LBB157_8
.LBB157_9:
	s_or_b32 exec_lo, exec_lo, s1
	s_waitcnt vmcnt(0) lgkmcnt(0)
	s_waitcnt_vscnt null, 0x0
	s_barrier
	buffer_gl0_inv
	s_load_b64 s[30:31], s[30:31], 0x0
	s_mov_b32 s35, 0
	s_waitcnt lgkmcnt(0)
	s_lshl_b64 s[30:31], s[30:31], 3
	s_delay_alu instid0(SALU_CYCLE_1) | instskip(SKIP_2) | instid1(SALU_CYCLE_1)
	s_add_u32 s1, s2, s30
	s_addc_u32 s30, s3, s31
	s_lshl_b64 s[2:3], s[34:35], 3
	s_add_u32 s2, s1, s2
	s_addc_u32 s3, s30, s3
	s_and_b32 vcc_lo, exec_lo, s42
	s_load_b64 s[30:31], s[2:3], 0x0
	s_cbranch_vccz .LBB157_37
; %bb.10:
	s_waitcnt lgkmcnt(0)
	s_lshl_b64 s[2:3], s[30:31], 3
	v_lshrrev_b32_e32 v9, 4, v0
	s_add_u32 s2, s12, s2
	s_addc_u32 s3, s13, s3
	s_load_b128 s[40:43], s[2:3], 0x0
	s_delay_alu instid0(VALU_DEP_1) | instskip(NEXT) | instid1(VALU_DEP_1)
	v_sub_co_u32 v9, s1, v9, s20
	v_sub_co_ci_u32_e64 v10, null, 0, 0, s1
	s_mov_b32 s1, exec_lo
	s_waitcnt lgkmcnt(0)
	s_delay_alu instid0(VALU_DEP_2) | instskip(NEXT) | instid1(VALU_DEP_2)
	v_add_co_u32 v9, vcc_lo, s40, v9
	v_add_co_ci_u32_e32 v10, vcc_lo, s41, v10, vcc_lo
	s_sub_u32 s2, s42, s20
	s_subb_u32 s3, s43, 0
	s_delay_alu instid0(VALU_DEP_1) | instid1(SALU_CYCLE_1)
	v_cmpx_gt_i64_e64 s[2:3], v[9:10]
	s_cbranch_execz .LBB157_36
; %bb.11:
	v_and_b32_e32 v11, 15, v0
	s_mov_b32 s13, s21
	s_delay_alu instid0(VALU_DEP_1) | instskip(NEXT) | instid1(VALU_DEP_1)
	v_sub_co_u32 v30, s12, v11, s21
	v_sub_co_ci_u32_e64 v31, null, 0, 0, s12
	s_mov_b32 s12, 0
	s_branch .LBB157_13
.LBB157_12:                             ;   in Loop: Header=BB157_13 Depth=1
	s_or_b32 exec_lo, exec_lo, s21
	v_add_co_u32 v9, vcc_lo, v9, 8
	v_add_co_ci_u32_e32 v10, vcc_lo, 0, v10, vcc_lo
	s_delay_alu instid0(VALU_DEP_1) | instskip(SKIP_1) | instid1(SALU_CYCLE_1)
	v_cmp_le_i64_e32 vcc_lo, s[2:3], v[9:10]
	s_or_b32 s12, vcc_lo, s12
	s_and_not1_b32 exec_lo, exec_lo, s12
	s_cbranch_execz .LBB157_36
.LBB157_13:                             ; =>This Loop Header: Depth=1
                                        ;     Child Loop BB157_16 Depth 2
                                        ;       Child Loop BB157_18 Depth 3
                                        ;         Child Loop BB157_24 Depth 4
                                        ;         Child Loop BB157_26 Depth 4
	;; [unrolled: 1-line block ×4, first 2 shown]
	v_lshlrev_b64 v[11:12], 3, v[9:10]
	s_mov_b32 s21, exec_lo
	s_delay_alu instid0(VALU_DEP_1) | instskip(NEXT) | instid1(VALU_DEP_2)
	v_add_co_u32 v11, vcc_lo, s14, v11
	v_add_co_ci_u32_e32 v12, vcc_lo, s15, v12, vcc_lo
	global_load_b64 v[11:12], v[11:12], off
	s_waitcnt vmcnt(0)
	v_sub_co_u32 v11, vcc_lo, v11, s20
	v_subrev_co_ci_u32_e32 v12, vcc_lo, 0, v12, vcc_lo
	s_delay_alu instid0(VALU_DEP_1) | instskip(NEXT) | instid1(VALU_DEP_1)
	v_lshlrev_b64 v[11:12], 3, v[11:12]
	v_add_co_u32 v11, vcc_lo, s18, v11
	s_delay_alu instid0(VALU_DEP_2)
	v_add_co_ci_u32_e32 v12, vcc_lo, s19, v12, vcc_lo
	global_load_b128 v[13:16], v[11:12], off
	s_waitcnt vmcnt(0)
	v_sub_co_u32 v11, vcc_lo, v15, s13
	v_subrev_co_ci_u32_e32 v12, vcc_lo, 0, v16, vcc_lo
	v_add_co_u32 v13, vcc_lo, v13, v30
	v_add_co_ci_u32_e32 v14, vcc_lo, v14, v31, vcc_lo
	s_delay_alu instid0(VALU_DEP_1)
	v_cmpx_lt_i64_e64 v[13:14], v[11:12]
	s_cbranch_execz .LBB157_12
; %bb.14:                               ;   in Loop: Header=BB157_13 Depth=1
	v_lshlrev_b64 v[15:16], 4, v[9:10]
	s_mov_b32 s34, 0
	s_delay_alu instid0(VALU_DEP_1) | instskip(NEXT) | instid1(VALU_DEP_2)
	v_add_co_u32 v15, vcc_lo, s16, v15
	v_add_co_ci_u32_e32 v16, vcc_lo, s17, v16, vcc_lo
	global_load_b128 v[17:20], v[15:16], off
	s_waitcnt vmcnt(0)
	v_mul_f64 v[15:16], v[19:20], -v[7:8]
	v_mul_f64 v[19:20], v[5:6], v[19:20]
	s_delay_alu instid0(VALU_DEP_2) | instskip(NEXT) | instid1(VALU_DEP_2)
	v_fma_f64 v[15:16], v[5:6], v[17:18], v[15:16]
	v_fma_f64 v[17:18], v[7:8], v[17:18], v[19:20]
	s_branch .LBB157_16
.LBB157_15:                             ;   in Loop: Header=BB157_16 Depth=2
	s_or_b32 exec_lo, exec_lo, s35
	v_add_co_u32 v13, vcc_lo, v13, 16
	v_add_co_ci_u32_e32 v14, vcc_lo, 0, v14, vcc_lo
	s_delay_alu instid0(VALU_DEP_1) | instskip(SKIP_1) | instid1(SALU_CYCLE_1)
	v_cmp_ge_i64_e32 vcc_lo, v[13:14], v[11:12]
	s_or_b32 s34, vcc_lo, s34
	s_and_not1_b32 exec_lo, exec_lo, s34
	s_cbranch_execz .LBB157_12
.LBB157_16:                             ;   Parent Loop BB157_13 Depth=1
                                        ; =>  This Loop Header: Depth=2
                                        ;       Child Loop BB157_18 Depth 3
                                        ;         Child Loop BB157_24 Depth 4
                                        ;         Child Loop BB157_26 Depth 4
	;; [unrolled: 1-line block ×4, first 2 shown]
	v_lshlrev_b64 v[19:20], 4, v[13:14]
	s_mov_b32 s35, 0
	s_delay_alu instid0(VALU_DEP_1) | instskip(NEXT) | instid1(VALU_DEP_2)
	v_add_co_u32 v19, vcc_lo, s38, v19
	v_add_co_ci_u32_e32 v20, vcc_lo, s39, v20, vcc_lo
	global_load_b128 v[21:24], v[19:20], off
	v_lshlrev_b64 v[19:20], 3, v[13:14]
	s_delay_alu instid0(VALU_DEP_1) | instskip(NEXT) | instid1(VALU_DEP_2)
	v_add_co_u32 v19, vcc_lo, s36, v19
	v_add_co_ci_u32_e32 v20, vcc_lo, s37, v20, vcc_lo
	global_load_b64 v[25:26], v[19:20], off
	s_waitcnt vmcnt(1)
	v_mul_f64 v[19:20], v[23:24], -v[17:18]
	v_mul_f64 v[23:24], v[15:16], v[23:24]
	s_delay_alu instid0(VALU_DEP_2) | instskip(NEXT) | instid1(VALU_DEP_2)
	v_fma_f64 v[19:20], v[15:16], v[21:22], v[19:20]
	v_fma_f64 v[21:22], v[17:18], v[21:22], v[23:24]
	s_waitcnt vmcnt(0)
	v_sub_co_u32 v23, vcc_lo, v25, s13
	v_subrev_co_ci_u32_e32 v24, vcc_lo, 0, v26, vcc_lo
	s_delay_alu instid0(VALU_DEP_2) | instskip(NEXT) | instid1(VALU_DEP_1)
	v_mul_lo_u32 v25, 0x89, v23
	v_and_b32_e32 v32, 0xff, v25
	s_branch .LBB157_18
.LBB157_17:                             ;   in Loop: Header=BB157_18 Depth=3
	s_or_b32 exec_lo, exec_lo, s40
	s_xor_b32 s40, s41, -1
	s_delay_alu instid0(SALU_CYCLE_1) | instskip(NEXT) | instid1(SALU_CYCLE_1)
	s_and_b32 s40, exec_lo, s40
	s_or_b32 s35, s40, s35
	s_delay_alu instid0(SALU_CYCLE_1)
	s_and_not1_b32 exec_lo, exec_lo, s35
	s_cbranch_execz .LBB157_15
.LBB157_18:                             ;   Parent Loop BB157_13 Depth=1
                                        ;     Parent Loop BB157_16 Depth=2
                                        ; =>    This Loop Header: Depth=3
                                        ;         Child Loop BB157_24 Depth 4
                                        ;         Child Loop BB157_26 Depth 4
	;; [unrolled: 1-line block ×4, first 2 shown]
	s_delay_alu instid0(VALU_DEP_1)
	v_lshl_add_u32 v33, v32, 3, 0
	s_mov_b32 s40, exec_lo
                                        ; implicit-def: $sgpr41
	ds_load_b64 v[25:26], v33
	s_waitcnt lgkmcnt(0)
	v_cmpx_ne_u64_e64 v[25:26], v[23:24]
	s_xor_b32 s40, exec_lo, s40
	s_cbranch_execz .LBB157_30
; %bb.19:                               ;   in Loop: Header=BB157_18 Depth=3
	s_mov_b32 s42, exec_lo
                                        ; implicit-def: $sgpr41
	v_cmpx_ne_u64_e64 s[28:29], v[25:26]
	s_xor_b32 s42, exec_lo, s42
; %bb.20:                               ;   in Loop: Header=BB157_18 Depth=3
	v_add_nc_u32_e32 v25, 1, v32
	s_mov_b32 s41, -1
                                        ; implicit-def: $vgpr33
	s_delay_alu instid0(VALU_DEP_1)
	v_and_b32_e32 v32, 0xff, v25
; %bb.21:                               ;   in Loop: Header=BB157_18 Depth=3
	s_and_not1_saveexec_b32 s42, s42
	s_cbranch_execz .LBB157_29
; %bb.22:                               ;   in Loop: Header=BB157_18 Depth=3
	v_dual_mov_b32 v25, s28 :: v_dual_mov_b32 v26, s29
	s_mov_b32 s44, -1
	s_mov_b32 s43, exec_lo
	ds_cmpstore_rtn_b64 v[25:26], v33, v[23:24], v[25:26]
	s_waitcnt lgkmcnt(0)
	v_cmpx_eq_u64_e64 s[28:29], v[25:26]
	s_cbranch_execz .LBB157_28
; %bb.23:                               ;   in Loop: Header=BB157_18 Depth=3
	v_lshlrev_b32_e32 v25, 3, v32
	s_mov_b32 s44, 0
	s_delay_alu instid0(VALU_DEP_1)
	v_add_nc_u32_e32 v33, v33, v25
	ds_load_b64 v[25:26], v33 offset:2048
.LBB157_24:                             ;   Parent Loop BB157_13 Depth=1
                                        ;     Parent Loop BB157_16 Depth=2
                                        ;       Parent Loop BB157_18 Depth=3
                                        ; =>      This Inner Loop Header: Depth=4
	s_waitcnt lgkmcnt(0)
	v_add_f64 v[34:35], v[25:26], v[19:20]
	ds_cmpstore_rtn_b64 v[34:35], v33, v[34:35], v[25:26] offset:2048
	s_waitcnt lgkmcnt(0)
	v_cmp_eq_u64_e32 vcc_lo, v[34:35], v[25:26]
	v_dual_mov_b32 v25, v34 :: v_dual_mov_b32 v26, v35
	s_or_b32 s44, vcc_lo, s44
	s_delay_alu instid0(SALU_CYCLE_1)
	s_and_not1_b32 exec_lo, exec_lo, s44
	s_cbranch_execnz .LBB157_24
; %bb.25:                               ;   in Loop: Header=BB157_18 Depth=3
	s_or_b32 exec_lo, exec_lo, s44
	ds_load_b64 v[25:26], v33 offset:2056
	s_mov_b32 s44, 0
.LBB157_26:                             ;   Parent Loop BB157_13 Depth=1
                                        ;     Parent Loop BB157_16 Depth=2
                                        ;       Parent Loop BB157_18 Depth=3
                                        ; =>      This Inner Loop Header: Depth=4
	s_waitcnt lgkmcnt(0)
	v_add_f64 v[34:35], v[25:26], v[21:22]
	ds_cmpstore_rtn_b64 v[34:35], v33, v[34:35], v[25:26] offset:2056
	s_waitcnt lgkmcnt(0)
	v_cmp_eq_u64_e32 vcc_lo, v[34:35], v[25:26]
	v_dual_mov_b32 v25, v34 :: v_dual_mov_b32 v26, v35
	s_or_b32 s44, vcc_lo, s44
	s_delay_alu instid0(SALU_CYCLE_1)
	s_and_not1_b32 exec_lo, exec_lo, s44
	s_cbranch_execnz .LBB157_26
; %bb.27:                               ;   in Loop: Header=BB157_18 Depth=3
	s_or_b32 exec_lo, exec_lo, s44
	s_delay_alu instid0(SALU_CYCLE_1)
	s_xor_b32 s44, exec_lo, -1
.LBB157_28:                             ;   in Loop: Header=BB157_18 Depth=3
	s_or_b32 exec_lo, exec_lo, s43
	s_delay_alu instid0(SALU_CYCLE_1) | instskip(SKIP_1) | instid1(SALU_CYCLE_1)
	s_and_not1_b32 s41, s41, exec_lo
	s_and_b32 s43, s44, exec_lo
	s_or_b32 s41, s41, s43
.LBB157_29:                             ;   in Loop: Header=BB157_18 Depth=3
	s_or_b32 exec_lo, exec_lo, s42
	s_delay_alu instid0(SALU_CYCLE_1)
	s_and_b32 s41, s41, exec_lo
                                        ; implicit-def: $vgpr33
.LBB157_30:                             ;   in Loop: Header=BB157_18 Depth=3
	s_and_not1_saveexec_b32 s40, s40
	s_cbranch_execz .LBB157_17
; %bb.31:                               ;   in Loop: Header=BB157_18 Depth=3
	v_lshlrev_b32_e32 v25, 3, v32
	s_mov_b32 s42, 0
	s_delay_alu instid0(VALU_DEP_1)
	v_add_nc_u32_e32 v33, v33, v25
	ds_load_b64 v[25:26], v33 offset:2048
.LBB157_32:                             ;   Parent Loop BB157_13 Depth=1
                                        ;     Parent Loop BB157_16 Depth=2
                                        ;       Parent Loop BB157_18 Depth=3
                                        ; =>      This Inner Loop Header: Depth=4
	s_waitcnt lgkmcnt(0)
	v_add_f64 v[34:35], v[25:26], v[19:20]
	ds_cmpstore_rtn_b64 v[34:35], v33, v[34:35], v[25:26] offset:2048
	s_waitcnt lgkmcnt(0)
	v_cmp_eq_u64_e32 vcc_lo, v[34:35], v[25:26]
	v_dual_mov_b32 v25, v34 :: v_dual_mov_b32 v26, v35
	s_or_b32 s42, vcc_lo, s42
	s_delay_alu instid0(SALU_CYCLE_1)
	s_and_not1_b32 exec_lo, exec_lo, s42
	s_cbranch_execnz .LBB157_32
; %bb.33:                               ;   in Loop: Header=BB157_18 Depth=3
	s_or_b32 exec_lo, exec_lo, s42
	ds_load_b64 v[25:26], v33 offset:2056
	s_mov_b32 s42, 0
.LBB157_34:                             ;   Parent Loop BB157_13 Depth=1
                                        ;     Parent Loop BB157_16 Depth=2
                                        ;       Parent Loop BB157_18 Depth=3
                                        ; =>      This Inner Loop Header: Depth=4
	s_waitcnt lgkmcnt(0)
	v_add_f64 v[34:35], v[25:26], v[21:22]
	ds_cmpstore_rtn_b64 v[34:35], v33, v[34:35], v[25:26] offset:2056
	s_waitcnt lgkmcnt(0)
	v_cmp_eq_u64_e32 vcc_lo, v[34:35], v[25:26]
	v_dual_mov_b32 v25, v34 :: v_dual_mov_b32 v26, v35
	s_or_b32 s42, vcc_lo, s42
	s_delay_alu instid0(SALU_CYCLE_1)
	s_and_not1_b32 exec_lo, exec_lo, s42
	s_cbranch_execnz .LBB157_34
; %bb.35:                               ;   in Loop: Header=BB157_18 Depth=3
	s_or_b32 exec_lo, exec_lo, s42
	s_delay_alu instid0(SALU_CYCLE_1)
	s_and_not1_b32 s41, s41, exec_lo
	s_branch .LBB157_17
.LBB157_36:
	s_or_b32 exec_lo, exec_lo, s1
.LBB157_37:
	s_delay_alu instid0(SALU_CYCLE_1)
	s_and_not1_b32 vcc_lo, exec_lo, s33
	s_cbranch_vccnz .LBB157_62
; %bb.38:
	s_waitcnt lgkmcnt(0)
	s_lshl_b64 s[2:3], s[30:31], 3
	v_sub_co_u32 v5, s1, v0, s23
	s_add_u32 s2, s4, s2
	s_addc_u32 s3, s5, s3
	v_sub_co_ci_u32_e64 v6, null, 0, 0, s1
	s_load_b128 s[12:15], s[2:3], 0x0
	s_mov_b32 s1, 0
	s_mov_b32 s4, exec_lo
	s_waitcnt lgkmcnt(0)
	v_add_co_u32 v5, vcc_lo, s12, v5
	v_add_co_ci_u32_e32 v6, vcc_lo, s13, v6, vcc_lo
	s_sub_u32 s2, s14, s23
	s_subb_u32 s3, s15, 0
	s_delay_alu instid0(VALU_DEP_1) | instid1(SALU_CYCLE_1)
	v_cmpx_gt_i64_e64 s[2:3], v[5:6]
	s_cbranch_execz .LBB157_61
; %bb.39:
	s_mov_b32 s5, s23
	s_branch .LBB157_41
.LBB157_40:                             ;   in Loop: Header=BB157_41 Depth=1
	s_or_b32 exec_lo, exec_lo, s12
	v_add_co_u32 v5, vcc_lo, 0x80, v5
	v_add_co_ci_u32_e32 v6, vcc_lo, 0, v6, vcc_lo
	s_delay_alu instid0(VALU_DEP_1) | instskip(SKIP_1) | instid1(SALU_CYCLE_1)
	v_cmp_le_i64_e32 vcc_lo, s[2:3], v[5:6]
	s_or_b32 s1, vcc_lo, s1
	s_and_not1_b32 exec_lo, exec_lo, s1
	s_cbranch_execz .LBB157_61
.LBB157_41:                             ; =>This Loop Header: Depth=1
                                        ;     Child Loop BB157_43 Depth 2
                                        ;       Child Loop BB157_49 Depth 3
                                        ;       Child Loop BB157_51 Depth 3
	;; [unrolled: 1-line block ×4, first 2 shown]
	v_lshlrev_b64 v[7:8], 4, v[5:6]
	s_mov_b32 s12, 0
	s_delay_alu instid0(VALU_DEP_1) | instskip(NEXT) | instid1(VALU_DEP_2)
	v_add_co_u32 v7, vcc_lo, s8, v7
	v_add_co_ci_u32_e32 v8, vcc_lo, s9, v8, vcc_lo
	global_load_b128 v[9:12], v[7:8], off
	v_lshlrev_b64 v[7:8], 3, v[5:6]
	s_delay_alu instid0(VALU_DEP_1) | instskip(NEXT) | instid1(VALU_DEP_2)
	v_add_co_u32 v7, vcc_lo, s6, v7
	v_add_co_ci_u32_e32 v8, vcc_lo, s7, v8, vcc_lo
	global_load_b64 v[13:14], v[7:8], off
	s_waitcnt vmcnt(1)
	v_mul_f64 v[7:8], v[11:12], -v[1:2]
	v_mul_f64 v[11:12], v[3:4], v[11:12]
	s_delay_alu instid0(VALU_DEP_2) | instskip(NEXT) | instid1(VALU_DEP_2)
	v_fma_f64 v[7:8], v[3:4], v[9:10], v[7:8]
	v_fma_f64 v[9:10], v[1:2], v[9:10], v[11:12]
	s_waitcnt vmcnt(0)
	v_sub_co_u32 v11, vcc_lo, v13, s5
	v_subrev_co_ci_u32_e32 v12, vcc_lo, 0, v14, vcc_lo
	s_delay_alu instid0(VALU_DEP_2) | instskip(NEXT) | instid1(VALU_DEP_1)
	v_mul_lo_u32 v13, 0x89, v11
	v_and_b32_e32 v15, 0xff, v13
	s_branch .LBB157_43
.LBB157_42:                             ;   in Loop: Header=BB157_43 Depth=2
	s_or_b32 exec_lo, exec_lo, s13
	s_xor_b32 s13, s14, -1
	s_delay_alu instid0(SALU_CYCLE_1) | instskip(NEXT) | instid1(SALU_CYCLE_1)
	s_and_b32 s13, exec_lo, s13
	s_or_b32 s12, s13, s12
	s_delay_alu instid0(SALU_CYCLE_1)
	s_and_not1_b32 exec_lo, exec_lo, s12
	s_cbranch_execz .LBB157_40
.LBB157_43:                             ;   Parent Loop BB157_41 Depth=1
                                        ; =>  This Loop Header: Depth=2
                                        ;       Child Loop BB157_49 Depth 3
                                        ;       Child Loop BB157_51 Depth 3
	;; [unrolled: 1-line block ×4, first 2 shown]
	s_delay_alu instid0(VALU_DEP_1)
	v_lshl_add_u32 v16, v15, 3, 0
	s_mov_b32 s13, exec_lo
                                        ; implicit-def: $sgpr14
	ds_load_b64 v[13:14], v16
	s_waitcnt lgkmcnt(0)
	v_cmpx_ne_u64_e64 v[13:14], v[11:12]
	s_xor_b32 s13, exec_lo, s13
	s_cbranch_execz .LBB157_55
; %bb.44:                               ;   in Loop: Header=BB157_43 Depth=2
	s_mov_b32 s15, exec_lo
                                        ; implicit-def: $sgpr14
	v_cmpx_ne_u64_e64 s[28:29], v[13:14]
	s_xor_b32 s15, exec_lo, s15
; %bb.45:                               ;   in Loop: Header=BB157_43 Depth=2
	v_add_nc_u32_e32 v13, 1, v15
	s_mov_b32 s14, -1
                                        ; implicit-def: $vgpr16
	s_delay_alu instid0(VALU_DEP_1)
	v_and_b32_e32 v15, 0xff, v13
; %bb.46:                               ;   in Loop: Header=BB157_43 Depth=2
	s_and_not1_saveexec_b32 s15, s15
	s_cbranch_execz .LBB157_54
; %bb.47:                               ;   in Loop: Header=BB157_43 Depth=2
	v_dual_mov_b32 v13, s28 :: v_dual_mov_b32 v14, s29
	s_mov_b32 s17, -1
	s_mov_b32 s16, exec_lo
	ds_cmpstore_rtn_b64 v[13:14], v16, v[11:12], v[13:14]
	s_waitcnt lgkmcnt(0)
	v_cmpx_eq_u64_e64 s[28:29], v[13:14]
	s_cbranch_execz .LBB157_53
; %bb.48:                               ;   in Loop: Header=BB157_43 Depth=2
	v_lshlrev_b32_e32 v13, 3, v15
	s_mov_b32 s17, 0
	s_delay_alu instid0(VALU_DEP_1)
	v_add_nc_u32_e32 v16, v16, v13
	ds_load_b64 v[13:14], v16 offset:2048
.LBB157_49:                             ;   Parent Loop BB157_41 Depth=1
                                        ;     Parent Loop BB157_43 Depth=2
                                        ; =>    This Inner Loop Header: Depth=3
	s_waitcnt lgkmcnt(0)
	v_add_f64 v[17:18], v[13:14], v[7:8]
	ds_cmpstore_rtn_b64 v[17:18], v16, v[17:18], v[13:14] offset:2048
	s_waitcnt lgkmcnt(0)
	v_cmp_eq_u64_e32 vcc_lo, v[17:18], v[13:14]
	v_dual_mov_b32 v13, v17 :: v_dual_mov_b32 v14, v18
	s_or_b32 s17, vcc_lo, s17
	s_delay_alu instid0(SALU_CYCLE_1)
	s_and_not1_b32 exec_lo, exec_lo, s17
	s_cbranch_execnz .LBB157_49
; %bb.50:                               ;   in Loop: Header=BB157_43 Depth=2
	s_or_b32 exec_lo, exec_lo, s17
	ds_load_b64 v[13:14], v16 offset:2056
	s_mov_b32 s17, 0
.LBB157_51:                             ;   Parent Loop BB157_41 Depth=1
                                        ;     Parent Loop BB157_43 Depth=2
                                        ; =>    This Inner Loop Header: Depth=3
	s_waitcnt lgkmcnt(0)
	v_add_f64 v[17:18], v[13:14], v[9:10]
	ds_cmpstore_rtn_b64 v[17:18], v16, v[17:18], v[13:14] offset:2056
	s_waitcnt lgkmcnt(0)
	v_cmp_eq_u64_e32 vcc_lo, v[17:18], v[13:14]
	v_dual_mov_b32 v13, v17 :: v_dual_mov_b32 v14, v18
	s_or_b32 s17, vcc_lo, s17
	s_delay_alu instid0(SALU_CYCLE_1)
	s_and_not1_b32 exec_lo, exec_lo, s17
	s_cbranch_execnz .LBB157_51
; %bb.52:                               ;   in Loop: Header=BB157_43 Depth=2
	s_or_b32 exec_lo, exec_lo, s17
	s_delay_alu instid0(SALU_CYCLE_1)
	s_xor_b32 s17, exec_lo, -1
.LBB157_53:                             ;   in Loop: Header=BB157_43 Depth=2
	s_or_b32 exec_lo, exec_lo, s16
	s_delay_alu instid0(SALU_CYCLE_1) | instskip(SKIP_1) | instid1(SALU_CYCLE_1)
	s_and_not1_b32 s14, s14, exec_lo
	s_and_b32 s16, s17, exec_lo
	s_or_b32 s14, s14, s16
.LBB157_54:                             ;   in Loop: Header=BB157_43 Depth=2
	s_or_b32 exec_lo, exec_lo, s15
	s_delay_alu instid0(SALU_CYCLE_1)
	s_and_b32 s14, s14, exec_lo
                                        ; implicit-def: $vgpr16
.LBB157_55:                             ;   in Loop: Header=BB157_43 Depth=2
	s_and_not1_saveexec_b32 s13, s13
	s_cbranch_execz .LBB157_42
; %bb.56:                               ;   in Loop: Header=BB157_43 Depth=2
	v_lshlrev_b32_e32 v13, 3, v15
	s_mov_b32 s15, 0
	s_delay_alu instid0(VALU_DEP_1)
	v_add_nc_u32_e32 v16, v16, v13
	ds_load_b64 v[13:14], v16 offset:2048
.LBB157_57:                             ;   Parent Loop BB157_41 Depth=1
                                        ;     Parent Loop BB157_43 Depth=2
                                        ; =>    This Inner Loop Header: Depth=3
	s_waitcnt lgkmcnt(0)
	v_add_f64 v[17:18], v[13:14], v[7:8]
	ds_cmpstore_rtn_b64 v[17:18], v16, v[17:18], v[13:14] offset:2048
	s_waitcnt lgkmcnt(0)
	v_cmp_eq_u64_e32 vcc_lo, v[17:18], v[13:14]
	v_dual_mov_b32 v13, v17 :: v_dual_mov_b32 v14, v18
	s_or_b32 s15, vcc_lo, s15
	s_delay_alu instid0(SALU_CYCLE_1)
	s_and_not1_b32 exec_lo, exec_lo, s15
	s_cbranch_execnz .LBB157_57
; %bb.58:                               ;   in Loop: Header=BB157_43 Depth=2
	s_or_b32 exec_lo, exec_lo, s15
	ds_load_b64 v[13:14], v16 offset:2056
	s_mov_b32 s15, 0
.LBB157_59:                             ;   Parent Loop BB157_41 Depth=1
                                        ;     Parent Loop BB157_43 Depth=2
                                        ; =>    This Inner Loop Header: Depth=3
	s_waitcnt lgkmcnt(0)
	v_add_f64 v[17:18], v[13:14], v[9:10]
	ds_cmpstore_rtn_b64 v[17:18], v16, v[17:18], v[13:14] offset:2056
	s_waitcnt lgkmcnt(0)
	v_cmp_eq_u64_e32 vcc_lo, v[17:18], v[13:14]
	v_dual_mov_b32 v13, v17 :: v_dual_mov_b32 v14, v18
	s_or_b32 s15, vcc_lo, s15
	s_delay_alu instid0(SALU_CYCLE_1)
	s_and_not1_b32 exec_lo, exec_lo, s15
	s_cbranch_execnz .LBB157_59
; %bb.60:                               ;   in Loop: Header=BB157_43 Depth=2
	s_or_b32 exec_lo, exec_lo, s15
	s_delay_alu instid0(SALU_CYCLE_1)
	s_and_not1_b32 s14, s14, exec_lo
	s_branch .LBB157_42
.LBB157_61:
	s_or_b32 exec_lo, exec_lo, s4
.LBB157_62:
	s_waitcnt lgkmcnt(0)
	s_barrier
	buffer_gl0_inv
	s_and_saveexec_b32 s3, s0
	s_cbranch_execz .LBB157_71
; %bb.63:
	v_mbcnt_lo_u32_b32 v1, -1, 0
	v_lshrrev_b32_e32 v2, 3, v0
	v_cmp_lt_u32_e32 vcc_lo, 63, v0
	v_cmp_eq_u32_e64 s0, 0x7f, v0
	v_add3_u32 v10, v29, 0, 0x800
	v_xor_b32_e32 v1, 63, v1
	v_and_b32_e32 v3, 8, v2
	v_mov_b32_e32 v5, 0
	s_mov_b32 s4, 0
	s_delay_alu instid0(VALU_DEP_3) | instskip(NEXT) | instid1(VALU_DEP_3)
	v_lshrrev_b64 v[1:2], v1, -1
	v_dual_mov_b32 v2, 0 :: v_dual_add_nc_u32 v11, 0, v3
	v_mov_b32_e32 v3, 0
	s_branch .LBB157_65
.LBB157_64:                             ;   in Loop: Header=BB157_65 Depth=1
	s_or_b32 exec_lo, exec_lo, s1
	s_waitcnt lgkmcnt(0)
	s_barrier
	buffer_gl0_inv
	ds_load_b64 v[6:7], v5 offset:6152
	v_add_co_u32 v27, s1, 0x80, v27
	s_delay_alu instid0(VALU_DEP_1) | instskip(SKIP_4) | instid1(VALU_DEP_1)
	s_xor_b32 s2, s1, -1
	v_add_nc_u32_e32 v10, 0x800, v10
	v_add_nc_u32_e32 v28, 0x400, v28
	s_waitcnt lgkmcnt(0)
	v_add_co_u32 v2, s1, v6, v2
	v_add_co_ci_u32_e64 v3, s1, v7, v3, s1
	s_and_b32 s1, exec_lo, s2
	s_delay_alu instid0(SALU_CYCLE_1) | instskip(NEXT) | instid1(SALU_CYCLE_1)
	s_or_b32 s4, s1, s4
	s_and_not1_b32 exec_lo, exec_lo, s4
	s_cbranch_execz .LBB157_71
.LBB157_65:                             ; =>This Inner Loop Header: Depth=1
	ds_load_b64 v[6:7], v28
	ds_load_2addr_b64 v[12:15], v10 offset1:1
	s_waitcnt lgkmcnt(1)
	v_cmp_gt_i64_e64 s1, s[28:29], v[6:7]
	s_waitcnt lgkmcnt(0)
	scratch_store_b128 off, v[12:15], off
	s_waitcnt_vscnt null, 0x0
	s_barrier
	buffer_gl0_inv
	v_and_b32_e32 v8, s1, v1
	s_bcnt1_i32_b32 s2, s1
	s_delay_alu instid0(SALU_CYCLE_1) | instskip(NEXT) | instid1(VALU_DEP_2)
	v_mov_b32_e32 v4, s2
	v_bcnt_u32_b32 v8, v8, 0
	ds_store_b64 v11, v[4:5] offset:6144
	s_waitcnt lgkmcnt(0)
	s_barrier
	buffer_gl0_inv
	s_and_saveexec_b32 s5, vcc_lo
	s_cbranch_execnz .LBB157_68
; %bb.66:                               ;   in Loop: Header=BB157_65 Depth=1
	s_or_b32 exec_lo, exec_lo, s5
	s_and_saveexec_b32 s2, s1
	s_cbranch_execnz .LBB157_69
.LBB157_67:                             ;   in Loop: Header=BB157_65 Depth=1
	s_or_b32 exec_lo, exec_lo, s2
	s_and_saveexec_b32 s1, s0
	s_cbranch_execz .LBB157_64
	s_branch .LBB157_70
.LBB157_68:                             ;   in Loop: Header=BB157_65 Depth=1
	ds_load_b64 v[12:13], v5 offset:6144
	s_waitcnt lgkmcnt(0)
	v_add_co_u32 v8, s2, v12, v8
	s_or_b32 exec_lo, exec_lo, s5
	s_and_saveexec_b32 s2, s1
	s_cbranch_execz .LBB157_67
.LBB157_69:                             ;   in Loop: Header=BB157_65 Depth=1
	scratch_load_b128 v[12:15], off, off
	v_add3_u32 v4, v2, -1, v8
	s_delay_alu instid0(VALU_DEP_1) | instskip(SKIP_1) | instid1(VALU_DEP_2)
	v_lshlrev_b32_e32 v9, 4, v4
	v_lshl_add_u32 v4, v4, 3, 0
	v_add3_u32 v9, 0, v9, 0x800
	ds_store_b64 v4, v[6:7]
	s_waitcnt vmcnt(0)
	ds_store_2addr_b64 v9, v[12:13], v[14:15] offset1:1
	s_or_b32 exec_lo, exec_lo, s2
	s_and_saveexec_b32 s1, s0
	s_cbranch_execz .LBB157_64
.LBB157_70:                             ;   in Loop: Header=BB157_65 Depth=1
	v_ashrrev_i32_e32 v9, 31, v8
	ds_store_b64 v5, v[8:9] offset:6152
	s_branch .LBB157_64
.LBB157_71:
	s_or_b32 exec_lo, exec_lo, s3
	s_lshl_b64 s[0:1], s[30:31], 3
	v_mov_b32_e32 v1, 0
	s_add_u32 s0, s10, s0
	s_addc_u32 s1, s11, s1
	s_mov_b32 s6, exec_lo
	s_load_b128 s[0:3], s[0:1], 0x0
	s_waitcnt lgkmcnt(0)
	s_sub_u32 s4, s2, s0
	s_subb_u32 s5, s3, s1
	s_delay_alu instid0(SALU_CYCLE_1)
	v_cmpx_gt_i64_e64 s[4:5], v[0:1]
	s_cbranch_execz .LBB157_81
; %bb.72:
	s_sub_u32 s8, s0, s22
	s_subb_u32 s9, s1, 0
	s_and_b32 s6, s4, 7
	s_sub_u32 s0, s0, s2
	s_subb_u32 s1, s1, s3
	s_mov_b32 s7, 0
	v_cmp_lt_u64_e64 s12, s[0:1], -7
	s_and_b32 s2, s4, -8
	s_cmp_lg_u64 s[6:7], 0
	s_mov_b32 s3, s5
	s_cselect_b32 s13, -1, 0
	s_mov_b32 s14, s7
	s_branch .LBB157_74
.LBB157_73:                             ;   in Loop: Header=BB157_74 Depth=1
	v_lshlrev_b32_e32 v7, 3, v0
	s_waitcnt lgkmcnt(0)
	v_add_co_u32 v2, vcc_lo, v2, s22
	v_lshlrev_b64 v[10:11], 3, v[4:5]
	v_add_co_ci_u32_e32 v3, vcc_lo, 0, v3, vcc_lo
	v_add3_u32 v6, v6, v7, 0x800
	v_add_co_u32 v0, vcc_lo, 0x80, v0
	v_add_co_ci_u32_e32 v1, vcc_lo, 0, v1, vcc_lo
	ds_load_2addr_b64 v[6:9], v6 offset1:1
	v_lshlrev_b64 v[4:5], 4, v[4:5]
	v_add_co_u32 v10, vcc_lo, s24, v10
	v_add_co_ci_u32_e32 v11, vcc_lo, s25, v11, vcc_lo
	v_cmp_le_i64_e32 vcc_lo, s[4:5], v[0:1]
	s_delay_alu instid0(VALU_DEP_4) | instskip(NEXT) | instid1(VALU_DEP_1)
	v_add_co_u32 v4, s0, s26, v4
	v_add_co_ci_u32_e64 v5, s0, s27, v5, s0
	global_store_b64 v[10:11], v[2:3], off
	s_waitcnt lgkmcnt(0)
	global_store_b128 v[4:5], v[6:9], off
	s_or_b32 s14, vcc_lo, s14
	s_delay_alu instid0(SALU_CYCLE_1)
	s_and_not1_b32 exec_lo, exec_lo, s14
	s_cbranch_execz .LBB157_81
.LBB157_74:                             ; =>This Loop Header: Depth=1
                                        ;     Child Loop BB157_76 Depth 2
                                        ;     Child Loop BB157_80 Depth 2
	v_lshl_add_u32 v6, v0, 3, 0
	v_dual_mov_b32 v4, s8 :: v_dual_mov_b32 v5, s9
	s_and_not1_b32 vcc_lo, exec_lo, s12
	s_mov_b64 s[0:1], 0
	ds_load_b64 v[2:3], v6
	s_cbranch_vccnz .LBB157_78
; %bb.75:                               ;   in Loop: Header=BB157_74 Depth=1
	v_dual_mov_b32 v4, s8 :: v_dual_mov_b32 v5, s9
	s_mov_b64 s[10:11], 0
	s_mov_b32 s1, 0
.LBB157_76:                             ;   Parent Loop BB157_74 Depth=1
                                        ; =>  This Inner Loop Header: Depth=2
	s_delay_alu instid0(SALU_CYCLE_1)
	v_mov_b32_e32 v19, s1
	s_add_u32 s10, s10, 8
	s_addc_u32 s11, s11, 0
	s_add_i32 s1, s1, 64
	s_cmp_eq_u64 s[2:3], s[10:11]
	ds_load_2addr_b64 v[7:10], v19 offset1:1
	ds_load_2addr_b64 v[11:14], v19 offset0:2 offset1:3
	ds_load_2addr_b64 v[15:18], v19 offset0:4 offset1:5
	;; [unrolled: 1-line block ×3, first 2 shown]
	s_waitcnt lgkmcnt(3)
	v_cmp_gt_i64_e32 vcc_lo, v[2:3], v[7:8]
	v_cndmask_b32_e64 v7, 0, 1, vcc_lo
	v_cmp_gt_i64_e32 vcc_lo, v[2:3], v[9:10]
	v_cndmask_b32_e64 v8, 0, 1, vcc_lo
	s_waitcnt lgkmcnt(2)
	v_cmp_gt_i64_e32 vcc_lo, v[2:3], v[11:12]
	v_cndmask_b32_e64 v9, 0, 1, vcc_lo
	v_cmp_gt_i64_e32 vcc_lo, v[2:3], v[13:14]
	v_cndmask_b32_e64 v10, 0, 1, vcc_lo
	s_waitcnt lgkmcnt(1)
	v_cmp_gt_i64_e32 vcc_lo, v[2:3], v[15:16]
	v_cndmask_b32_e64 v11, 0, 1, vcc_lo
	v_add_co_u32 v4, vcc_lo, v4, v7
	v_add_co_ci_u32_e32 v5, vcc_lo, 0, v5, vcc_lo
	v_cmp_gt_i64_e32 vcc_lo, v[2:3], v[17:18]
	s_delay_alu instid0(VALU_DEP_3) | instskip(NEXT) | instid1(VALU_DEP_1)
	v_add_co_u32 v4, s0, v4, v8
	v_add_co_ci_u32_e64 v5, s0, 0, v5, s0
	v_cndmask_b32_e64 v7, 0, 1, vcc_lo
	s_delay_alu instid0(VALU_DEP_3) | instskip(NEXT) | instid1(VALU_DEP_3)
	v_add_co_u32 v4, vcc_lo, v4, v9
	v_add_co_ci_u32_e32 v5, vcc_lo, 0, v5, vcc_lo
	s_waitcnt lgkmcnt(0)
	v_cmp_gt_i64_e32 vcc_lo, v[2:3], v[19:20]
	s_delay_alu instid0(VALU_DEP_3) | instskip(NEXT) | instid1(VALU_DEP_1)
	v_add_co_u32 v4, s0, v4, v10
	v_add_co_ci_u32_e64 v5, s0, 0, v5, s0
	v_cndmask_b32_e64 v8, 0, 1, vcc_lo
	s_delay_alu instid0(VALU_DEP_3) | instskip(NEXT) | instid1(VALU_DEP_3)
	v_add_co_u32 v4, vcc_lo, v4, v11
	v_add_co_ci_u32_e32 v5, vcc_lo, 0, v5, vcc_lo
	v_cmp_gt_i64_e32 vcc_lo, v[2:3], v[21:22]
	s_delay_alu instid0(VALU_DEP_3) | instskip(NEXT) | instid1(VALU_DEP_1)
	v_add_co_u32 v4, s0, v4, v7
	v_add_co_ci_u32_e64 v5, s0, 0, v5, s0
	v_cndmask_b32_e64 v7, 0, 1, vcc_lo
	s_delay_alu instid0(VALU_DEP_3) | instskip(NEXT) | instid1(VALU_DEP_3)
	v_add_co_u32 v4, vcc_lo, v4, v8
	v_add_co_ci_u32_e32 v5, vcc_lo, 0, v5, vcc_lo
	s_delay_alu instid0(VALU_DEP_2) | instskip(NEXT) | instid1(VALU_DEP_2)
	v_add_co_u32 v4, vcc_lo, v4, v7
	v_add_co_ci_u32_e32 v5, vcc_lo, 0, v5, vcc_lo
	s_cbranch_scc0 .LBB157_76
; %bb.77:                               ;   in Loop: Header=BB157_74 Depth=1
	s_mov_b64 s[0:1], s[2:3]
.LBB157_78:                             ;   in Loop: Header=BB157_74 Depth=1
	s_and_not1_b32 vcc_lo, exec_lo, s13
	s_cbranch_vccnz .LBB157_73
; %bb.79:                               ;   in Loop: Header=BB157_74 Depth=1
	s_lshl_b32 s0, s0, 3
	s_delay_alu instid0(SALU_CYCLE_1)
	s_add_i32 s10, s0, 0
	s_mov_b64 s[0:1], s[6:7]
.LBB157_80:                             ;   Parent Loop BB157_74 Depth=1
                                        ; =>  This Inner Loop Header: Depth=2
	v_mov_b32_e32 v7, s10
	s_add_i32 s10, s10, 8
	s_add_u32 s0, s0, -1
	s_addc_u32 s1, s1, -1
	s_delay_alu instid0(SALU_CYCLE_1) | instskip(SKIP_4) | instid1(VALU_DEP_1)
	s_cmp_lg_u64 s[0:1], 0
	ds_load_b64 v[7:8], v7
	s_waitcnt lgkmcnt(0)
	v_cmp_gt_i64_e32 vcc_lo, v[2:3], v[7:8]
	v_cndmask_b32_e64 v7, 0, 1, vcc_lo
	v_add_co_u32 v4, vcc_lo, v4, v7
	v_add_co_ci_u32_e32 v5, vcc_lo, 0, v5, vcc_lo
	s_cbranch_scc1 .LBB157_80
	s_branch .LBB157_73
.LBB157_81:
	s_nop 0
	s_sendmsg sendmsg(MSG_DEALLOC_VGPRS)
	s_endpgm
	.section	.rodata,"a",@progbits
	.p2align	6, 0x0
	.amdhsa_kernel _ZN9rocsparseL26csrgemm_fill_block_per_rowILj128ELj16ELj256ELj137ELj64Ell21rocsparse_complex_numIdEEEvT5_PKS3_S5_NS_24const_host_device_scalarIT6_EEPKT4_S5_PKS7_SB_S5_SD_S8_SB_S5_SD_SB_PS3_PS7_21rocsparse_index_base_SG_SG_SG_bbb
		.amdhsa_group_segment_fixed_size 0
		.amdhsa_private_segment_fixed_size 40
		.amdhsa_kernarg_size 172
		.amdhsa_user_sgpr_count 15
		.amdhsa_user_sgpr_dispatch_ptr 0
		.amdhsa_user_sgpr_queue_ptr 0
		.amdhsa_user_sgpr_kernarg_segment_ptr 1
		.amdhsa_user_sgpr_dispatch_id 0
		.amdhsa_user_sgpr_private_segment_size 0
		.amdhsa_wavefront_size32 1
		.amdhsa_uses_dynamic_stack 0
		.amdhsa_enable_private_segment 1
		.amdhsa_system_sgpr_workgroup_id_x 1
		.amdhsa_system_sgpr_workgroup_id_y 0
		.amdhsa_system_sgpr_workgroup_id_z 0
		.amdhsa_system_sgpr_workgroup_info 0
		.amdhsa_system_vgpr_workitem_id 0
		.amdhsa_next_free_vgpr 36
		.amdhsa_next_free_sgpr 46
		.amdhsa_reserve_vcc 1
		.amdhsa_float_round_mode_32 0
		.amdhsa_float_round_mode_16_64 0
		.amdhsa_float_denorm_mode_32 3
		.amdhsa_float_denorm_mode_16_64 3
		.amdhsa_dx10_clamp 1
		.amdhsa_ieee_mode 1
		.amdhsa_fp16_overflow 0
		.amdhsa_workgroup_processor_mode 1
		.amdhsa_memory_ordered 1
		.amdhsa_forward_progress 0
		.amdhsa_shared_vgpr_count 0
		.amdhsa_exception_fp_ieee_invalid_op 0
		.amdhsa_exception_fp_denorm_src 0
		.amdhsa_exception_fp_ieee_div_zero 0
		.amdhsa_exception_fp_ieee_overflow 0
		.amdhsa_exception_fp_ieee_underflow 0
		.amdhsa_exception_fp_ieee_inexact 0
		.amdhsa_exception_int_div_zero 0
	.end_amdhsa_kernel
	.section	.text._ZN9rocsparseL26csrgemm_fill_block_per_rowILj128ELj16ELj256ELj137ELj64Ell21rocsparse_complex_numIdEEEvT5_PKS3_S5_NS_24const_host_device_scalarIT6_EEPKT4_S5_PKS7_SB_S5_SD_S8_SB_S5_SD_SB_PS3_PS7_21rocsparse_index_base_SG_SG_SG_bbb,"axG",@progbits,_ZN9rocsparseL26csrgemm_fill_block_per_rowILj128ELj16ELj256ELj137ELj64Ell21rocsparse_complex_numIdEEEvT5_PKS3_S5_NS_24const_host_device_scalarIT6_EEPKT4_S5_PKS7_SB_S5_SD_S8_SB_S5_SD_SB_PS3_PS7_21rocsparse_index_base_SG_SG_SG_bbb,comdat
.Lfunc_end157:
	.size	_ZN9rocsparseL26csrgemm_fill_block_per_rowILj128ELj16ELj256ELj137ELj64Ell21rocsparse_complex_numIdEEEvT5_PKS3_S5_NS_24const_host_device_scalarIT6_EEPKT4_S5_PKS7_SB_S5_SD_S8_SB_S5_SD_SB_PS3_PS7_21rocsparse_index_base_SG_SG_SG_bbb, .Lfunc_end157-_ZN9rocsparseL26csrgemm_fill_block_per_rowILj128ELj16ELj256ELj137ELj64Ell21rocsparse_complex_numIdEEEvT5_PKS3_S5_NS_24const_host_device_scalarIT6_EEPKT4_S5_PKS7_SB_S5_SD_S8_SB_S5_SD_SB_PS3_PS7_21rocsparse_index_base_SG_SG_SG_bbb
                                        ; -- End function
	.section	.AMDGPU.csdata,"",@progbits
; Kernel info:
; codeLenInByte = 3760
; NumSgprs: 48
; NumVgprs: 36
; ScratchSize: 40
; MemoryBound: 0
; FloatMode: 240
; IeeeMode: 1
; LDSByteSize: 0 bytes/workgroup (compile time only)
; SGPRBlocks: 5
; VGPRBlocks: 4
; NumSGPRsForWavesPerEU: 48
; NumVGPRsForWavesPerEU: 36
; Occupancy: 16
; WaveLimiterHint : 1
; COMPUTE_PGM_RSRC2:SCRATCH_EN: 1
; COMPUTE_PGM_RSRC2:USER_SGPR: 15
; COMPUTE_PGM_RSRC2:TRAP_HANDLER: 0
; COMPUTE_PGM_RSRC2:TGID_X_EN: 1
; COMPUTE_PGM_RSRC2:TGID_Y_EN: 0
; COMPUTE_PGM_RSRC2:TGID_Z_EN: 0
; COMPUTE_PGM_RSRC2:TIDIG_COMP_CNT: 0
	.section	.text._ZN9rocsparseL26csrgemm_fill_block_per_rowILj256ELj32ELj512ELj137ELj32Ell21rocsparse_complex_numIdEEEvT5_PKS3_S5_NS_24const_host_device_scalarIT6_EEPKT4_S5_PKS7_SB_S5_SD_S8_SB_S5_SD_SB_PS3_PS7_21rocsparse_index_base_SG_SG_SG_bbb,"axG",@progbits,_ZN9rocsparseL26csrgemm_fill_block_per_rowILj256ELj32ELj512ELj137ELj32Ell21rocsparse_complex_numIdEEEvT5_PKS3_S5_NS_24const_host_device_scalarIT6_EEPKT4_S5_PKS7_SB_S5_SD_S8_SB_S5_SD_SB_PS3_PS7_21rocsparse_index_base_SG_SG_SG_bbb,comdat
	.globl	_ZN9rocsparseL26csrgemm_fill_block_per_rowILj256ELj32ELj512ELj137ELj32Ell21rocsparse_complex_numIdEEEvT5_PKS3_S5_NS_24const_host_device_scalarIT6_EEPKT4_S5_PKS7_SB_S5_SD_S8_SB_S5_SD_SB_PS3_PS7_21rocsparse_index_base_SG_SG_SG_bbb ; -- Begin function _ZN9rocsparseL26csrgemm_fill_block_per_rowILj256ELj32ELj512ELj137ELj32Ell21rocsparse_complex_numIdEEEvT5_PKS3_S5_NS_24const_host_device_scalarIT6_EEPKT4_S5_PKS7_SB_S5_SD_S8_SB_S5_SD_SB_PS3_PS7_21rocsparse_index_base_SG_SG_SG_bbb
	.p2align	8
	.type	_ZN9rocsparseL26csrgemm_fill_block_per_rowILj256ELj32ELj512ELj137ELj32Ell21rocsparse_complex_numIdEEEvT5_PKS3_S5_NS_24const_host_device_scalarIT6_EEPKT4_S5_PKS7_SB_S5_SD_S8_SB_S5_SD_SB_PS3_PS7_21rocsparse_index_base_SG_SG_SG_bbb,@function
_ZN9rocsparseL26csrgemm_fill_block_per_rowILj256ELj32ELj512ELj137ELj32Ell21rocsparse_complex_numIdEEEvT5_PKS3_S5_NS_24const_host_device_scalarIT6_EEPKT4_S5_PKS7_SB_S5_SD_S8_SB_S5_SD_SB_PS3_PS7_21rocsparse_index_base_SG_SG_SG_bbb: ; @_ZN9rocsparseL26csrgemm_fill_block_per_rowILj256ELj32ELj512ELj137ELj32Ell21rocsparse_complex_numIdEEEvT5_PKS3_S5_NS_24const_host_device_scalarIT6_EEPKT4_S5_PKS7_SB_S5_SD_S8_SB_S5_SD_SB_PS3_PS7_21rocsparse_index_base_SG_SG_SG_bbb
; %bb.0:
	s_clause 0x2
	s_load_b32 s12, s[0:1], 0xa8
	s_load_b128 s[8:11], s[0:1], 0x18
	s_load_b128 s[4:7], s[0:1], 0x58
	v_mov_b32_e32 v1, 0
	v_mov_b32_e32 v2, 0
	s_mov_b32 s34, s15
	s_waitcnt lgkmcnt(0)
	s_bitcmp1_b32 s12, 0
	v_mov_b32_e32 v3, s8
	s_cselect_b32 s42, -1, 0
	s_bitcmp1_b32 s12, 16
	v_dual_mov_b32 v6, v2 :: v_dual_mov_b32 v5, v1
	s_cselect_b32 s2, -1, 0
	v_mov_b32_e32 v4, s9
	s_xor_b32 s3, s2, -1
	v_dual_mov_b32 v10, s5 :: v_dual_mov_b32 v9, s4
	v_cndmask_b32_e64 v7, 0, 1, s3
	s_bitcmp0_b32 s12, 0
	s_clause 0x1
	scratch_store_b64 off, v[3:4], off offset:16
	scratch_store_b64 off, v[9:10], off offset:24
	v_cmp_ne_u32_e32 vcc_lo, 1, v7
	v_dual_mov_b32 v8, v2 :: v_dual_mov_b32 v7, v1
	s_cbranch_scc1 .LBB158_3
; %bb.1:
	s_mov_b64 s[14:15], src_private_base
	s_and_b32 s13, s2, exec_lo
	s_cselect_b32 s13, s15, s9
	s_delay_alu instid0(SALU_CYCLE_1) | instskip(SKIP_2) | instid1(VALU_DEP_2)
	v_dual_mov_b32 v3, 16 :: v_dual_mov_b32 v4, s13
	v_dual_mov_b32 v7, s10 :: v_dual_mov_b32 v8, s11
	s_and_b32 vcc_lo, exec_lo, vcc_lo
	v_cndmask_b32_e64 v3, s8, v3, s2
	flat_load_b64 v[5:6], v[3:4]
	s_cbranch_vccnz .LBB158_3
; %bb.2:
	v_dual_mov_b32 v3, s8 :: v_dual_mov_b32 v4, s9
	flat_load_b64 v[7:8], v[3:4] offset:8
.LBB158_3:
	s_load_b128 s[20:23], s[0:1], 0x98
	s_bitcmp1_b32 s12, 8
	v_dual_mov_b32 v4, v2 :: v_dual_mov_b32 v3, v1
	s_cselect_b32 s33, -1, 0
	s_bfe_u32 s8, s12, 0x10008
	s_delay_alu instid0(SALU_CYCLE_1)
	s_cmp_eq_u32 s8, 0
	s_cbranch_scc1 .LBB158_6
; %bb.4:
	s_mov_b64 s[8:9], src_private_base
	s_and_b32 s8, s2, exec_lo
	s_cselect_b32 s8, s9, s5
	s_delay_alu instid0(SALU_CYCLE_1) | instskip(SKIP_1) | instid1(VALU_DEP_1)
	v_dual_mov_b32 v1, 24 :: v_dual_mov_b32 v2, s8
	s_and_not1_b32 vcc_lo, exec_lo, s3
	v_cndmask_b32_e64 v1, s4, v1, s2
	flat_load_b64 v[3:4], v[1:2]
	v_dual_mov_b32 v1, s6 :: v_dual_mov_b32 v2, s7
	s_cbranch_vccnz .LBB158_6
; %bb.5:
	v_dual_mov_b32 v1, s4 :: v_dual_mov_b32 v2, s5
	flat_load_b64 v[1:2], v[1:2] offset:8
.LBB158_6:
	s_clause 0x5
	s_load_b128 s[24:27], s[0:1], 0x88
	s_load_b256 s[4:11], s[0:1], 0x68
	s_load_b128 s[36:39], s[0:1], 0x48
	s_load_b128 s[28:31], s[0:1], 0x0
	s_load_b64 s[2:3], s[0:1], 0x10
	s_load_b256 s[12:19], s[0:1], 0x28
	v_cmp_gt_u32_e64 s0, 0x200, v0
	v_lshlrev_b32_e32 v29, 4, v0
	v_or_b32_e32 v27, 0xffffff00, v0
	v_lshl_add_u32 v28, v0, 3, 0
	s_delay_alu instid0(VALU_DEP_4)
	s_and_saveexec_b32 s1, s0
	s_cbranch_execz .LBB158_9
; %bb.7:
	s_mov_b32 s40, 0
	v_add3_u32 v15, v29, 0, 0x1000
	s_mov_b32 s41, s40
	s_mov_b32 s44, s40
	;; [unrolled: 1-line block ×3, first 2 shown]
	v_or_b32_e32 v16, 0xffffff00, v0
	v_lshl_add_u32 v17, v0, 3, 0
	s_waitcnt lgkmcnt(0)
	v_dual_mov_b32 v9, s28 :: v_dual_mov_b32 v10, s29
	v_dual_mov_b32 v11, s40 :: v_dual_mov_b32 v12, s41
	;; [unrolled: 1-line block ×3, first 2 shown]
.LBB158_8:                              ; =>This Inner Loop Header: Depth=1
	v_add_co_u32 v16, s35, 0x100, v16
	s_delay_alu instid0(VALU_DEP_1)
	s_xor_b32 s35, s35, -1
	ds_store_b64 v17, v[9:10]
	ds_store_2addr_b64 v15, v[11:12], v[13:14] offset1:1
	v_add_nc_u32_e32 v15, 0x1000, v15
	v_add_nc_u32_e32 v17, 0x800, v17
	s_and_b32 s35, exec_lo, s35
	s_delay_alu instid0(SALU_CYCLE_1) | instskip(NEXT) | instid1(SALU_CYCLE_1)
	s_or_b32 s40, s35, s40
	s_and_not1_b32 exec_lo, exec_lo, s40
	s_cbranch_execnz .LBB158_8
.LBB158_9:
	s_or_b32 exec_lo, exec_lo, s1
	s_waitcnt vmcnt(0) lgkmcnt(0)
	s_waitcnt_vscnt null, 0x0
	s_barrier
	buffer_gl0_inv
	s_load_b64 s[30:31], s[30:31], 0x0
	s_mov_b32 s35, 0
	v_lshrrev_b32_e32 v30, 5, v0
	s_waitcnt lgkmcnt(0)
	s_lshl_b64 s[30:31], s[30:31], 3
	s_delay_alu instid0(SALU_CYCLE_1) | instskip(SKIP_2) | instid1(SALU_CYCLE_1)
	s_add_u32 s1, s2, s30
	s_addc_u32 s30, s3, s31
	s_lshl_b64 s[2:3], s[34:35], 3
	s_add_u32 s2, s1, s2
	s_addc_u32 s3, s30, s3
	s_and_b32 vcc_lo, exec_lo, s42
	s_load_b64 s[30:31], s[2:3], 0x0
	s_cbranch_vccz .LBB158_37
; %bb.10:
	s_waitcnt lgkmcnt(0)
	s_lshl_b64 s[2:3], s[30:31], 3
	v_sub_co_u32 v9, s1, v30, s20
	s_add_u32 s2, s12, s2
	s_addc_u32 s3, s13, s3
	v_sub_co_ci_u32_e64 v10, null, 0, 0, s1
	s_load_b128 s[40:43], s[2:3], 0x0
	s_mov_b32 s1, exec_lo
	s_waitcnt lgkmcnt(0)
	v_add_co_u32 v9, vcc_lo, s40, v9
	v_add_co_ci_u32_e32 v10, vcc_lo, s41, v10, vcc_lo
	s_sub_u32 s2, s42, s20
	s_subb_u32 s3, s43, 0
	s_delay_alu instid0(VALU_DEP_1) | instid1(SALU_CYCLE_1)
	v_cmpx_gt_i64_e64 s[2:3], v[9:10]
	s_cbranch_execz .LBB158_36
; %bb.11:
	v_and_b32_e32 v11, 31, v0
	s_mov_b32 s13, s21
	s_delay_alu instid0(VALU_DEP_1) | instskip(NEXT) | instid1(VALU_DEP_1)
	v_sub_co_u32 v31, s12, v11, s21
	v_sub_co_ci_u32_e64 v32, null, 0, 0, s12
	s_mov_b32 s12, 0
	s_branch .LBB158_13
.LBB158_12:                             ;   in Loop: Header=BB158_13 Depth=1
	s_or_b32 exec_lo, exec_lo, s21
	v_add_co_u32 v9, vcc_lo, v9, 8
	v_add_co_ci_u32_e32 v10, vcc_lo, 0, v10, vcc_lo
	s_delay_alu instid0(VALU_DEP_1) | instskip(SKIP_1) | instid1(SALU_CYCLE_1)
	v_cmp_le_i64_e32 vcc_lo, s[2:3], v[9:10]
	s_or_b32 s12, vcc_lo, s12
	s_and_not1_b32 exec_lo, exec_lo, s12
	s_cbranch_execz .LBB158_36
.LBB158_13:                             ; =>This Loop Header: Depth=1
                                        ;     Child Loop BB158_16 Depth 2
                                        ;       Child Loop BB158_18 Depth 3
                                        ;         Child Loop BB158_24 Depth 4
                                        ;         Child Loop BB158_26 Depth 4
                                        ;         Child Loop BB158_32 Depth 4
                                        ;         Child Loop BB158_34 Depth 4
	v_lshlrev_b64 v[11:12], 3, v[9:10]
	s_mov_b32 s21, exec_lo
	s_delay_alu instid0(VALU_DEP_1) | instskip(NEXT) | instid1(VALU_DEP_2)
	v_add_co_u32 v11, vcc_lo, s14, v11
	v_add_co_ci_u32_e32 v12, vcc_lo, s15, v12, vcc_lo
	global_load_b64 v[11:12], v[11:12], off
	s_waitcnt vmcnt(0)
	v_sub_co_u32 v11, vcc_lo, v11, s20
	v_subrev_co_ci_u32_e32 v12, vcc_lo, 0, v12, vcc_lo
	s_delay_alu instid0(VALU_DEP_1) | instskip(NEXT) | instid1(VALU_DEP_1)
	v_lshlrev_b64 v[11:12], 3, v[11:12]
	v_add_co_u32 v11, vcc_lo, s18, v11
	s_delay_alu instid0(VALU_DEP_2)
	v_add_co_ci_u32_e32 v12, vcc_lo, s19, v12, vcc_lo
	global_load_b128 v[13:16], v[11:12], off
	s_waitcnt vmcnt(0)
	v_sub_co_u32 v11, vcc_lo, v15, s13
	v_subrev_co_ci_u32_e32 v12, vcc_lo, 0, v16, vcc_lo
	v_add_co_u32 v13, vcc_lo, v13, v31
	v_add_co_ci_u32_e32 v14, vcc_lo, v14, v32, vcc_lo
	s_delay_alu instid0(VALU_DEP_1)
	v_cmpx_lt_i64_e64 v[13:14], v[11:12]
	s_cbranch_execz .LBB158_12
; %bb.14:                               ;   in Loop: Header=BB158_13 Depth=1
	v_lshlrev_b64 v[15:16], 4, v[9:10]
	s_mov_b32 s34, 0
	s_delay_alu instid0(VALU_DEP_1) | instskip(NEXT) | instid1(VALU_DEP_2)
	v_add_co_u32 v15, vcc_lo, s16, v15
	v_add_co_ci_u32_e32 v16, vcc_lo, s17, v16, vcc_lo
	global_load_b128 v[17:20], v[15:16], off
	s_waitcnt vmcnt(0)
	v_mul_f64 v[15:16], v[19:20], -v[7:8]
	v_mul_f64 v[19:20], v[5:6], v[19:20]
	s_delay_alu instid0(VALU_DEP_2) | instskip(NEXT) | instid1(VALU_DEP_2)
	v_fma_f64 v[15:16], v[5:6], v[17:18], v[15:16]
	v_fma_f64 v[17:18], v[7:8], v[17:18], v[19:20]
	s_branch .LBB158_16
.LBB158_15:                             ;   in Loop: Header=BB158_16 Depth=2
	s_or_b32 exec_lo, exec_lo, s35
	v_add_co_u32 v13, vcc_lo, v13, 32
	v_add_co_ci_u32_e32 v14, vcc_lo, 0, v14, vcc_lo
	s_delay_alu instid0(VALU_DEP_1) | instskip(SKIP_1) | instid1(SALU_CYCLE_1)
	v_cmp_ge_i64_e32 vcc_lo, v[13:14], v[11:12]
	s_or_b32 s34, vcc_lo, s34
	s_and_not1_b32 exec_lo, exec_lo, s34
	s_cbranch_execz .LBB158_12
.LBB158_16:                             ;   Parent Loop BB158_13 Depth=1
                                        ; =>  This Loop Header: Depth=2
                                        ;       Child Loop BB158_18 Depth 3
                                        ;         Child Loop BB158_24 Depth 4
                                        ;         Child Loop BB158_26 Depth 4
	;; [unrolled: 1-line block ×4, first 2 shown]
	v_lshlrev_b64 v[19:20], 4, v[13:14]
	s_mov_b32 s35, 0
	s_delay_alu instid0(VALU_DEP_1) | instskip(NEXT) | instid1(VALU_DEP_2)
	v_add_co_u32 v19, vcc_lo, s38, v19
	v_add_co_ci_u32_e32 v20, vcc_lo, s39, v20, vcc_lo
	global_load_b128 v[21:24], v[19:20], off
	v_lshlrev_b64 v[19:20], 3, v[13:14]
	s_delay_alu instid0(VALU_DEP_1) | instskip(NEXT) | instid1(VALU_DEP_2)
	v_add_co_u32 v19, vcc_lo, s36, v19
	v_add_co_ci_u32_e32 v20, vcc_lo, s37, v20, vcc_lo
	global_load_b64 v[25:26], v[19:20], off
	s_waitcnt vmcnt(1)
	v_mul_f64 v[19:20], v[23:24], -v[17:18]
	v_mul_f64 v[23:24], v[15:16], v[23:24]
	s_delay_alu instid0(VALU_DEP_2) | instskip(NEXT) | instid1(VALU_DEP_2)
	v_fma_f64 v[19:20], v[15:16], v[21:22], v[19:20]
	v_fma_f64 v[21:22], v[17:18], v[21:22], v[23:24]
	s_waitcnt vmcnt(0)
	v_sub_co_u32 v23, vcc_lo, v25, s13
	v_subrev_co_ci_u32_e32 v24, vcc_lo, 0, v26, vcc_lo
	s_delay_alu instid0(VALU_DEP_2) | instskip(NEXT) | instid1(VALU_DEP_1)
	v_mul_lo_u32 v25, 0x89, v23
	v_and_b32_e32 v33, 0x1ff, v25
	s_branch .LBB158_18
.LBB158_17:                             ;   in Loop: Header=BB158_18 Depth=3
	s_or_b32 exec_lo, exec_lo, s40
	s_xor_b32 s40, s41, -1
	s_delay_alu instid0(SALU_CYCLE_1) | instskip(NEXT) | instid1(SALU_CYCLE_1)
	s_and_b32 s40, exec_lo, s40
	s_or_b32 s35, s40, s35
	s_delay_alu instid0(SALU_CYCLE_1)
	s_and_not1_b32 exec_lo, exec_lo, s35
	s_cbranch_execz .LBB158_15
.LBB158_18:                             ;   Parent Loop BB158_13 Depth=1
                                        ;     Parent Loop BB158_16 Depth=2
                                        ; =>    This Loop Header: Depth=3
                                        ;         Child Loop BB158_24 Depth 4
                                        ;         Child Loop BB158_26 Depth 4
	;; [unrolled: 1-line block ×4, first 2 shown]
	s_delay_alu instid0(VALU_DEP_1)
	v_lshl_add_u32 v34, v33, 3, 0
	s_mov_b32 s40, exec_lo
                                        ; implicit-def: $sgpr41
	ds_load_b64 v[25:26], v34
	s_waitcnt lgkmcnt(0)
	v_cmpx_ne_u64_e64 v[25:26], v[23:24]
	s_xor_b32 s40, exec_lo, s40
	s_cbranch_execz .LBB158_30
; %bb.19:                               ;   in Loop: Header=BB158_18 Depth=3
	s_mov_b32 s42, exec_lo
                                        ; implicit-def: $sgpr41
	v_cmpx_ne_u64_e64 s[28:29], v[25:26]
	s_xor_b32 s42, exec_lo, s42
; %bb.20:                               ;   in Loop: Header=BB158_18 Depth=3
	v_add_nc_u32_e32 v25, 1, v33
	s_mov_b32 s41, -1
                                        ; implicit-def: $vgpr34
	s_delay_alu instid0(VALU_DEP_1)
	v_and_b32_e32 v33, 0x1ff, v25
; %bb.21:                               ;   in Loop: Header=BB158_18 Depth=3
	s_and_not1_saveexec_b32 s42, s42
	s_cbranch_execz .LBB158_29
; %bb.22:                               ;   in Loop: Header=BB158_18 Depth=3
	v_dual_mov_b32 v25, s28 :: v_dual_mov_b32 v26, s29
	s_mov_b32 s44, -1
	s_mov_b32 s43, exec_lo
	ds_cmpstore_rtn_b64 v[25:26], v34, v[23:24], v[25:26]
	s_waitcnt lgkmcnt(0)
	v_cmpx_eq_u64_e64 s[28:29], v[25:26]
	s_cbranch_execz .LBB158_28
; %bb.23:                               ;   in Loop: Header=BB158_18 Depth=3
	v_lshlrev_b32_e32 v25, 3, v33
	s_mov_b32 s44, 0
	s_delay_alu instid0(VALU_DEP_1)
	v_add_nc_u32_e32 v34, v34, v25
	ds_load_b64 v[25:26], v34 offset:4096
.LBB158_24:                             ;   Parent Loop BB158_13 Depth=1
                                        ;     Parent Loop BB158_16 Depth=2
                                        ;       Parent Loop BB158_18 Depth=3
                                        ; =>      This Inner Loop Header: Depth=4
	s_waitcnt lgkmcnt(0)
	v_add_f64 v[35:36], v[25:26], v[19:20]
	ds_cmpstore_rtn_b64 v[35:36], v34, v[35:36], v[25:26] offset:4096
	s_waitcnt lgkmcnt(0)
	v_cmp_eq_u64_e32 vcc_lo, v[35:36], v[25:26]
	v_dual_mov_b32 v25, v35 :: v_dual_mov_b32 v26, v36
	s_or_b32 s44, vcc_lo, s44
	s_delay_alu instid0(SALU_CYCLE_1)
	s_and_not1_b32 exec_lo, exec_lo, s44
	s_cbranch_execnz .LBB158_24
; %bb.25:                               ;   in Loop: Header=BB158_18 Depth=3
	s_or_b32 exec_lo, exec_lo, s44
	ds_load_b64 v[25:26], v34 offset:4104
	s_mov_b32 s44, 0
.LBB158_26:                             ;   Parent Loop BB158_13 Depth=1
                                        ;     Parent Loop BB158_16 Depth=2
                                        ;       Parent Loop BB158_18 Depth=3
                                        ; =>      This Inner Loop Header: Depth=4
	s_waitcnt lgkmcnt(0)
	v_add_f64 v[35:36], v[25:26], v[21:22]
	ds_cmpstore_rtn_b64 v[35:36], v34, v[35:36], v[25:26] offset:4104
	s_waitcnt lgkmcnt(0)
	v_cmp_eq_u64_e32 vcc_lo, v[35:36], v[25:26]
	v_dual_mov_b32 v25, v35 :: v_dual_mov_b32 v26, v36
	s_or_b32 s44, vcc_lo, s44
	s_delay_alu instid0(SALU_CYCLE_1)
	s_and_not1_b32 exec_lo, exec_lo, s44
	s_cbranch_execnz .LBB158_26
; %bb.27:                               ;   in Loop: Header=BB158_18 Depth=3
	s_or_b32 exec_lo, exec_lo, s44
	s_delay_alu instid0(SALU_CYCLE_1)
	s_xor_b32 s44, exec_lo, -1
.LBB158_28:                             ;   in Loop: Header=BB158_18 Depth=3
	s_or_b32 exec_lo, exec_lo, s43
	s_delay_alu instid0(SALU_CYCLE_1) | instskip(SKIP_1) | instid1(SALU_CYCLE_1)
	s_and_not1_b32 s41, s41, exec_lo
	s_and_b32 s43, s44, exec_lo
	s_or_b32 s41, s41, s43
.LBB158_29:                             ;   in Loop: Header=BB158_18 Depth=3
	s_or_b32 exec_lo, exec_lo, s42
	s_delay_alu instid0(SALU_CYCLE_1)
	s_and_b32 s41, s41, exec_lo
                                        ; implicit-def: $vgpr34
.LBB158_30:                             ;   in Loop: Header=BB158_18 Depth=3
	s_and_not1_saveexec_b32 s40, s40
	s_cbranch_execz .LBB158_17
; %bb.31:                               ;   in Loop: Header=BB158_18 Depth=3
	v_lshlrev_b32_e32 v25, 3, v33
	s_mov_b32 s42, 0
	s_delay_alu instid0(VALU_DEP_1)
	v_add_nc_u32_e32 v34, v34, v25
	ds_load_b64 v[25:26], v34 offset:4096
.LBB158_32:                             ;   Parent Loop BB158_13 Depth=1
                                        ;     Parent Loop BB158_16 Depth=2
                                        ;       Parent Loop BB158_18 Depth=3
                                        ; =>      This Inner Loop Header: Depth=4
	s_waitcnt lgkmcnt(0)
	v_add_f64 v[35:36], v[25:26], v[19:20]
	ds_cmpstore_rtn_b64 v[35:36], v34, v[35:36], v[25:26] offset:4096
	s_waitcnt lgkmcnt(0)
	v_cmp_eq_u64_e32 vcc_lo, v[35:36], v[25:26]
	v_dual_mov_b32 v25, v35 :: v_dual_mov_b32 v26, v36
	s_or_b32 s42, vcc_lo, s42
	s_delay_alu instid0(SALU_CYCLE_1)
	s_and_not1_b32 exec_lo, exec_lo, s42
	s_cbranch_execnz .LBB158_32
; %bb.33:                               ;   in Loop: Header=BB158_18 Depth=3
	s_or_b32 exec_lo, exec_lo, s42
	ds_load_b64 v[25:26], v34 offset:4104
	s_mov_b32 s42, 0
.LBB158_34:                             ;   Parent Loop BB158_13 Depth=1
                                        ;     Parent Loop BB158_16 Depth=2
                                        ;       Parent Loop BB158_18 Depth=3
                                        ; =>      This Inner Loop Header: Depth=4
	s_waitcnt lgkmcnt(0)
	v_add_f64 v[35:36], v[25:26], v[21:22]
	ds_cmpstore_rtn_b64 v[35:36], v34, v[35:36], v[25:26] offset:4104
	s_waitcnt lgkmcnt(0)
	v_cmp_eq_u64_e32 vcc_lo, v[35:36], v[25:26]
	v_dual_mov_b32 v25, v35 :: v_dual_mov_b32 v26, v36
	s_or_b32 s42, vcc_lo, s42
	s_delay_alu instid0(SALU_CYCLE_1)
	s_and_not1_b32 exec_lo, exec_lo, s42
	s_cbranch_execnz .LBB158_34
; %bb.35:                               ;   in Loop: Header=BB158_18 Depth=3
	s_or_b32 exec_lo, exec_lo, s42
	s_delay_alu instid0(SALU_CYCLE_1)
	s_and_not1_b32 s41, s41, exec_lo
	s_branch .LBB158_17
.LBB158_36:
	s_or_b32 exec_lo, exec_lo, s1
.LBB158_37:
	s_delay_alu instid0(SALU_CYCLE_1)
	s_and_not1_b32 vcc_lo, exec_lo, s33
	s_cbranch_vccnz .LBB158_62
; %bb.38:
	s_waitcnt lgkmcnt(0)
	s_lshl_b64 s[2:3], s[30:31], 3
	v_sub_co_u32 v5, s1, v0, s23
	s_add_u32 s2, s4, s2
	s_addc_u32 s3, s5, s3
	v_sub_co_ci_u32_e64 v6, null, 0, 0, s1
	s_load_b128 s[12:15], s[2:3], 0x0
	s_mov_b32 s1, 0
	s_mov_b32 s4, exec_lo
	s_waitcnt lgkmcnt(0)
	v_add_co_u32 v5, vcc_lo, s12, v5
	v_add_co_ci_u32_e32 v6, vcc_lo, s13, v6, vcc_lo
	s_sub_u32 s2, s14, s23
	s_subb_u32 s3, s15, 0
	s_delay_alu instid0(VALU_DEP_1) | instid1(SALU_CYCLE_1)
	v_cmpx_gt_i64_e64 s[2:3], v[5:6]
	s_cbranch_execz .LBB158_61
; %bb.39:
	s_mov_b32 s5, s23
	s_branch .LBB158_41
.LBB158_40:                             ;   in Loop: Header=BB158_41 Depth=1
	s_or_b32 exec_lo, exec_lo, s12
	v_add_co_u32 v5, vcc_lo, 0x100, v5
	v_add_co_ci_u32_e32 v6, vcc_lo, 0, v6, vcc_lo
	s_delay_alu instid0(VALU_DEP_1) | instskip(SKIP_1) | instid1(SALU_CYCLE_1)
	v_cmp_le_i64_e32 vcc_lo, s[2:3], v[5:6]
	s_or_b32 s1, vcc_lo, s1
	s_and_not1_b32 exec_lo, exec_lo, s1
	s_cbranch_execz .LBB158_61
.LBB158_41:                             ; =>This Loop Header: Depth=1
                                        ;     Child Loop BB158_43 Depth 2
                                        ;       Child Loop BB158_49 Depth 3
                                        ;       Child Loop BB158_51 Depth 3
	;; [unrolled: 1-line block ×4, first 2 shown]
	v_lshlrev_b64 v[7:8], 4, v[5:6]
	s_mov_b32 s12, 0
	s_delay_alu instid0(VALU_DEP_1) | instskip(NEXT) | instid1(VALU_DEP_2)
	v_add_co_u32 v7, vcc_lo, s8, v7
	v_add_co_ci_u32_e32 v8, vcc_lo, s9, v8, vcc_lo
	global_load_b128 v[9:12], v[7:8], off
	v_lshlrev_b64 v[7:8], 3, v[5:6]
	s_delay_alu instid0(VALU_DEP_1) | instskip(NEXT) | instid1(VALU_DEP_2)
	v_add_co_u32 v7, vcc_lo, s6, v7
	v_add_co_ci_u32_e32 v8, vcc_lo, s7, v8, vcc_lo
	global_load_b64 v[13:14], v[7:8], off
	s_waitcnt vmcnt(1)
	v_mul_f64 v[7:8], v[11:12], -v[1:2]
	v_mul_f64 v[11:12], v[3:4], v[11:12]
	s_delay_alu instid0(VALU_DEP_2) | instskip(NEXT) | instid1(VALU_DEP_2)
	v_fma_f64 v[7:8], v[3:4], v[9:10], v[7:8]
	v_fma_f64 v[9:10], v[1:2], v[9:10], v[11:12]
	s_waitcnt vmcnt(0)
	v_sub_co_u32 v11, vcc_lo, v13, s5
	v_subrev_co_ci_u32_e32 v12, vcc_lo, 0, v14, vcc_lo
	s_delay_alu instid0(VALU_DEP_2) | instskip(NEXT) | instid1(VALU_DEP_1)
	v_mul_lo_u32 v13, 0x89, v11
	v_and_b32_e32 v15, 0x1ff, v13
	s_branch .LBB158_43
.LBB158_42:                             ;   in Loop: Header=BB158_43 Depth=2
	s_or_b32 exec_lo, exec_lo, s13
	s_xor_b32 s13, s14, -1
	s_delay_alu instid0(SALU_CYCLE_1) | instskip(NEXT) | instid1(SALU_CYCLE_1)
	s_and_b32 s13, exec_lo, s13
	s_or_b32 s12, s13, s12
	s_delay_alu instid0(SALU_CYCLE_1)
	s_and_not1_b32 exec_lo, exec_lo, s12
	s_cbranch_execz .LBB158_40
.LBB158_43:                             ;   Parent Loop BB158_41 Depth=1
                                        ; =>  This Loop Header: Depth=2
                                        ;       Child Loop BB158_49 Depth 3
                                        ;       Child Loop BB158_51 Depth 3
	;; [unrolled: 1-line block ×4, first 2 shown]
	s_delay_alu instid0(VALU_DEP_1)
	v_lshl_add_u32 v16, v15, 3, 0
	s_mov_b32 s13, exec_lo
                                        ; implicit-def: $sgpr14
	ds_load_b64 v[13:14], v16
	s_waitcnt lgkmcnt(0)
	v_cmpx_ne_u64_e64 v[13:14], v[11:12]
	s_xor_b32 s13, exec_lo, s13
	s_cbranch_execz .LBB158_55
; %bb.44:                               ;   in Loop: Header=BB158_43 Depth=2
	s_mov_b32 s15, exec_lo
                                        ; implicit-def: $sgpr14
	v_cmpx_ne_u64_e64 s[28:29], v[13:14]
	s_xor_b32 s15, exec_lo, s15
; %bb.45:                               ;   in Loop: Header=BB158_43 Depth=2
	v_add_nc_u32_e32 v13, 1, v15
	s_mov_b32 s14, -1
                                        ; implicit-def: $vgpr16
	s_delay_alu instid0(VALU_DEP_1)
	v_and_b32_e32 v15, 0x1ff, v13
; %bb.46:                               ;   in Loop: Header=BB158_43 Depth=2
	s_and_not1_saveexec_b32 s15, s15
	s_cbranch_execz .LBB158_54
; %bb.47:                               ;   in Loop: Header=BB158_43 Depth=2
	v_dual_mov_b32 v13, s28 :: v_dual_mov_b32 v14, s29
	s_mov_b32 s17, -1
	s_mov_b32 s16, exec_lo
	ds_cmpstore_rtn_b64 v[13:14], v16, v[11:12], v[13:14]
	s_waitcnt lgkmcnt(0)
	v_cmpx_eq_u64_e64 s[28:29], v[13:14]
	s_cbranch_execz .LBB158_53
; %bb.48:                               ;   in Loop: Header=BB158_43 Depth=2
	v_lshlrev_b32_e32 v13, 3, v15
	s_mov_b32 s17, 0
	s_delay_alu instid0(VALU_DEP_1)
	v_add_nc_u32_e32 v16, v16, v13
	ds_load_b64 v[13:14], v16 offset:4096
.LBB158_49:                             ;   Parent Loop BB158_41 Depth=1
                                        ;     Parent Loop BB158_43 Depth=2
                                        ; =>    This Inner Loop Header: Depth=3
	s_waitcnt lgkmcnt(0)
	v_add_f64 v[17:18], v[13:14], v[7:8]
	ds_cmpstore_rtn_b64 v[17:18], v16, v[17:18], v[13:14] offset:4096
	s_waitcnt lgkmcnt(0)
	v_cmp_eq_u64_e32 vcc_lo, v[17:18], v[13:14]
	v_dual_mov_b32 v13, v17 :: v_dual_mov_b32 v14, v18
	s_or_b32 s17, vcc_lo, s17
	s_delay_alu instid0(SALU_CYCLE_1)
	s_and_not1_b32 exec_lo, exec_lo, s17
	s_cbranch_execnz .LBB158_49
; %bb.50:                               ;   in Loop: Header=BB158_43 Depth=2
	s_or_b32 exec_lo, exec_lo, s17
	ds_load_b64 v[13:14], v16 offset:4104
	s_mov_b32 s17, 0
.LBB158_51:                             ;   Parent Loop BB158_41 Depth=1
                                        ;     Parent Loop BB158_43 Depth=2
                                        ; =>    This Inner Loop Header: Depth=3
	s_waitcnt lgkmcnt(0)
	v_add_f64 v[17:18], v[13:14], v[9:10]
	ds_cmpstore_rtn_b64 v[17:18], v16, v[17:18], v[13:14] offset:4104
	s_waitcnt lgkmcnt(0)
	v_cmp_eq_u64_e32 vcc_lo, v[17:18], v[13:14]
	v_dual_mov_b32 v13, v17 :: v_dual_mov_b32 v14, v18
	s_or_b32 s17, vcc_lo, s17
	s_delay_alu instid0(SALU_CYCLE_1)
	s_and_not1_b32 exec_lo, exec_lo, s17
	s_cbranch_execnz .LBB158_51
; %bb.52:                               ;   in Loop: Header=BB158_43 Depth=2
	s_or_b32 exec_lo, exec_lo, s17
	s_delay_alu instid0(SALU_CYCLE_1)
	s_xor_b32 s17, exec_lo, -1
.LBB158_53:                             ;   in Loop: Header=BB158_43 Depth=2
	s_or_b32 exec_lo, exec_lo, s16
	s_delay_alu instid0(SALU_CYCLE_1) | instskip(SKIP_1) | instid1(SALU_CYCLE_1)
	s_and_not1_b32 s14, s14, exec_lo
	s_and_b32 s16, s17, exec_lo
	s_or_b32 s14, s14, s16
.LBB158_54:                             ;   in Loop: Header=BB158_43 Depth=2
	s_or_b32 exec_lo, exec_lo, s15
	s_delay_alu instid0(SALU_CYCLE_1)
	s_and_b32 s14, s14, exec_lo
                                        ; implicit-def: $vgpr16
.LBB158_55:                             ;   in Loop: Header=BB158_43 Depth=2
	s_and_not1_saveexec_b32 s13, s13
	s_cbranch_execz .LBB158_42
; %bb.56:                               ;   in Loop: Header=BB158_43 Depth=2
	v_lshlrev_b32_e32 v13, 3, v15
	s_mov_b32 s15, 0
	s_delay_alu instid0(VALU_DEP_1)
	v_add_nc_u32_e32 v16, v16, v13
	ds_load_b64 v[13:14], v16 offset:4096
.LBB158_57:                             ;   Parent Loop BB158_41 Depth=1
                                        ;     Parent Loop BB158_43 Depth=2
                                        ; =>    This Inner Loop Header: Depth=3
	s_waitcnt lgkmcnt(0)
	v_add_f64 v[17:18], v[13:14], v[7:8]
	ds_cmpstore_rtn_b64 v[17:18], v16, v[17:18], v[13:14] offset:4096
	s_waitcnt lgkmcnt(0)
	v_cmp_eq_u64_e32 vcc_lo, v[17:18], v[13:14]
	v_dual_mov_b32 v13, v17 :: v_dual_mov_b32 v14, v18
	s_or_b32 s15, vcc_lo, s15
	s_delay_alu instid0(SALU_CYCLE_1)
	s_and_not1_b32 exec_lo, exec_lo, s15
	s_cbranch_execnz .LBB158_57
; %bb.58:                               ;   in Loop: Header=BB158_43 Depth=2
	s_or_b32 exec_lo, exec_lo, s15
	ds_load_b64 v[13:14], v16 offset:4104
	s_mov_b32 s15, 0
.LBB158_59:                             ;   Parent Loop BB158_41 Depth=1
                                        ;     Parent Loop BB158_43 Depth=2
                                        ; =>    This Inner Loop Header: Depth=3
	s_waitcnt lgkmcnt(0)
	v_add_f64 v[17:18], v[13:14], v[9:10]
	ds_cmpstore_rtn_b64 v[17:18], v16, v[17:18], v[13:14] offset:4104
	s_waitcnt lgkmcnt(0)
	v_cmp_eq_u64_e32 vcc_lo, v[17:18], v[13:14]
	v_dual_mov_b32 v13, v17 :: v_dual_mov_b32 v14, v18
	s_or_b32 s15, vcc_lo, s15
	s_delay_alu instid0(SALU_CYCLE_1)
	s_and_not1_b32 exec_lo, exec_lo, s15
	s_cbranch_execnz .LBB158_59
; %bb.60:                               ;   in Loop: Header=BB158_43 Depth=2
	s_or_b32 exec_lo, exec_lo, s15
	s_delay_alu instid0(SALU_CYCLE_1)
	s_and_not1_b32 s14, s14, exec_lo
	s_branch .LBB158_42
.LBB158_61:
	s_or_b32 exec_lo, exec_lo, s4
.LBB158_62:
	s_waitcnt lgkmcnt(0)
	s_barrier
	buffer_gl0_inv
	s_and_saveexec_b32 s8, s0
	s_cbranch_execz .LBB158_83
; %bb.63:
	v_mbcnt_lo_u32_b32 v1, -1, 0
	v_lshl_add_u32 v10, v30, 3, 0
	v_cmp_eq_u32_e32 vcc_lo, 0xff, v0
	v_cmp_lt_u32_e64 s0, 31, v0
	v_cmp_lt_u32_e64 s1, 63, v0
	v_xor_b32_e32 v1, 63, v1
	v_cmp_lt_u32_e64 s2, 0x5f, v0
	v_cmp_lt_u32_e64 s3, 0x7f, v0
	;; [unrolled: 1-line block ×4, first 2 shown]
	v_lshrrev_b64 v[1:2], v1, -1
	v_dual_mov_b32 v2, 0 :: v_dual_mov_b32 v5, 0
	v_cmp_lt_u32_e64 s6, 0xdf, v0
	v_add3_u32 v11, v29, 0, 0x1000
	v_mov_b32_e32 v3, 0
	s_mov_b32 s9, 0
	s_branch .LBB158_65
.LBB158_64:                             ;   in Loop: Header=BB158_65 Depth=1
	s_or_b32 exec_lo, exec_lo, s7
	s_waitcnt lgkmcnt(0)
	s_barrier
	buffer_gl0_inv
	ds_load_b64 v[6:7], v5 offset:12344
	v_add_co_u32 v27, s7, 0x100, v27
	s_delay_alu instid0(VALU_DEP_1) | instskip(SKIP_4) | instid1(VALU_DEP_1)
	s_xor_b32 s12, s7, -1
	v_add_nc_u32_e32 v11, 0x1000, v11
	v_add_nc_u32_e32 v28, 0x800, v28
	s_waitcnt lgkmcnt(0)
	v_add_co_u32 v2, s7, v6, v2
	v_add_co_ci_u32_e64 v3, s7, v7, v3, s7
	s_and_b32 s7, exec_lo, s12
	s_delay_alu instid0(SALU_CYCLE_1) | instskip(NEXT) | instid1(SALU_CYCLE_1)
	s_or_b32 s9, s7, s9
	s_and_not1_b32 exec_lo, exec_lo, s9
	s_cbranch_execz .LBB158_83
.LBB158_65:                             ; =>This Inner Loop Header: Depth=1
	ds_load_b64 v[6:7], v28
	ds_load_2addr_b64 v[12:15], v11 offset1:1
	s_waitcnt lgkmcnt(1)
	v_cmp_gt_i64_e64 s7, s[28:29], v[6:7]
	s_waitcnt lgkmcnt(0)
	scratch_store_b128 off, v[12:15], off
	s_waitcnt_vscnt null, 0x0
	s_barrier
	buffer_gl0_inv
	v_and_b32_e32 v8, s7, v1
	s_bcnt1_i32_b32 s12, s7
	s_delay_alu instid0(SALU_CYCLE_1) | instskip(NEXT) | instid1(VALU_DEP_2)
	v_mov_b32_e32 v4, s12
	v_bcnt_u32_b32 v8, v8, 0
	ds_store_b64 v10, v[4:5] offset:12288
	s_waitcnt lgkmcnt(0)
	s_barrier
	buffer_gl0_inv
	s_and_saveexec_b32 s12, s0
	s_cbranch_execnz .LBB158_74
; %bb.66:                               ;   in Loop: Header=BB158_65 Depth=1
	s_or_b32 exec_lo, exec_lo, s12
	s_and_saveexec_b32 s12, s1
	s_cbranch_execnz .LBB158_75
.LBB158_67:                             ;   in Loop: Header=BB158_65 Depth=1
	s_or_b32 exec_lo, exec_lo, s12
	s_and_saveexec_b32 s12, s2
	s_cbranch_execnz .LBB158_76
.LBB158_68:                             ;   in Loop: Header=BB158_65 Depth=1
	s_or_b32 exec_lo, exec_lo, s12
	s_and_saveexec_b32 s12, s3
	s_cbranch_execnz .LBB158_77
.LBB158_69:                             ;   in Loop: Header=BB158_65 Depth=1
	s_or_b32 exec_lo, exec_lo, s12
	s_and_saveexec_b32 s12, s4
	s_cbranch_execnz .LBB158_78
.LBB158_70:                             ;   in Loop: Header=BB158_65 Depth=1
	s_or_b32 exec_lo, exec_lo, s12
	s_and_saveexec_b32 s12, s5
	s_cbranch_execnz .LBB158_79
.LBB158_71:                             ;   in Loop: Header=BB158_65 Depth=1
	s_or_b32 exec_lo, exec_lo, s12
	s_and_saveexec_b32 s12, s6
	s_cbranch_execnz .LBB158_80
.LBB158_72:                             ;   in Loop: Header=BB158_65 Depth=1
	s_or_b32 exec_lo, exec_lo, s12
	v_ashrrev_i32_e32 v9, 31, v8
	s_and_saveexec_b32 s12, s7
	s_cbranch_execnz .LBB158_81
.LBB158_73:                             ;   in Loop: Header=BB158_65 Depth=1
	s_or_b32 exec_lo, exec_lo, s12
	s_and_saveexec_b32 s7, vcc_lo
	s_cbranch_execz .LBB158_64
	s_branch .LBB158_82
.LBB158_74:                             ;   in Loop: Header=BB158_65 Depth=1
	ds_load_b32 v4, v5 offset:12288
	s_waitcnt lgkmcnt(0)
	v_add_nc_u32_e32 v8, v4, v8
	s_or_b32 exec_lo, exec_lo, s12
	s_and_saveexec_b32 s12, s1
	s_cbranch_execz .LBB158_67
.LBB158_75:                             ;   in Loop: Header=BB158_65 Depth=1
	ds_load_b32 v4, v5 offset:12296
	s_waitcnt lgkmcnt(0)
	v_add_nc_u32_e32 v8, v8, v4
	s_or_b32 exec_lo, exec_lo, s12
	s_and_saveexec_b32 s12, s2
	s_cbranch_execz .LBB158_68
.LBB158_76:                             ;   in Loop: Header=BB158_65 Depth=1
	ds_load_b32 v4, v5 offset:12304
	s_waitcnt lgkmcnt(0)
	v_add_nc_u32_e32 v8, v8, v4
	s_or_b32 exec_lo, exec_lo, s12
	s_and_saveexec_b32 s12, s3
	s_cbranch_execz .LBB158_69
.LBB158_77:                             ;   in Loop: Header=BB158_65 Depth=1
	ds_load_b32 v4, v5 offset:12312
	s_waitcnt lgkmcnt(0)
	v_add_nc_u32_e32 v8, v8, v4
	s_or_b32 exec_lo, exec_lo, s12
	s_and_saveexec_b32 s12, s4
	s_cbranch_execz .LBB158_70
.LBB158_78:                             ;   in Loop: Header=BB158_65 Depth=1
	ds_load_b32 v4, v5 offset:12320
	s_waitcnt lgkmcnt(0)
	v_add_nc_u32_e32 v8, v8, v4
	s_or_b32 exec_lo, exec_lo, s12
	s_and_saveexec_b32 s12, s5
	s_cbranch_execz .LBB158_71
.LBB158_79:                             ;   in Loop: Header=BB158_65 Depth=1
	ds_load_b32 v4, v5 offset:12328
	s_waitcnt lgkmcnt(0)
	v_add_nc_u32_e32 v8, v8, v4
	s_or_b32 exec_lo, exec_lo, s12
	s_and_saveexec_b32 s12, s6
	s_cbranch_execz .LBB158_72
.LBB158_80:                             ;   in Loop: Header=BB158_65 Depth=1
	ds_load_b32 v4, v5 offset:12336
	s_waitcnt lgkmcnt(0)
	v_add_nc_u32_e32 v8, v8, v4
	s_or_b32 exec_lo, exec_lo, s12
	s_delay_alu instid0(VALU_DEP_1)
	v_ashrrev_i32_e32 v9, 31, v8
	s_and_saveexec_b32 s12, s7
	s_cbranch_execz .LBB158_73
.LBB158_81:                             ;   in Loop: Header=BB158_65 Depth=1
	scratch_load_b128 v[12:15], off, off
	v_add3_u32 v4, v2, -1, v8
	s_delay_alu instid0(VALU_DEP_1) | instskip(SKIP_1) | instid1(VALU_DEP_2)
	v_lshlrev_b32_e32 v16, 4, v4
	v_lshl_add_u32 v4, v4, 3, 0
	v_add3_u32 v16, 0, v16, 0x1000
	ds_store_b64 v4, v[6:7]
	s_waitcnt vmcnt(0)
	ds_store_2addr_b64 v16, v[12:13], v[14:15] offset1:1
	s_or_b32 exec_lo, exec_lo, s12
	s_and_saveexec_b32 s7, vcc_lo
	s_cbranch_execz .LBB158_64
.LBB158_82:                             ;   in Loop: Header=BB158_65 Depth=1
	ds_store_b64 v5, v[8:9] offset:12344
	s_branch .LBB158_64
.LBB158_83:
	s_or_b32 exec_lo, exec_lo, s8
	s_lshl_b64 s[0:1], s[30:31], 3
	v_mov_b32_e32 v1, 0
	s_add_u32 s0, s10, s0
	s_addc_u32 s1, s11, s1
	s_mov_b32 s6, exec_lo
	s_load_b128 s[0:3], s[0:1], 0x0
	s_waitcnt lgkmcnt(0)
	s_sub_u32 s4, s2, s0
	s_subb_u32 s5, s3, s1
	s_delay_alu instid0(SALU_CYCLE_1)
	v_cmpx_gt_i64_e64 s[4:5], v[0:1]
	s_cbranch_execz .LBB158_93
; %bb.84:
	s_sub_u32 s8, s0, s22
	s_subb_u32 s9, s1, 0
	s_and_b32 s6, s4, 7
	s_sub_u32 s0, s0, s2
	s_subb_u32 s1, s1, s3
	s_mov_b32 s7, 0
	v_cmp_lt_u64_e64 s12, s[0:1], -7
	s_and_b32 s2, s4, -8
	s_cmp_lg_u64 s[6:7], 0
	s_mov_b32 s3, s5
	s_cselect_b32 s13, -1, 0
	s_mov_b32 s14, s7
	s_branch .LBB158_86
.LBB158_85:                             ;   in Loop: Header=BB158_86 Depth=1
	v_lshlrev_b32_e32 v7, 3, v0
	s_waitcnt lgkmcnt(0)
	v_add_co_u32 v2, vcc_lo, v2, s22
	v_lshlrev_b64 v[10:11], 3, v[4:5]
	v_add_co_ci_u32_e32 v3, vcc_lo, 0, v3, vcc_lo
	v_add3_u32 v6, v6, v7, 0x1000
	v_add_co_u32 v0, vcc_lo, 0x100, v0
	v_add_co_ci_u32_e32 v1, vcc_lo, 0, v1, vcc_lo
	ds_load_2addr_b64 v[6:9], v6 offset1:1
	v_lshlrev_b64 v[4:5], 4, v[4:5]
	v_add_co_u32 v10, vcc_lo, s24, v10
	v_add_co_ci_u32_e32 v11, vcc_lo, s25, v11, vcc_lo
	v_cmp_le_i64_e32 vcc_lo, s[4:5], v[0:1]
	s_delay_alu instid0(VALU_DEP_4) | instskip(NEXT) | instid1(VALU_DEP_1)
	v_add_co_u32 v4, s0, s26, v4
	v_add_co_ci_u32_e64 v5, s0, s27, v5, s0
	global_store_b64 v[10:11], v[2:3], off
	s_waitcnt lgkmcnt(0)
	global_store_b128 v[4:5], v[6:9], off
	s_or_b32 s14, vcc_lo, s14
	s_delay_alu instid0(SALU_CYCLE_1)
	s_and_not1_b32 exec_lo, exec_lo, s14
	s_cbranch_execz .LBB158_93
.LBB158_86:                             ; =>This Loop Header: Depth=1
                                        ;     Child Loop BB158_88 Depth 2
                                        ;     Child Loop BB158_92 Depth 2
	v_lshl_add_u32 v6, v0, 3, 0
	v_dual_mov_b32 v4, s8 :: v_dual_mov_b32 v5, s9
	s_and_not1_b32 vcc_lo, exec_lo, s12
	s_mov_b64 s[0:1], 0
	ds_load_b64 v[2:3], v6
	s_cbranch_vccnz .LBB158_90
; %bb.87:                               ;   in Loop: Header=BB158_86 Depth=1
	v_dual_mov_b32 v4, s8 :: v_dual_mov_b32 v5, s9
	s_mov_b64 s[10:11], 0
	s_mov_b32 s1, 0
.LBB158_88:                             ;   Parent Loop BB158_86 Depth=1
                                        ; =>  This Inner Loop Header: Depth=2
	s_delay_alu instid0(SALU_CYCLE_1)
	v_mov_b32_e32 v19, s1
	s_add_u32 s10, s10, 8
	s_addc_u32 s11, s11, 0
	s_add_i32 s1, s1, 64
	s_cmp_eq_u64 s[2:3], s[10:11]
	ds_load_2addr_b64 v[7:10], v19 offset1:1
	ds_load_2addr_b64 v[11:14], v19 offset0:2 offset1:3
	ds_load_2addr_b64 v[15:18], v19 offset0:4 offset1:5
	;; [unrolled: 1-line block ×3, first 2 shown]
	s_waitcnt lgkmcnt(3)
	v_cmp_gt_i64_e32 vcc_lo, v[2:3], v[7:8]
	v_cndmask_b32_e64 v7, 0, 1, vcc_lo
	v_cmp_gt_i64_e32 vcc_lo, v[2:3], v[9:10]
	v_cndmask_b32_e64 v8, 0, 1, vcc_lo
	s_waitcnt lgkmcnt(2)
	v_cmp_gt_i64_e32 vcc_lo, v[2:3], v[11:12]
	v_cndmask_b32_e64 v9, 0, 1, vcc_lo
	v_cmp_gt_i64_e32 vcc_lo, v[2:3], v[13:14]
	v_cndmask_b32_e64 v10, 0, 1, vcc_lo
	s_waitcnt lgkmcnt(1)
	v_cmp_gt_i64_e32 vcc_lo, v[2:3], v[15:16]
	v_cndmask_b32_e64 v11, 0, 1, vcc_lo
	v_add_co_u32 v4, vcc_lo, v4, v7
	v_add_co_ci_u32_e32 v5, vcc_lo, 0, v5, vcc_lo
	v_cmp_gt_i64_e32 vcc_lo, v[2:3], v[17:18]
	s_delay_alu instid0(VALU_DEP_3) | instskip(NEXT) | instid1(VALU_DEP_1)
	v_add_co_u32 v4, s0, v4, v8
	v_add_co_ci_u32_e64 v5, s0, 0, v5, s0
	v_cndmask_b32_e64 v7, 0, 1, vcc_lo
	s_delay_alu instid0(VALU_DEP_3) | instskip(NEXT) | instid1(VALU_DEP_3)
	v_add_co_u32 v4, vcc_lo, v4, v9
	v_add_co_ci_u32_e32 v5, vcc_lo, 0, v5, vcc_lo
	s_waitcnt lgkmcnt(0)
	v_cmp_gt_i64_e32 vcc_lo, v[2:3], v[19:20]
	s_delay_alu instid0(VALU_DEP_3) | instskip(NEXT) | instid1(VALU_DEP_1)
	v_add_co_u32 v4, s0, v4, v10
	v_add_co_ci_u32_e64 v5, s0, 0, v5, s0
	v_cndmask_b32_e64 v8, 0, 1, vcc_lo
	s_delay_alu instid0(VALU_DEP_3) | instskip(NEXT) | instid1(VALU_DEP_3)
	v_add_co_u32 v4, vcc_lo, v4, v11
	v_add_co_ci_u32_e32 v5, vcc_lo, 0, v5, vcc_lo
	v_cmp_gt_i64_e32 vcc_lo, v[2:3], v[21:22]
	s_delay_alu instid0(VALU_DEP_3) | instskip(NEXT) | instid1(VALU_DEP_1)
	v_add_co_u32 v4, s0, v4, v7
	v_add_co_ci_u32_e64 v5, s0, 0, v5, s0
	v_cndmask_b32_e64 v7, 0, 1, vcc_lo
	s_delay_alu instid0(VALU_DEP_3) | instskip(NEXT) | instid1(VALU_DEP_3)
	v_add_co_u32 v4, vcc_lo, v4, v8
	v_add_co_ci_u32_e32 v5, vcc_lo, 0, v5, vcc_lo
	s_delay_alu instid0(VALU_DEP_2) | instskip(NEXT) | instid1(VALU_DEP_2)
	v_add_co_u32 v4, vcc_lo, v4, v7
	v_add_co_ci_u32_e32 v5, vcc_lo, 0, v5, vcc_lo
	s_cbranch_scc0 .LBB158_88
; %bb.89:                               ;   in Loop: Header=BB158_86 Depth=1
	s_mov_b64 s[0:1], s[2:3]
.LBB158_90:                             ;   in Loop: Header=BB158_86 Depth=1
	s_and_not1_b32 vcc_lo, exec_lo, s13
	s_cbranch_vccnz .LBB158_85
; %bb.91:                               ;   in Loop: Header=BB158_86 Depth=1
	s_lshl_b32 s0, s0, 3
	s_delay_alu instid0(SALU_CYCLE_1)
	s_add_i32 s10, s0, 0
	s_mov_b64 s[0:1], s[6:7]
.LBB158_92:                             ;   Parent Loop BB158_86 Depth=1
                                        ; =>  This Inner Loop Header: Depth=2
	v_mov_b32_e32 v7, s10
	s_add_i32 s10, s10, 8
	s_add_u32 s0, s0, -1
	s_addc_u32 s1, s1, -1
	s_delay_alu instid0(SALU_CYCLE_1) | instskip(SKIP_4) | instid1(VALU_DEP_1)
	s_cmp_lg_u64 s[0:1], 0
	ds_load_b64 v[7:8], v7
	s_waitcnt lgkmcnt(0)
	v_cmp_gt_i64_e32 vcc_lo, v[2:3], v[7:8]
	v_cndmask_b32_e64 v7, 0, 1, vcc_lo
	v_add_co_u32 v4, vcc_lo, v4, v7
	v_add_co_ci_u32_e32 v5, vcc_lo, 0, v5, vcc_lo
	s_cbranch_scc1 .LBB158_92
	s_branch .LBB158_85
.LBB158_93:
	s_nop 0
	s_sendmsg sendmsg(MSG_DEALLOC_VGPRS)
	s_endpgm
	.section	.rodata,"a",@progbits
	.p2align	6, 0x0
	.amdhsa_kernel _ZN9rocsparseL26csrgemm_fill_block_per_rowILj256ELj32ELj512ELj137ELj32Ell21rocsparse_complex_numIdEEEvT5_PKS3_S5_NS_24const_host_device_scalarIT6_EEPKT4_S5_PKS7_SB_S5_SD_S8_SB_S5_SD_SB_PS3_PS7_21rocsparse_index_base_SG_SG_SG_bbb
		.amdhsa_group_segment_fixed_size 0
		.amdhsa_private_segment_fixed_size 40
		.amdhsa_kernarg_size 172
		.amdhsa_user_sgpr_count 15
		.amdhsa_user_sgpr_dispatch_ptr 0
		.amdhsa_user_sgpr_queue_ptr 0
		.amdhsa_user_sgpr_kernarg_segment_ptr 1
		.amdhsa_user_sgpr_dispatch_id 0
		.amdhsa_user_sgpr_private_segment_size 0
		.amdhsa_wavefront_size32 1
		.amdhsa_uses_dynamic_stack 0
		.amdhsa_enable_private_segment 1
		.amdhsa_system_sgpr_workgroup_id_x 1
		.amdhsa_system_sgpr_workgroup_id_y 0
		.amdhsa_system_sgpr_workgroup_id_z 0
		.amdhsa_system_sgpr_workgroup_info 0
		.amdhsa_system_vgpr_workitem_id 0
		.amdhsa_next_free_vgpr 37
		.amdhsa_next_free_sgpr 46
		.amdhsa_reserve_vcc 1
		.amdhsa_float_round_mode_32 0
		.amdhsa_float_round_mode_16_64 0
		.amdhsa_float_denorm_mode_32 3
		.amdhsa_float_denorm_mode_16_64 3
		.amdhsa_dx10_clamp 1
		.amdhsa_ieee_mode 1
		.amdhsa_fp16_overflow 0
		.amdhsa_workgroup_processor_mode 1
		.amdhsa_memory_ordered 1
		.amdhsa_forward_progress 0
		.amdhsa_shared_vgpr_count 0
		.amdhsa_exception_fp_ieee_invalid_op 0
		.amdhsa_exception_fp_denorm_src 0
		.amdhsa_exception_fp_ieee_div_zero 0
		.amdhsa_exception_fp_ieee_overflow 0
		.amdhsa_exception_fp_ieee_underflow 0
		.amdhsa_exception_fp_ieee_inexact 0
		.amdhsa_exception_int_div_zero 0
	.end_amdhsa_kernel
	.section	.text._ZN9rocsparseL26csrgemm_fill_block_per_rowILj256ELj32ELj512ELj137ELj32Ell21rocsparse_complex_numIdEEEvT5_PKS3_S5_NS_24const_host_device_scalarIT6_EEPKT4_S5_PKS7_SB_S5_SD_S8_SB_S5_SD_SB_PS3_PS7_21rocsparse_index_base_SG_SG_SG_bbb,"axG",@progbits,_ZN9rocsparseL26csrgemm_fill_block_per_rowILj256ELj32ELj512ELj137ELj32Ell21rocsparse_complex_numIdEEEvT5_PKS3_S5_NS_24const_host_device_scalarIT6_EEPKT4_S5_PKS7_SB_S5_SD_S8_SB_S5_SD_SB_PS3_PS7_21rocsparse_index_base_SG_SG_SG_bbb,comdat
.Lfunc_end158:
	.size	_ZN9rocsparseL26csrgemm_fill_block_per_rowILj256ELj32ELj512ELj137ELj32Ell21rocsparse_complex_numIdEEEvT5_PKS3_S5_NS_24const_host_device_scalarIT6_EEPKT4_S5_PKS7_SB_S5_SD_S8_SB_S5_SD_SB_PS3_PS7_21rocsparse_index_base_SG_SG_SG_bbb, .Lfunc_end158-_ZN9rocsparseL26csrgemm_fill_block_per_rowILj256ELj32ELj512ELj137ELj32Ell21rocsparse_complex_numIdEEEvT5_PKS3_S5_NS_24const_host_device_scalarIT6_EEPKT4_S5_PKS7_SB_S5_SD_S8_SB_S5_SD_SB_PS3_PS7_21rocsparse_index_base_SG_SG_SG_bbb
                                        ; -- End function
	.section	.AMDGPU.csdata,"",@progbits
; Kernel info:
; codeLenInByte = 4056
; NumSgprs: 48
; NumVgprs: 37
; ScratchSize: 40
; MemoryBound: 0
; FloatMode: 240
; IeeeMode: 1
; LDSByteSize: 0 bytes/workgroup (compile time only)
; SGPRBlocks: 5
; VGPRBlocks: 4
; NumSGPRsForWavesPerEU: 48
; NumVGPRsForWavesPerEU: 37
; Occupancy: 16
; WaveLimiterHint : 1
; COMPUTE_PGM_RSRC2:SCRATCH_EN: 1
; COMPUTE_PGM_RSRC2:USER_SGPR: 15
; COMPUTE_PGM_RSRC2:TRAP_HANDLER: 0
; COMPUTE_PGM_RSRC2:TGID_X_EN: 1
; COMPUTE_PGM_RSRC2:TGID_Y_EN: 0
; COMPUTE_PGM_RSRC2:TGID_Z_EN: 0
; COMPUTE_PGM_RSRC2:TIDIG_COMP_CNT: 0
	.section	.text._ZN9rocsparseL26csrgemm_fill_block_per_rowILj256ELj32ELj512ELj137ELj64Ell21rocsparse_complex_numIdEEEvT5_PKS3_S5_NS_24const_host_device_scalarIT6_EEPKT4_S5_PKS7_SB_S5_SD_S8_SB_S5_SD_SB_PS3_PS7_21rocsparse_index_base_SG_SG_SG_bbb,"axG",@progbits,_ZN9rocsparseL26csrgemm_fill_block_per_rowILj256ELj32ELj512ELj137ELj64Ell21rocsparse_complex_numIdEEEvT5_PKS3_S5_NS_24const_host_device_scalarIT6_EEPKT4_S5_PKS7_SB_S5_SD_S8_SB_S5_SD_SB_PS3_PS7_21rocsparse_index_base_SG_SG_SG_bbb,comdat
	.globl	_ZN9rocsparseL26csrgemm_fill_block_per_rowILj256ELj32ELj512ELj137ELj64Ell21rocsparse_complex_numIdEEEvT5_PKS3_S5_NS_24const_host_device_scalarIT6_EEPKT4_S5_PKS7_SB_S5_SD_S8_SB_S5_SD_SB_PS3_PS7_21rocsparse_index_base_SG_SG_SG_bbb ; -- Begin function _ZN9rocsparseL26csrgemm_fill_block_per_rowILj256ELj32ELj512ELj137ELj64Ell21rocsparse_complex_numIdEEEvT5_PKS3_S5_NS_24const_host_device_scalarIT6_EEPKT4_S5_PKS7_SB_S5_SD_S8_SB_S5_SD_SB_PS3_PS7_21rocsparse_index_base_SG_SG_SG_bbb
	.p2align	8
	.type	_ZN9rocsparseL26csrgemm_fill_block_per_rowILj256ELj32ELj512ELj137ELj64Ell21rocsparse_complex_numIdEEEvT5_PKS3_S5_NS_24const_host_device_scalarIT6_EEPKT4_S5_PKS7_SB_S5_SD_S8_SB_S5_SD_SB_PS3_PS7_21rocsparse_index_base_SG_SG_SG_bbb,@function
_ZN9rocsparseL26csrgemm_fill_block_per_rowILj256ELj32ELj512ELj137ELj64Ell21rocsparse_complex_numIdEEEvT5_PKS3_S5_NS_24const_host_device_scalarIT6_EEPKT4_S5_PKS7_SB_S5_SD_S8_SB_S5_SD_SB_PS3_PS7_21rocsparse_index_base_SG_SG_SG_bbb: ; @_ZN9rocsparseL26csrgemm_fill_block_per_rowILj256ELj32ELj512ELj137ELj64Ell21rocsparse_complex_numIdEEEvT5_PKS3_S5_NS_24const_host_device_scalarIT6_EEPKT4_S5_PKS7_SB_S5_SD_S8_SB_S5_SD_SB_PS3_PS7_21rocsparse_index_base_SG_SG_SG_bbb
; %bb.0:
	s_clause 0x2
	s_load_b32 s12, s[0:1], 0xa8
	s_load_b128 s[8:11], s[0:1], 0x18
	s_load_b128 s[4:7], s[0:1], 0x58
	v_mov_b32_e32 v1, 0
	v_mov_b32_e32 v2, 0
	s_mov_b32 s34, s15
	s_waitcnt lgkmcnt(0)
	s_bitcmp1_b32 s12, 0
	v_mov_b32_e32 v3, s8
	s_cselect_b32 s42, -1, 0
	s_bitcmp1_b32 s12, 16
	v_dual_mov_b32 v6, v2 :: v_dual_mov_b32 v5, v1
	s_cselect_b32 s2, -1, 0
	v_mov_b32_e32 v4, s9
	s_xor_b32 s3, s2, -1
	v_dual_mov_b32 v10, s5 :: v_dual_mov_b32 v9, s4
	v_cndmask_b32_e64 v7, 0, 1, s3
	s_bitcmp0_b32 s12, 0
	s_clause 0x1
	scratch_store_b64 off, v[3:4], off offset:16
	scratch_store_b64 off, v[9:10], off offset:24
	v_cmp_ne_u32_e32 vcc_lo, 1, v7
	v_dual_mov_b32 v8, v2 :: v_dual_mov_b32 v7, v1
	s_cbranch_scc1 .LBB159_3
; %bb.1:
	s_mov_b64 s[14:15], src_private_base
	s_and_b32 s13, s2, exec_lo
	s_cselect_b32 s13, s15, s9
	s_delay_alu instid0(SALU_CYCLE_1) | instskip(SKIP_2) | instid1(VALU_DEP_2)
	v_dual_mov_b32 v3, 16 :: v_dual_mov_b32 v4, s13
	v_dual_mov_b32 v7, s10 :: v_dual_mov_b32 v8, s11
	s_and_b32 vcc_lo, exec_lo, vcc_lo
	v_cndmask_b32_e64 v3, s8, v3, s2
	flat_load_b64 v[5:6], v[3:4]
	s_cbranch_vccnz .LBB159_3
; %bb.2:
	v_dual_mov_b32 v3, s8 :: v_dual_mov_b32 v4, s9
	flat_load_b64 v[7:8], v[3:4] offset:8
.LBB159_3:
	s_load_b128 s[20:23], s[0:1], 0x98
	s_bitcmp1_b32 s12, 8
	v_dual_mov_b32 v4, v2 :: v_dual_mov_b32 v3, v1
	s_cselect_b32 s33, -1, 0
	s_bfe_u32 s8, s12, 0x10008
	s_delay_alu instid0(SALU_CYCLE_1)
	s_cmp_eq_u32 s8, 0
	s_cbranch_scc1 .LBB159_6
; %bb.4:
	s_mov_b64 s[8:9], src_private_base
	s_and_b32 s8, s2, exec_lo
	s_cselect_b32 s8, s9, s5
	s_delay_alu instid0(SALU_CYCLE_1) | instskip(SKIP_1) | instid1(VALU_DEP_1)
	v_dual_mov_b32 v1, 24 :: v_dual_mov_b32 v2, s8
	s_and_not1_b32 vcc_lo, exec_lo, s3
	v_cndmask_b32_e64 v1, s4, v1, s2
	flat_load_b64 v[3:4], v[1:2]
	v_dual_mov_b32 v1, s6 :: v_dual_mov_b32 v2, s7
	s_cbranch_vccnz .LBB159_6
; %bb.5:
	v_dual_mov_b32 v1, s4 :: v_dual_mov_b32 v2, s5
	flat_load_b64 v[1:2], v[1:2] offset:8
.LBB159_6:
	s_clause 0x5
	s_load_b128 s[24:27], s[0:1], 0x88
	s_load_b256 s[4:11], s[0:1], 0x68
	s_load_b128 s[36:39], s[0:1], 0x48
	s_load_b128 s[28:31], s[0:1], 0x0
	s_load_b64 s[2:3], s[0:1], 0x10
	s_load_b256 s[12:19], s[0:1], 0x28
	v_cmp_gt_u32_e64 s0, 0x200, v0
	v_lshlrev_b32_e32 v29, 4, v0
	v_or_b32_e32 v27, 0xffffff00, v0
	v_lshl_add_u32 v28, v0, 3, 0
	s_delay_alu instid0(VALU_DEP_4)
	s_and_saveexec_b32 s1, s0
	s_cbranch_execz .LBB159_9
; %bb.7:
	s_mov_b32 s40, 0
	v_add3_u32 v15, v29, 0, 0x1000
	s_mov_b32 s41, s40
	s_mov_b32 s44, s40
	;; [unrolled: 1-line block ×3, first 2 shown]
	v_or_b32_e32 v16, 0xffffff00, v0
	v_lshl_add_u32 v17, v0, 3, 0
	s_waitcnt lgkmcnt(0)
	v_dual_mov_b32 v9, s28 :: v_dual_mov_b32 v10, s29
	v_dual_mov_b32 v11, s40 :: v_dual_mov_b32 v12, s41
	;; [unrolled: 1-line block ×3, first 2 shown]
.LBB159_8:                              ; =>This Inner Loop Header: Depth=1
	v_add_co_u32 v16, s35, 0x100, v16
	s_delay_alu instid0(VALU_DEP_1)
	s_xor_b32 s35, s35, -1
	ds_store_b64 v17, v[9:10]
	ds_store_2addr_b64 v15, v[11:12], v[13:14] offset1:1
	v_add_nc_u32_e32 v15, 0x1000, v15
	v_add_nc_u32_e32 v17, 0x800, v17
	s_and_b32 s35, exec_lo, s35
	s_delay_alu instid0(SALU_CYCLE_1) | instskip(NEXT) | instid1(SALU_CYCLE_1)
	s_or_b32 s40, s35, s40
	s_and_not1_b32 exec_lo, exec_lo, s40
	s_cbranch_execnz .LBB159_8
.LBB159_9:
	s_or_b32 exec_lo, exec_lo, s1
	s_waitcnt vmcnt(0) lgkmcnt(0)
	s_waitcnt_vscnt null, 0x0
	s_barrier
	buffer_gl0_inv
	s_load_b64 s[30:31], s[30:31], 0x0
	s_mov_b32 s35, 0
	s_waitcnt lgkmcnt(0)
	s_lshl_b64 s[30:31], s[30:31], 3
	s_delay_alu instid0(SALU_CYCLE_1) | instskip(SKIP_2) | instid1(SALU_CYCLE_1)
	s_add_u32 s1, s2, s30
	s_addc_u32 s30, s3, s31
	s_lshl_b64 s[2:3], s[34:35], 3
	s_add_u32 s2, s1, s2
	s_addc_u32 s3, s30, s3
	s_and_b32 vcc_lo, exec_lo, s42
	s_load_b64 s[30:31], s[2:3], 0x0
	s_cbranch_vccz .LBB159_37
; %bb.10:
	s_waitcnt lgkmcnt(0)
	s_lshl_b64 s[2:3], s[30:31], 3
	v_lshrrev_b32_e32 v9, 5, v0
	s_add_u32 s2, s12, s2
	s_addc_u32 s3, s13, s3
	s_load_b128 s[40:43], s[2:3], 0x0
	s_delay_alu instid0(VALU_DEP_1) | instskip(NEXT) | instid1(VALU_DEP_1)
	v_sub_co_u32 v9, s1, v9, s20
	v_sub_co_ci_u32_e64 v10, null, 0, 0, s1
	s_mov_b32 s1, exec_lo
	s_waitcnt lgkmcnt(0)
	s_delay_alu instid0(VALU_DEP_2) | instskip(NEXT) | instid1(VALU_DEP_2)
	v_add_co_u32 v9, vcc_lo, s40, v9
	v_add_co_ci_u32_e32 v10, vcc_lo, s41, v10, vcc_lo
	s_sub_u32 s2, s42, s20
	s_subb_u32 s3, s43, 0
	s_delay_alu instid0(VALU_DEP_1) | instid1(SALU_CYCLE_1)
	v_cmpx_gt_i64_e64 s[2:3], v[9:10]
	s_cbranch_execz .LBB159_36
; %bb.11:
	v_and_b32_e32 v11, 31, v0
	s_mov_b32 s13, s21
	s_delay_alu instid0(VALU_DEP_1) | instskip(NEXT) | instid1(VALU_DEP_1)
	v_sub_co_u32 v30, s12, v11, s21
	v_sub_co_ci_u32_e64 v31, null, 0, 0, s12
	s_mov_b32 s12, 0
	s_branch .LBB159_13
.LBB159_12:                             ;   in Loop: Header=BB159_13 Depth=1
	s_or_b32 exec_lo, exec_lo, s21
	v_add_co_u32 v9, vcc_lo, v9, 8
	v_add_co_ci_u32_e32 v10, vcc_lo, 0, v10, vcc_lo
	s_delay_alu instid0(VALU_DEP_1) | instskip(SKIP_1) | instid1(SALU_CYCLE_1)
	v_cmp_le_i64_e32 vcc_lo, s[2:3], v[9:10]
	s_or_b32 s12, vcc_lo, s12
	s_and_not1_b32 exec_lo, exec_lo, s12
	s_cbranch_execz .LBB159_36
.LBB159_13:                             ; =>This Loop Header: Depth=1
                                        ;     Child Loop BB159_16 Depth 2
                                        ;       Child Loop BB159_18 Depth 3
                                        ;         Child Loop BB159_24 Depth 4
                                        ;         Child Loop BB159_26 Depth 4
	;; [unrolled: 1-line block ×4, first 2 shown]
	v_lshlrev_b64 v[11:12], 3, v[9:10]
	s_mov_b32 s21, exec_lo
	s_delay_alu instid0(VALU_DEP_1) | instskip(NEXT) | instid1(VALU_DEP_2)
	v_add_co_u32 v11, vcc_lo, s14, v11
	v_add_co_ci_u32_e32 v12, vcc_lo, s15, v12, vcc_lo
	global_load_b64 v[11:12], v[11:12], off
	s_waitcnt vmcnt(0)
	v_sub_co_u32 v11, vcc_lo, v11, s20
	v_subrev_co_ci_u32_e32 v12, vcc_lo, 0, v12, vcc_lo
	s_delay_alu instid0(VALU_DEP_1) | instskip(NEXT) | instid1(VALU_DEP_1)
	v_lshlrev_b64 v[11:12], 3, v[11:12]
	v_add_co_u32 v11, vcc_lo, s18, v11
	s_delay_alu instid0(VALU_DEP_2)
	v_add_co_ci_u32_e32 v12, vcc_lo, s19, v12, vcc_lo
	global_load_b128 v[13:16], v[11:12], off
	s_waitcnt vmcnt(0)
	v_sub_co_u32 v11, vcc_lo, v15, s13
	v_subrev_co_ci_u32_e32 v12, vcc_lo, 0, v16, vcc_lo
	v_add_co_u32 v13, vcc_lo, v13, v30
	v_add_co_ci_u32_e32 v14, vcc_lo, v14, v31, vcc_lo
	s_delay_alu instid0(VALU_DEP_1)
	v_cmpx_lt_i64_e64 v[13:14], v[11:12]
	s_cbranch_execz .LBB159_12
; %bb.14:                               ;   in Loop: Header=BB159_13 Depth=1
	v_lshlrev_b64 v[15:16], 4, v[9:10]
	s_mov_b32 s34, 0
	s_delay_alu instid0(VALU_DEP_1) | instskip(NEXT) | instid1(VALU_DEP_2)
	v_add_co_u32 v15, vcc_lo, s16, v15
	v_add_co_ci_u32_e32 v16, vcc_lo, s17, v16, vcc_lo
	global_load_b128 v[17:20], v[15:16], off
	s_waitcnt vmcnt(0)
	v_mul_f64 v[15:16], v[19:20], -v[7:8]
	v_mul_f64 v[19:20], v[5:6], v[19:20]
	s_delay_alu instid0(VALU_DEP_2) | instskip(NEXT) | instid1(VALU_DEP_2)
	v_fma_f64 v[15:16], v[5:6], v[17:18], v[15:16]
	v_fma_f64 v[17:18], v[7:8], v[17:18], v[19:20]
	s_branch .LBB159_16
.LBB159_15:                             ;   in Loop: Header=BB159_16 Depth=2
	s_or_b32 exec_lo, exec_lo, s35
	v_add_co_u32 v13, vcc_lo, v13, 32
	v_add_co_ci_u32_e32 v14, vcc_lo, 0, v14, vcc_lo
	s_delay_alu instid0(VALU_DEP_1) | instskip(SKIP_1) | instid1(SALU_CYCLE_1)
	v_cmp_ge_i64_e32 vcc_lo, v[13:14], v[11:12]
	s_or_b32 s34, vcc_lo, s34
	s_and_not1_b32 exec_lo, exec_lo, s34
	s_cbranch_execz .LBB159_12
.LBB159_16:                             ;   Parent Loop BB159_13 Depth=1
                                        ; =>  This Loop Header: Depth=2
                                        ;       Child Loop BB159_18 Depth 3
                                        ;         Child Loop BB159_24 Depth 4
                                        ;         Child Loop BB159_26 Depth 4
	;; [unrolled: 1-line block ×4, first 2 shown]
	v_lshlrev_b64 v[19:20], 4, v[13:14]
	s_mov_b32 s35, 0
	s_delay_alu instid0(VALU_DEP_1) | instskip(NEXT) | instid1(VALU_DEP_2)
	v_add_co_u32 v19, vcc_lo, s38, v19
	v_add_co_ci_u32_e32 v20, vcc_lo, s39, v20, vcc_lo
	global_load_b128 v[21:24], v[19:20], off
	v_lshlrev_b64 v[19:20], 3, v[13:14]
	s_delay_alu instid0(VALU_DEP_1) | instskip(NEXT) | instid1(VALU_DEP_2)
	v_add_co_u32 v19, vcc_lo, s36, v19
	v_add_co_ci_u32_e32 v20, vcc_lo, s37, v20, vcc_lo
	global_load_b64 v[25:26], v[19:20], off
	s_waitcnt vmcnt(1)
	v_mul_f64 v[19:20], v[23:24], -v[17:18]
	v_mul_f64 v[23:24], v[15:16], v[23:24]
	s_delay_alu instid0(VALU_DEP_2) | instskip(NEXT) | instid1(VALU_DEP_2)
	v_fma_f64 v[19:20], v[15:16], v[21:22], v[19:20]
	v_fma_f64 v[21:22], v[17:18], v[21:22], v[23:24]
	s_waitcnt vmcnt(0)
	v_sub_co_u32 v23, vcc_lo, v25, s13
	v_subrev_co_ci_u32_e32 v24, vcc_lo, 0, v26, vcc_lo
	s_delay_alu instid0(VALU_DEP_2) | instskip(NEXT) | instid1(VALU_DEP_1)
	v_mul_lo_u32 v25, 0x89, v23
	v_and_b32_e32 v32, 0x1ff, v25
	s_branch .LBB159_18
.LBB159_17:                             ;   in Loop: Header=BB159_18 Depth=3
	s_or_b32 exec_lo, exec_lo, s40
	s_xor_b32 s40, s41, -1
	s_delay_alu instid0(SALU_CYCLE_1) | instskip(NEXT) | instid1(SALU_CYCLE_1)
	s_and_b32 s40, exec_lo, s40
	s_or_b32 s35, s40, s35
	s_delay_alu instid0(SALU_CYCLE_1)
	s_and_not1_b32 exec_lo, exec_lo, s35
	s_cbranch_execz .LBB159_15
.LBB159_18:                             ;   Parent Loop BB159_13 Depth=1
                                        ;     Parent Loop BB159_16 Depth=2
                                        ; =>    This Loop Header: Depth=3
                                        ;         Child Loop BB159_24 Depth 4
                                        ;         Child Loop BB159_26 Depth 4
	;; [unrolled: 1-line block ×4, first 2 shown]
	s_delay_alu instid0(VALU_DEP_1)
	v_lshl_add_u32 v33, v32, 3, 0
	s_mov_b32 s40, exec_lo
                                        ; implicit-def: $sgpr41
	ds_load_b64 v[25:26], v33
	s_waitcnt lgkmcnt(0)
	v_cmpx_ne_u64_e64 v[25:26], v[23:24]
	s_xor_b32 s40, exec_lo, s40
	s_cbranch_execz .LBB159_30
; %bb.19:                               ;   in Loop: Header=BB159_18 Depth=3
	s_mov_b32 s42, exec_lo
                                        ; implicit-def: $sgpr41
	v_cmpx_ne_u64_e64 s[28:29], v[25:26]
	s_xor_b32 s42, exec_lo, s42
; %bb.20:                               ;   in Loop: Header=BB159_18 Depth=3
	v_add_nc_u32_e32 v25, 1, v32
	s_mov_b32 s41, -1
                                        ; implicit-def: $vgpr33
	s_delay_alu instid0(VALU_DEP_1)
	v_and_b32_e32 v32, 0x1ff, v25
; %bb.21:                               ;   in Loop: Header=BB159_18 Depth=3
	s_and_not1_saveexec_b32 s42, s42
	s_cbranch_execz .LBB159_29
; %bb.22:                               ;   in Loop: Header=BB159_18 Depth=3
	v_dual_mov_b32 v25, s28 :: v_dual_mov_b32 v26, s29
	s_mov_b32 s44, -1
	s_mov_b32 s43, exec_lo
	ds_cmpstore_rtn_b64 v[25:26], v33, v[23:24], v[25:26]
	s_waitcnt lgkmcnt(0)
	v_cmpx_eq_u64_e64 s[28:29], v[25:26]
	s_cbranch_execz .LBB159_28
; %bb.23:                               ;   in Loop: Header=BB159_18 Depth=3
	v_lshlrev_b32_e32 v25, 3, v32
	s_mov_b32 s44, 0
	s_delay_alu instid0(VALU_DEP_1)
	v_add_nc_u32_e32 v33, v33, v25
	ds_load_b64 v[25:26], v33 offset:4096
.LBB159_24:                             ;   Parent Loop BB159_13 Depth=1
                                        ;     Parent Loop BB159_16 Depth=2
                                        ;       Parent Loop BB159_18 Depth=3
                                        ; =>      This Inner Loop Header: Depth=4
	s_waitcnt lgkmcnt(0)
	v_add_f64 v[34:35], v[25:26], v[19:20]
	ds_cmpstore_rtn_b64 v[34:35], v33, v[34:35], v[25:26] offset:4096
	s_waitcnt lgkmcnt(0)
	v_cmp_eq_u64_e32 vcc_lo, v[34:35], v[25:26]
	v_dual_mov_b32 v25, v34 :: v_dual_mov_b32 v26, v35
	s_or_b32 s44, vcc_lo, s44
	s_delay_alu instid0(SALU_CYCLE_1)
	s_and_not1_b32 exec_lo, exec_lo, s44
	s_cbranch_execnz .LBB159_24
; %bb.25:                               ;   in Loop: Header=BB159_18 Depth=3
	s_or_b32 exec_lo, exec_lo, s44
	ds_load_b64 v[25:26], v33 offset:4104
	s_mov_b32 s44, 0
.LBB159_26:                             ;   Parent Loop BB159_13 Depth=1
                                        ;     Parent Loop BB159_16 Depth=2
                                        ;       Parent Loop BB159_18 Depth=3
                                        ; =>      This Inner Loop Header: Depth=4
	s_waitcnt lgkmcnt(0)
	v_add_f64 v[34:35], v[25:26], v[21:22]
	ds_cmpstore_rtn_b64 v[34:35], v33, v[34:35], v[25:26] offset:4104
	s_waitcnt lgkmcnt(0)
	v_cmp_eq_u64_e32 vcc_lo, v[34:35], v[25:26]
	v_dual_mov_b32 v25, v34 :: v_dual_mov_b32 v26, v35
	s_or_b32 s44, vcc_lo, s44
	s_delay_alu instid0(SALU_CYCLE_1)
	s_and_not1_b32 exec_lo, exec_lo, s44
	s_cbranch_execnz .LBB159_26
; %bb.27:                               ;   in Loop: Header=BB159_18 Depth=3
	s_or_b32 exec_lo, exec_lo, s44
	s_delay_alu instid0(SALU_CYCLE_1)
	s_xor_b32 s44, exec_lo, -1
.LBB159_28:                             ;   in Loop: Header=BB159_18 Depth=3
	s_or_b32 exec_lo, exec_lo, s43
	s_delay_alu instid0(SALU_CYCLE_1) | instskip(SKIP_1) | instid1(SALU_CYCLE_1)
	s_and_not1_b32 s41, s41, exec_lo
	s_and_b32 s43, s44, exec_lo
	s_or_b32 s41, s41, s43
.LBB159_29:                             ;   in Loop: Header=BB159_18 Depth=3
	s_or_b32 exec_lo, exec_lo, s42
	s_delay_alu instid0(SALU_CYCLE_1)
	s_and_b32 s41, s41, exec_lo
                                        ; implicit-def: $vgpr33
.LBB159_30:                             ;   in Loop: Header=BB159_18 Depth=3
	s_and_not1_saveexec_b32 s40, s40
	s_cbranch_execz .LBB159_17
; %bb.31:                               ;   in Loop: Header=BB159_18 Depth=3
	v_lshlrev_b32_e32 v25, 3, v32
	s_mov_b32 s42, 0
	s_delay_alu instid0(VALU_DEP_1)
	v_add_nc_u32_e32 v33, v33, v25
	ds_load_b64 v[25:26], v33 offset:4096
.LBB159_32:                             ;   Parent Loop BB159_13 Depth=1
                                        ;     Parent Loop BB159_16 Depth=2
                                        ;       Parent Loop BB159_18 Depth=3
                                        ; =>      This Inner Loop Header: Depth=4
	s_waitcnt lgkmcnt(0)
	v_add_f64 v[34:35], v[25:26], v[19:20]
	ds_cmpstore_rtn_b64 v[34:35], v33, v[34:35], v[25:26] offset:4096
	s_waitcnt lgkmcnt(0)
	v_cmp_eq_u64_e32 vcc_lo, v[34:35], v[25:26]
	v_dual_mov_b32 v25, v34 :: v_dual_mov_b32 v26, v35
	s_or_b32 s42, vcc_lo, s42
	s_delay_alu instid0(SALU_CYCLE_1)
	s_and_not1_b32 exec_lo, exec_lo, s42
	s_cbranch_execnz .LBB159_32
; %bb.33:                               ;   in Loop: Header=BB159_18 Depth=3
	s_or_b32 exec_lo, exec_lo, s42
	ds_load_b64 v[25:26], v33 offset:4104
	s_mov_b32 s42, 0
.LBB159_34:                             ;   Parent Loop BB159_13 Depth=1
                                        ;     Parent Loop BB159_16 Depth=2
                                        ;       Parent Loop BB159_18 Depth=3
                                        ; =>      This Inner Loop Header: Depth=4
	s_waitcnt lgkmcnt(0)
	v_add_f64 v[34:35], v[25:26], v[21:22]
	ds_cmpstore_rtn_b64 v[34:35], v33, v[34:35], v[25:26] offset:4104
	s_waitcnt lgkmcnt(0)
	v_cmp_eq_u64_e32 vcc_lo, v[34:35], v[25:26]
	v_dual_mov_b32 v25, v34 :: v_dual_mov_b32 v26, v35
	s_or_b32 s42, vcc_lo, s42
	s_delay_alu instid0(SALU_CYCLE_1)
	s_and_not1_b32 exec_lo, exec_lo, s42
	s_cbranch_execnz .LBB159_34
; %bb.35:                               ;   in Loop: Header=BB159_18 Depth=3
	s_or_b32 exec_lo, exec_lo, s42
	s_delay_alu instid0(SALU_CYCLE_1)
	s_and_not1_b32 s41, s41, exec_lo
	s_branch .LBB159_17
.LBB159_36:
	s_or_b32 exec_lo, exec_lo, s1
.LBB159_37:
	s_delay_alu instid0(SALU_CYCLE_1)
	s_and_not1_b32 vcc_lo, exec_lo, s33
	s_cbranch_vccnz .LBB159_62
; %bb.38:
	s_waitcnt lgkmcnt(0)
	s_lshl_b64 s[2:3], s[30:31], 3
	v_sub_co_u32 v5, s1, v0, s23
	s_add_u32 s2, s4, s2
	s_addc_u32 s3, s5, s3
	v_sub_co_ci_u32_e64 v6, null, 0, 0, s1
	s_load_b128 s[12:15], s[2:3], 0x0
	s_mov_b32 s1, 0
	s_mov_b32 s4, exec_lo
	s_waitcnt lgkmcnt(0)
	v_add_co_u32 v5, vcc_lo, s12, v5
	v_add_co_ci_u32_e32 v6, vcc_lo, s13, v6, vcc_lo
	s_sub_u32 s2, s14, s23
	s_subb_u32 s3, s15, 0
	s_delay_alu instid0(VALU_DEP_1) | instid1(SALU_CYCLE_1)
	v_cmpx_gt_i64_e64 s[2:3], v[5:6]
	s_cbranch_execz .LBB159_61
; %bb.39:
	s_mov_b32 s5, s23
	s_branch .LBB159_41
.LBB159_40:                             ;   in Loop: Header=BB159_41 Depth=1
	s_or_b32 exec_lo, exec_lo, s12
	v_add_co_u32 v5, vcc_lo, 0x100, v5
	v_add_co_ci_u32_e32 v6, vcc_lo, 0, v6, vcc_lo
	s_delay_alu instid0(VALU_DEP_1) | instskip(SKIP_1) | instid1(SALU_CYCLE_1)
	v_cmp_le_i64_e32 vcc_lo, s[2:3], v[5:6]
	s_or_b32 s1, vcc_lo, s1
	s_and_not1_b32 exec_lo, exec_lo, s1
	s_cbranch_execz .LBB159_61
.LBB159_41:                             ; =>This Loop Header: Depth=1
                                        ;     Child Loop BB159_43 Depth 2
                                        ;       Child Loop BB159_49 Depth 3
                                        ;       Child Loop BB159_51 Depth 3
	;; [unrolled: 1-line block ×4, first 2 shown]
	v_lshlrev_b64 v[7:8], 4, v[5:6]
	s_mov_b32 s12, 0
	s_delay_alu instid0(VALU_DEP_1) | instskip(NEXT) | instid1(VALU_DEP_2)
	v_add_co_u32 v7, vcc_lo, s8, v7
	v_add_co_ci_u32_e32 v8, vcc_lo, s9, v8, vcc_lo
	global_load_b128 v[9:12], v[7:8], off
	v_lshlrev_b64 v[7:8], 3, v[5:6]
	s_delay_alu instid0(VALU_DEP_1) | instskip(NEXT) | instid1(VALU_DEP_2)
	v_add_co_u32 v7, vcc_lo, s6, v7
	v_add_co_ci_u32_e32 v8, vcc_lo, s7, v8, vcc_lo
	global_load_b64 v[13:14], v[7:8], off
	s_waitcnt vmcnt(1)
	v_mul_f64 v[7:8], v[11:12], -v[1:2]
	v_mul_f64 v[11:12], v[3:4], v[11:12]
	s_delay_alu instid0(VALU_DEP_2) | instskip(NEXT) | instid1(VALU_DEP_2)
	v_fma_f64 v[7:8], v[3:4], v[9:10], v[7:8]
	v_fma_f64 v[9:10], v[1:2], v[9:10], v[11:12]
	s_waitcnt vmcnt(0)
	v_sub_co_u32 v11, vcc_lo, v13, s5
	v_subrev_co_ci_u32_e32 v12, vcc_lo, 0, v14, vcc_lo
	s_delay_alu instid0(VALU_DEP_2) | instskip(NEXT) | instid1(VALU_DEP_1)
	v_mul_lo_u32 v13, 0x89, v11
	v_and_b32_e32 v15, 0x1ff, v13
	s_branch .LBB159_43
.LBB159_42:                             ;   in Loop: Header=BB159_43 Depth=2
	s_or_b32 exec_lo, exec_lo, s13
	s_xor_b32 s13, s14, -1
	s_delay_alu instid0(SALU_CYCLE_1) | instskip(NEXT) | instid1(SALU_CYCLE_1)
	s_and_b32 s13, exec_lo, s13
	s_or_b32 s12, s13, s12
	s_delay_alu instid0(SALU_CYCLE_1)
	s_and_not1_b32 exec_lo, exec_lo, s12
	s_cbranch_execz .LBB159_40
.LBB159_43:                             ;   Parent Loop BB159_41 Depth=1
                                        ; =>  This Loop Header: Depth=2
                                        ;       Child Loop BB159_49 Depth 3
                                        ;       Child Loop BB159_51 Depth 3
	;; [unrolled: 1-line block ×4, first 2 shown]
	s_delay_alu instid0(VALU_DEP_1)
	v_lshl_add_u32 v16, v15, 3, 0
	s_mov_b32 s13, exec_lo
                                        ; implicit-def: $sgpr14
	ds_load_b64 v[13:14], v16
	s_waitcnt lgkmcnt(0)
	v_cmpx_ne_u64_e64 v[13:14], v[11:12]
	s_xor_b32 s13, exec_lo, s13
	s_cbranch_execz .LBB159_55
; %bb.44:                               ;   in Loop: Header=BB159_43 Depth=2
	s_mov_b32 s15, exec_lo
                                        ; implicit-def: $sgpr14
	v_cmpx_ne_u64_e64 s[28:29], v[13:14]
	s_xor_b32 s15, exec_lo, s15
; %bb.45:                               ;   in Loop: Header=BB159_43 Depth=2
	v_add_nc_u32_e32 v13, 1, v15
	s_mov_b32 s14, -1
                                        ; implicit-def: $vgpr16
	s_delay_alu instid0(VALU_DEP_1)
	v_and_b32_e32 v15, 0x1ff, v13
; %bb.46:                               ;   in Loop: Header=BB159_43 Depth=2
	s_and_not1_saveexec_b32 s15, s15
	s_cbranch_execz .LBB159_54
; %bb.47:                               ;   in Loop: Header=BB159_43 Depth=2
	v_dual_mov_b32 v13, s28 :: v_dual_mov_b32 v14, s29
	s_mov_b32 s17, -1
	s_mov_b32 s16, exec_lo
	ds_cmpstore_rtn_b64 v[13:14], v16, v[11:12], v[13:14]
	s_waitcnt lgkmcnt(0)
	v_cmpx_eq_u64_e64 s[28:29], v[13:14]
	s_cbranch_execz .LBB159_53
; %bb.48:                               ;   in Loop: Header=BB159_43 Depth=2
	v_lshlrev_b32_e32 v13, 3, v15
	s_mov_b32 s17, 0
	s_delay_alu instid0(VALU_DEP_1)
	v_add_nc_u32_e32 v16, v16, v13
	ds_load_b64 v[13:14], v16 offset:4096
.LBB159_49:                             ;   Parent Loop BB159_41 Depth=1
                                        ;     Parent Loop BB159_43 Depth=2
                                        ; =>    This Inner Loop Header: Depth=3
	s_waitcnt lgkmcnt(0)
	v_add_f64 v[17:18], v[13:14], v[7:8]
	ds_cmpstore_rtn_b64 v[17:18], v16, v[17:18], v[13:14] offset:4096
	s_waitcnt lgkmcnt(0)
	v_cmp_eq_u64_e32 vcc_lo, v[17:18], v[13:14]
	v_dual_mov_b32 v13, v17 :: v_dual_mov_b32 v14, v18
	s_or_b32 s17, vcc_lo, s17
	s_delay_alu instid0(SALU_CYCLE_1)
	s_and_not1_b32 exec_lo, exec_lo, s17
	s_cbranch_execnz .LBB159_49
; %bb.50:                               ;   in Loop: Header=BB159_43 Depth=2
	s_or_b32 exec_lo, exec_lo, s17
	ds_load_b64 v[13:14], v16 offset:4104
	s_mov_b32 s17, 0
.LBB159_51:                             ;   Parent Loop BB159_41 Depth=1
                                        ;     Parent Loop BB159_43 Depth=2
                                        ; =>    This Inner Loop Header: Depth=3
	s_waitcnt lgkmcnt(0)
	v_add_f64 v[17:18], v[13:14], v[9:10]
	ds_cmpstore_rtn_b64 v[17:18], v16, v[17:18], v[13:14] offset:4104
	s_waitcnt lgkmcnt(0)
	v_cmp_eq_u64_e32 vcc_lo, v[17:18], v[13:14]
	v_dual_mov_b32 v13, v17 :: v_dual_mov_b32 v14, v18
	s_or_b32 s17, vcc_lo, s17
	s_delay_alu instid0(SALU_CYCLE_1)
	s_and_not1_b32 exec_lo, exec_lo, s17
	s_cbranch_execnz .LBB159_51
; %bb.52:                               ;   in Loop: Header=BB159_43 Depth=2
	s_or_b32 exec_lo, exec_lo, s17
	s_delay_alu instid0(SALU_CYCLE_1)
	s_xor_b32 s17, exec_lo, -1
.LBB159_53:                             ;   in Loop: Header=BB159_43 Depth=2
	s_or_b32 exec_lo, exec_lo, s16
	s_delay_alu instid0(SALU_CYCLE_1) | instskip(SKIP_1) | instid1(SALU_CYCLE_1)
	s_and_not1_b32 s14, s14, exec_lo
	s_and_b32 s16, s17, exec_lo
	s_or_b32 s14, s14, s16
.LBB159_54:                             ;   in Loop: Header=BB159_43 Depth=2
	s_or_b32 exec_lo, exec_lo, s15
	s_delay_alu instid0(SALU_CYCLE_1)
	s_and_b32 s14, s14, exec_lo
                                        ; implicit-def: $vgpr16
.LBB159_55:                             ;   in Loop: Header=BB159_43 Depth=2
	s_and_not1_saveexec_b32 s13, s13
	s_cbranch_execz .LBB159_42
; %bb.56:                               ;   in Loop: Header=BB159_43 Depth=2
	v_lshlrev_b32_e32 v13, 3, v15
	s_mov_b32 s15, 0
	s_delay_alu instid0(VALU_DEP_1)
	v_add_nc_u32_e32 v16, v16, v13
	ds_load_b64 v[13:14], v16 offset:4096
.LBB159_57:                             ;   Parent Loop BB159_41 Depth=1
                                        ;     Parent Loop BB159_43 Depth=2
                                        ; =>    This Inner Loop Header: Depth=3
	s_waitcnt lgkmcnt(0)
	v_add_f64 v[17:18], v[13:14], v[7:8]
	ds_cmpstore_rtn_b64 v[17:18], v16, v[17:18], v[13:14] offset:4096
	s_waitcnt lgkmcnt(0)
	v_cmp_eq_u64_e32 vcc_lo, v[17:18], v[13:14]
	v_dual_mov_b32 v13, v17 :: v_dual_mov_b32 v14, v18
	s_or_b32 s15, vcc_lo, s15
	s_delay_alu instid0(SALU_CYCLE_1)
	s_and_not1_b32 exec_lo, exec_lo, s15
	s_cbranch_execnz .LBB159_57
; %bb.58:                               ;   in Loop: Header=BB159_43 Depth=2
	s_or_b32 exec_lo, exec_lo, s15
	ds_load_b64 v[13:14], v16 offset:4104
	s_mov_b32 s15, 0
.LBB159_59:                             ;   Parent Loop BB159_41 Depth=1
                                        ;     Parent Loop BB159_43 Depth=2
                                        ; =>    This Inner Loop Header: Depth=3
	s_waitcnt lgkmcnt(0)
	v_add_f64 v[17:18], v[13:14], v[9:10]
	ds_cmpstore_rtn_b64 v[17:18], v16, v[17:18], v[13:14] offset:4104
	s_waitcnt lgkmcnt(0)
	v_cmp_eq_u64_e32 vcc_lo, v[17:18], v[13:14]
	v_dual_mov_b32 v13, v17 :: v_dual_mov_b32 v14, v18
	s_or_b32 s15, vcc_lo, s15
	s_delay_alu instid0(SALU_CYCLE_1)
	s_and_not1_b32 exec_lo, exec_lo, s15
	s_cbranch_execnz .LBB159_59
; %bb.60:                               ;   in Loop: Header=BB159_43 Depth=2
	s_or_b32 exec_lo, exec_lo, s15
	s_delay_alu instid0(SALU_CYCLE_1)
	s_and_not1_b32 s14, s14, exec_lo
	s_branch .LBB159_42
.LBB159_61:
	s_or_b32 exec_lo, exec_lo, s4
.LBB159_62:
	s_waitcnt lgkmcnt(0)
	s_barrier
	buffer_gl0_inv
	s_and_saveexec_b32 s4, s0
	s_cbranch_execz .LBB159_75
; %bb.63:
	v_mbcnt_lo_u32_b32 v1, -1, 0
	v_lshrrev_b32_e32 v2, 3, v0
	v_cmp_eq_u32_e32 vcc_lo, 0xff, v0
	v_cmp_lt_u32_e64 s0, 63, v0
	v_cmp_lt_u32_e64 s1, 0x7f, v0
	v_xor_b32_e32 v1, 63, v1
	v_and_b32_e32 v3, 24, v2
	v_cmp_lt_u32_e64 s2, 0xbf, v0
	v_add3_u32 v10, v29, 0, 0x1000
	v_mov_b32_e32 v5, 0
	v_lshrrev_b64 v[1:2], v1, -1
	v_dual_mov_b32 v2, 0 :: v_dual_add_nc_u32 v11, 0, v3
	v_mov_b32_e32 v3, 0
	s_mov_b32 s5, 0
	s_branch .LBB159_65
.LBB159_64:                             ;   in Loop: Header=BB159_65 Depth=1
	s_or_b32 exec_lo, exec_lo, s3
	s_waitcnt lgkmcnt(0)
	s_barrier
	buffer_gl0_inv
	ds_load_b64 v[6:7], v5 offset:12312
	v_add_co_u32 v27, s3, 0x100, v27
	s_delay_alu instid0(VALU_DEP_1) | instskip(SKIP_4) | instid1(VALU_DEP_1)
	s_xor_b32 s6, s3, -1
	v_add_nc_u32_e32 v10, 0x1000, v10
	v_add_nc_u32_e32 v28, 0x800, v28
	s_waitcnt lgkmcnt(0)
	v_add_co_u32 v2, s3, v6, v2
	v_add_co_ci_u32_e64 v3, s3, v7, v3, s3
	s_and_b32 s3, exec_lo, s6
	s_delay_alu instid0(SALU_CYCLE_1) | instskip(NEXT) | instid1(SALU_CYCLE_1)
	s_or_b32 s5, s3, s5
	s_and_not1_b32 exec_lo, exec_lo, s5
	s_cbranch_execz .LBB159_75
.LBB159_65:                             ; =>This Inner Loop Header: Depth=1
	ds_load_b64 v[6:7], v28
	ds_load_2addr_b64 v[12:15], v10 offset1:1
	s_waitcnt lgkmcnt(1)
	v_cmp_gt_i64_e64 s3, s[28:29], v[6:7]
	s_waitcnt lgkmcnt(0)
	scratch_store_b128 off, v[12:15], off
	s_waitcnt_vscnt null, 0x0
	s_barrier
	buffer_gl0_inv
	v_and_b32_e32 v8, s3, v1
	s_bcnt1_i32_b32 s6, s3
	s_delay_alu instid0(SALU_CYCLE_1) | instskip(NEXT) | instid1(VALU_DEP_2)
	v_mov_b32_e32 v4, s6
	v_bcnt_u32_b32 v8, v8, 0
	ds_store_b64 v11, v[4:5] offset:12288
	s_waitcnt lgkmcnt(0)
	s_barrier
	buffer_gl0_inv
	s_and_saveexec_b32 s6, s0
	s_cbranch_execnz .LBB159_70
; %bb.66:                               ;   in Loop: Header=BB159_65 Depth=1
	s_or_b32 exec_lo, exec_lo, s6
	s_and_saveexec_b32 s6, s1
	s_cbranch_execnz .LBB159_71
.LBB159_67:                             ;   in Loop: Header=BB159_65 Depth=1
	s_or_b32 exec_lo, exec_lo, s6
	s_and_saveexec_b32 s6, s2
	s_cbranch_execnz .LBB159_72
.LBB159_68:                             ;   in Loop: Header=BB159_65 Depth=1
	s_or_b32 exec_lo, exec_lo, s6
	v_ashrrev_i32_e32 v9, 31, v8
	s_and_saveexec_b32 s6, s3
	s_cbranch_execnz .LBB159_73
.LBB159_69:                             ;   in Loop: Header=BB159_65 Depth=1
	s_or_b32 exec_lo, exec_lo, s6
	s_and_saveexec_b32 s3, vcc_lo
	s_cbranch_execz .LBB159_64
	s_branch .LBB159_74
.LBB159_70:                             ;   in Loop: Header=BB159_65 Depth=1
	ds_load_b32 v4, v5 offset:12288
	s_waitcnt lgkmcnt(0)
	v_add_nc_u32_e32 v8, v4, v8
	s_or_b32 exec_lo, exec_lo, s6
	s_and_saveexec_b32 s6, s1
	s_cbranch_execz .LBB159_67
.LBB159_71:                             ;   in Loop: Header=BB159_65 Depth=1
	ds_load_b32 v4, v5 offset:12296
	s_waitcnt lgkmcnt(0)
	v_add_nc_u32_e32 v8, v8, v4
	s_or_b32 exec_lo, exec_lo, s6
	s_and_saveexec_b32 s6, s2
	s_cbranch_execz .LBB159_68
.LBB159_72:                             ;   in Loop: Header=BB159_65 Depth=1
	ds_load_b32 v4, v5 offset:12304
	s_waitcnt lgkmcnt(0)
	v_add_nc_u32_e32 v8, v8, v4
	s_or_b32 exec_lo, exec_lo, s6
	s_delay_alu instid0(VALU_DEP_1)
	v_ashrrev_i32_e32 v9, 31, v8
	s_and_saveexec_b32 s6, s3
	s_cbranch_execz .LBB159_69
.LBB159_73:                             ;   in Loop: Header=BB159_65 Depth=1
	scratch_load_b128 v[12:15], off, off
	v_add3_u32 v4, v2, -1, v8
	s_delay_alu instid0(VALU_DEP_1) | instskip(SKIP_1) | instid1(VALU_DEP_2)
	v_lshlrev_b32_e32 v16, 4, v4
	v_lshl_add_u32 v4, v4, 3, 0
	v_add3_u32 v16, 0, v16, 0x1000
	ds_store_b64 v4, v[6:7]
	s_waitcnt vmcnt(0)
	ds_store_2addr_b64 v16, v[12:13], v[14:15] offset1:1
	s_or_b32 exec_lo, exec_lo, s6
	s_and_saveexec_b32 s3, vcc_lo
	s_cbranch_execz .LBB159_64
.LBB159_74:                             ;   in Loop: Header=BB159_65 Depth=1
	ds_store_b64 v5, v[8:9] offset:12312
	s_branch .LBB159_64
.LBB159_75:
	s_or_b32 exec_lo, exec_lo, s4
	s_lshl_b64 s[0:1], s[30:31], 3
	v_mov_b32_e32 v1, 0
	s_add_u32 s0, s10, s0
	s_addc_u32 s1, s11, s1
	s_mov_b32 s6, exec_lo
	s_load_b128 s[0:3], s[0:1], 0x0
	s_waitcnt lgkmcnt(0)
	s_sub_u32 s4, s2, s0
	s_subb_u32 s5, s3, s1
	s_delay_alu instid0(SALU_CYCLE_1)
	v_cmpx_gt_i64_e64 s[4:5], v[0:1]
	s_cbranch_execz .LBB159_85
; %bb.76:
	s_sub_u32 s8, s0, s22
	s_subb_u32 s9, s1, 0
	s_and_b32 s6, s4, 7
	s_sub_u32 s0, s0, s2
	s_subb_u32 s1, s1, s3
	s_mov_b32 s7, 0
	v_cmp_lt_u64_e64 s12, s[0:1], -7
	s_and_b32 s2, s4, -8
	s_cmp_lg_u64 s[6:7], 0
	s_mov_b32 s3, s5
	s_cselect_b32 s13, -1, 0
	s_mov_b32 s14, s7
	s_branch .LBB159_78
.LBB159_77:                             ;   in Loop: Header=BB159_78 Depth=1
	v_lshlrev_b32_e32 v7, 3, v0
	s_waitcnt lgkmcnt(0)
	v_add_co_u32 v2, vcc_lo, v2, s22
	v_lshlrev_b64 v[10:11], 3, v[4:5]
	v_add_co_ci_u32_e32 v3, vcc_lo, 0, v3, vcc_lo
	v_add3_u32 v6, v6, v7, 0x1000
	v_add_co_u32 v0, vcc_lo, 0x100, v0
	v_add_co_ci_u32_e32 v1, vcc_lo, 0, v1, vcc_lo
	ds_load_2addr_b64 v[6:9], v6 offset1:1
	v_lshlrev_b64 v[4:5], 4, v[4:5]
	v_add_co_u32 v10, vcc_lo, s24, v10
	v_add_co_ci_u32_e32 v11, vcc_lo, s25, v11, vcc_lo
	v_cmp_le_i64_e32 vcc_lo, s[4:5], v[0:1]
	s_delay_alu instid0(VALU_DEP_4) | instskip(NEXT) | instid1(VALU_DEP_1)
	v_add_co_u32 v4, s0, s26, v4
	v_add_co_ci_u32_e64 v5, s0, s27, v5, s0
	global_store_b64 v[10:11], v[2:3], off
	s_waitcnt lgkmcnt(0)
	global_store_b128 v[4:5], v[6:9], off
	s_or_b32 s14, vcc_lo, s14
	s_delay_alu instid0(SALU_CYCLE_1)
	s_and_not1_b32 exec_lo, exec_lo, s14
	s_cbranch_execz .LBB159_85
.LBB159_78:                             ; =>This Loop Header: Depth=1
                                        ;     Child Loop BB159_80 Depth 2
                                        ;     Child Loop BB159_84 Depth 2
	v_lshl_add_u32 v6, v0, 3, 0
	v_dual_mov_b32 v4, s8 :: v_dual_mov_b32 v5, s9
	s_and_not1_b32 vcc_lo, exec_lo, s12
	s_mov_b64 s[0:1], 0
	ds_load_b64 v[2:3], v6
	s_cbranch_vccnz .LBB159_82
; %bb.79:                               ;   in Loop: Header=BB159_78 Depth=1
	v_dual_mov_b32 v4, s8 :: v_dual_mov_b32 v5, s9
	s_mov_b64 s[10:11], 0
	s_mov_b32 s1, 0
.LBB159_80:                             ;   Parent Loop BB159_78 Depth=1
                                        ; =>  This Inner Loop Header: Depth=2
	s_delay_alu instid0(SALU_CYCLE_1)
	v_mov_b32_e32 v19, s1
	s_add_u32 s10, s10, 8
	s_addc_u32 s11, s11, 0
	s_add_i32 s1, s1, 64
	s_cmp_eq_u64 s[2:3], s[10:11]
	ds_load_2addr_b64 v[7:10], v19 offset1:1
	ds_load_2addr_b64 v[11:14], v19 offset0:2 offset1:3
	ds_load_2addr_b64 v[15:18], v19 offset0:4 offset1:5
	;; [unrolled: 1-line block ×3, first 2 shown]
	s_waitcnt lgkmcnt(3)
	v_cmp_gt_i64_e32 vcc_lo, v[2:3], v[7:8]
	v_cndmask_b32_e64 v7, 0, 1, vcc_lo
	v_cmp_gt_i64_e32 vcc_lo, v[2:3], v[9:10]
	v_cndmask_b32_e64 v8, 0, 1, vcc_lo
	s_waitcnt lgkmcnt(2)
	v_cmp_gt_i64_e32 vcc_lo, v[2:3], v[11:12]
	v_cndmask_b32_e64 v9, 0, 1, vcc_lo
	v_cmp_gt_i64_e32 vcc_lo, v[2:3], v[13:14]
	v_cndmask_b32_e64 v10, 0, 1, vcc_lo
	s_waitcnt lgkmcnt(1)
	v_cmp_gt_i64_e32 vcc_lo, v[2:3], v[15:16]
	v_cndmask_b32_e64 v11, 0, 1, vcc_lo
	v_add_co_u32 v4, vcc_lo, v4, v7
	v_add_co_ci_u32_e32 v5, vcc_lo, 0, v5, vcc_lo
	v_cmp_gt_i64_e32 vcc_lo, v[2:3], v[17:18]
	s_delay_alu instid0(VALU_DEP_3) | instskip(NEXT) | instid1(VALU_DEP_1)
	v_add_co_u32 v4, s0, v4, v8
	v_add_co_ci_u32_e64 v5, s0, 0, v5, s0
	v_cndmask_b32_e64 v7, 0, 1, vcc_lo
	s_delay_alu instid0(VALU_DEP_3) | instskip(NEXT) | instid1(VALU_DEP_3)
	v_add_co_u32 v4, vcc_lo, v4, v9
	v_add_co_ci_u32_e32 v5, vcc_lo, 0, v5, vcc_lo
	s_waitcnt lgkmcnt(0)
	v_cmp_gt_i64_e32 vcc_lo, v[2:3], v[19:20]
	s_delay_alu instid0(VALU_DEP_3) | instskip(NEXT) | instid1(VALU_DEP_1)
	v_add_co_u32 v4, s0, v4, v10
	v_add_co_ci_u32_e64 v5, s0, 0, v5, s0
	v_cndmask_b32_e64 v8, 0, 1, vcc_lo
	s_delay_alu instid0(VALU_DEP_3) | instskip(NEXT) | instid1(VALU_DEP_3)
	v_add_co_u32 v4, vcc_lo, v4, v11
	v_add_co_ci_u32_e32 v5, vcc_lo, 0, v5, vcc_lo
	v_cmp_gt_i64_e32 vcc_lo, v[2:3], v[21:22]
	s_delay_alu instid0(VALU_DEP_3) | instskip(NEXT) | instid1(VALU_DEP_1)
	v_add_co_u32 v4, s0, v4, v7
	v_add_co_ci_u32_e64 v5, s0, 0, v5, s0
	v_cndmask_b32_e64 v7, 0, 1, vcc_lo
	s_delay_alu instid0(VALU_DEP_3) | instskip(NEXT) | instid1(VALU_DEP_3)
	v_add_co_u32 v4, vcc_lo, v4, v8
	v_add_co_ci_u32_e32 v5, vcc_lo, 0, v5, vcc_lo
	s_delay_alu instid0(VALU_DEP_2) | instskip(NEXT) | instid1(VALU_DEP_2)
	v_add_co_u32 v4, vcc_lo, v4, v7
	v_add_co_ci_u32_e32 v5, vcc_lo, 0, v5, vcc_lo
	s_cbranch_scc0 .LBB159_80
; %bb.81:                               ;   in Loop: Header=BB159_78 Depth=1
	s_mov_b64 s[0:1], s[2:3]
.LBB159_82:                             ;   in Loop: Header=BB159_78 Depth=1
	s_and_not1_b32 vcc_lo, exec_lo, s13
	s_cbranch_vccnz .LBB159_77
; %bb.83:                               ;   in Loop: Header=BB159_78 Depth=1
	s_lshl_b32 s0, s0, 3
	s_delay_alu instid0(SALU_CYCLE_1)
	s_add_i32 s10, s0, 0
	s_mov_b64 s[0:1], s[6:7]
.LBB159_84:                             ;   Parent Loop BB159_78 Depth=1
                                        ; =>  This Inner Loop Header: Depth=2
	v_mov_b32_e32 v7, s10
	s_add_i32 s10, s10, 8
	s_add_u32 s0, s0, -1
	s_addc_u32 s1, s1, -1
	s_delay_alu instid0(SALU_CYCLE_1) | instskip(SKIP_4) | instid1(VALU_DEP_1)
	s_cmp_lg_u64 s[0:1], 0
	ds_load_b64 v[7:8], v7
	s_waitcnt lgkmcnt(0)
	v_cmp_gt_i64_e32 vcc_lo, v[2:3], v[7:8]
	v_cndmask_b32_e64 v7, 0, 1, vcc_lo
	v_add_co_u32 v4, vcc_lo, v4, v7
	v_add_co_ci_u32_e32 v5, vcc_lo, 0, v5, vcc_lo
	s_cbranch_scc1 .LBB159_84
	s_branch .LBB159_77
.LBB159_85:
	s_nop 0
	s_sendmsg sendmsg(MSG_DEALLOC_VGPRS)
	s_endpgm
	.section	.rodata,"a",@progbits
	.p2align	6, 0x0
	.amdhsa_kernel _ZN9rocsparseL26csrgemm_fill_block_per_rowILj256ELj32ELj512ELj137ELj64Ell21rocsparse_complex_numIdEEEvT5_PKS3_S5_NS_24const_host_device_scalarIT6_EEPKT4_S5_PKS7_SB_S5_SD_S8_SB_S5_SD_SB_PS3_PS7_21rocsparse_index_base_SG_SG_SG_bbb
		.amdhsa_group_segment_fixed_size 0
		.amdhsa_private_segment_fixed_size 40
		.amdhsa_kernarg_size 172
		.amdhsa_user_sgpr_count 15
		.amdhsa_user_sgpr_dispatch_ptr 0
		.amdhsa_user_sgpr_queue_ptr 0
		.amdhsa_user_sgpr_kernarg_segment_ptr 1
		.amdhsa_user_sgpr_dispatch_id 0
		.amdhsa_user_sgpr_private_segment_size 0
		.amdhsa_wavefront_size32 1
		.amdhsa_uses_dynamic_stack 0
		.amdhsa_enable_private_segment 1
		.amdhsa_system_sgpr_workgroup_id_x 1
		.amdhsa_system_sgpr_workgroup_id_y 0
		.amdhsa_system_sgpr_workgroup_id_z 0
		.amdhsa_system_sgpr_workgroup_info 0
		.amdhsa_system_vgpr_workitem_id 0
		.amdhsa_next_free_vgpr 36
		.amdhsa_next_free_sgpr 46
		.amdhsa_reserve_vcc 1
		.amdhsa_float_round_mode_32 0
		.amdhsa_float_round_mode_16_64 0
		.amdhsa_float_denorm_mode_32 3
		.amdhsa_float_denorm_mode_16_64 3
		.amdhsa_dx10_clamp 1
		.amdhsa_ieee_mode 1
		.amdhsa_fp16_overflow 0
		.amdhsa_workgroup_processor_mode 1
		.amdhsa_memory_ordered 1
		.amdhsa_forward_progress 0
		.amdhsa_shared_vgpr_count 0
		.amdhsa_exception_fp_ieee_invalid_op 0
		.amdhsa_exception_fp_denorm_src 0
		.amdhsa_exception_fp_ieee_div_zero 0
		.amdhsa_exception_fp_ieee_overflow 0
		.amdhsa_exception_fp_ieee_underflow 0
		.amdhsa_exception_fp_ieee_inexact 0
		.amdhsa_exception_int_div_zero 0
	.end_amdhsa_kernel
	.section	.text._ZN9rocsparseL26csrgemm_fill_block_per_rowILj256ELj32ELj512ELj137ELj64Ell21rocsparse_complex_numIdEEEvT5_PKS3_S5_NS_24const_host_device_scalarIT6_EEPKT4_S5_PKS7_SB_S5_SD_S8_SB_S5_SD_SB_PS3_PS7_21rocsparse_index_base_SG_SG_SG_bbb,"axG",@progbits,_ZN9rocsparseL26csrgemm_fill_block_per_rowILj256ELj32ELj512ELj137ELj64Ell21rocsparse_complex_numIdEEEvT5_PKS3_S5_NS_24const_host_device_scalarIT6_EEPKT4_S5_PKS7_SB_S5_SD_S8_SB_S5_SD_SB_PS3_PS7_21rocsparse_index_base_SG_SG_SG_bbb,comdat
.Lfunc_end159:
	.size	_ZN9rocsparseL26csrgemm_fill_block_per_rowILj256ELj32ELj512ELj137ELj64Ell21rocsparse_complex_numIdEEEvT5_PKS3_S5_NS_24const_host_device_scalarIT6_EEPKT4_S5_PKS7_SB_S5_SD_S8_SB_S5_SD_SB_PS3_PS7_21rocsparse_index_base_SG_SG_SG_bbb, .Lfunc_end159-_ZN9rocsparseL26csrgemm_fill_block_per_rowILj256ELj32ELj512ELj137ELj64Ell21rocsparse_complex_numIdEEEvT5_PKS3_S5_NS_24const_host_device_scalarIT6_EEPKT4_S5_PKS7_SB_S5_SD_S8_SB_S5_SD_SB_PS3_PS7_21rocsparse_index_base_SG_SG_SG_bbb
                                        ; -- End function
	.section	.AMDGPU.csdata,"",@progbits
; Kernel info:
; codeLenInByte = 3864
; NumSgprs: 48
; NumVgprs: 36
; ScratchSize: 40
; MemoryBound: 0
; FloatMode: 240
; IeeeMode: 1
; LDSByteSize: 0 bytes/workgroup (compile time only)
; SGPRBlocks: 5
; VGPRBlocks: 4
; NumSGPRsForWavesPerEU: 48
; NumVGPRsForWavesPerEU: 36
; Occupancy: 16
; WaveLimiterHint : 1
; COMPUTE_PGM_RSRC2:SCRATCH_EN: 1
; COMPUTE_PGM_RSRC2:USER_SGPR: 15
; COMPUTE_PGM_RSRC2:TRAP_HANDLER: 0
; COMPUTE_PGM_RSRC2:TGID_X_EN: 1
; COMPUTE_PGM_RSRC2:TGID_Y_EN: 0
; COMPUTE_PGM_RSRC2:TGID_Z_EN: 0
; COMPUTE_PGM_RSRC2:TIDIG_COMP_CNT: 0
	.section	.text._ZN9rocsparseL26csrgemm_fill_block_per_rowILj512ELj32ELj1024ELj137ELj32Ell21rocsparse_complex_numIdEEEvT5_PKS3_S5_NS_24const_host_device_scalarIT6_EEPKT4_S5_PKS7_SB_S5_SD_S8_SB_S5_SD_SB_PS3_PS7_21rocsparse_index_base_SG_SG_SG_bbb,"axG",@progbits,_ZN9rocsparseL26csrgemm_fill_block_per_rowILj512ELj32ELj1024ELj137ELj32Ell21rocsparse_complex_numIdEEEvT5_PKS3_S5_NS_24const_host_device_scalarIT6_EEPKT4_S5_PKS7_SB_S5_SD_S8_SB_S5_SD_SB_PS3_PS7_21rocsparse_index_base_SG_SG_SG_bbb,comdat
	.globl	_ZN9rocsparseL26csrgemm_fill_block_per_rowILj512ELj32ELj1024ELj137ELj32Ell21rocsparse_complex_numIdEEEvT5_PKS3_S5_NS_24const_host_device_scalarIT6_EEPKT4_S5_PKS7_SB_S5_SD_S8_SB_S5_SD_SB_PS3_PS7_21rocsparse_index_base_SG_SG_SG_bbb ; -- Begin function _ZN9rocsparseL26csrgemm_fill_block_per_rowILj512ELj32ELj1024ELj137ELj32Ell21rocsparse_complex_numIdEEEvT5_PKS3_S5_NS_24const_host_device_scalarIT6_EEPKT4_S5_PKS7_SB_S5_SD_S8_SB_S5_SD_SB_PS3_PS7_21rocsparse_index_base_SG_SG_SG_bbb
	.p2align	8
	.type	_ZN9rocsparseL26csrgemm_fill_block_per_rowILj512ELj32ELj1024ELj137ELj32Ell21rocsparse_complex_numIdEEEvT5_PKS3_S5_NS_24const_host_device_scalarIT6_EEPKT4_S5_PKS7_SB_S5_SD_S8_SB_S5_SD_SB_PS3_PS7_21rocsparse_index_base_SG_SG_SG_bbb,@function
_ZN9rocsparseL26csrgemm_fill_block_per_rowILj512ELj32ELj1024ELj137ELj32Ell21rocsparse_complex_numIdEEEvT5_PKS3_S5_NS_24const_host_device_scalarIT6_EEPKT4_S5_PKS7_SB_S5_SD_S8_SB_S5_SD_SB_PS3_PS7_21rocsparse_index_base_SG_SG_SG_bbb: ; @_ZN9rocsparseL26csrgemm_fill_block_per_rowILj512ELj32ELj1024ELj137ELj32Ell21rocsparse_complex_numIdEEEvT5_PKS3_S5_NS_24const_host_device_scalarIT6_EEPKT4_S5_PKS7_SB_S5_SD_S8_SB_S5_SD_SB_PS3_PS7_21rocsparse_index_base_SG_SG_SG_bbb
; %bb.0:
	s_clause 0x3
	s_load_b32 s35, s[0:1], 0xa8
	s_load_b128 s[4:7], s[0:1], 0x18
	s_load_b128 s[36:39], s[0:1], 0x58
	;; [unrolled: 1-line block ×3, first 2 shown]
	v_mov_b32_e32 v1, 0
	v_mov_b32_e32 v2, 0
	s_mov_b32 s44, s15
	s_waitcnt lgkmcnt(0)
	s_bitcmp1_b32 s35, 0
	v_mov_b32_e32 v3, s4
	s_cselect_b32 s33, -1, 0
	s_bitcmp1_b32 s35, 16
	v_dual_mov_b32 v6, v2 :: v_dual_mov_b32 v5, v1
	s_cselect_b32 s2, -1, 0
	v_mov_b32_e32 v4, s5
	s_xor_b32 s34, s2, -1
	v_dual_mov_b32 v9, s36 :: v_dual_mov_b32 v10, s37
	v_cndmask_b32_e64 v7, 0, 1, s34
	s_bitcmp0_b32 s35, 0
	s_clause 0x1
	scratch_store_b64 off, v[3:4], off offset:16
	scratch_store_b64 off, v[9:10], off offset:24
	v_cmp_ne_u32_e32 vcc_lo, 1, v7
	v_dual_mov_b32 v8, v2 :: v_dual_mov_b32 v7, v1
	s_cbranch_scc1 .LBB160_3
; %bb.1:
	s_mov_b64 s[8:9], src_private_base
	s_and_b32 s3, s2, exec_lo
	s_cselect_b32 s3, s9, s5
	s_delay_alu instid0(SALU_CYCLE_1) | instskip(SKIP_2) | instid1(VALU_DEP_2)
	v_dual_mov_b32 v3, 16 :: v_dual_mov_b32 v4, s3
	v_dual_mov_b32 v8, s7 :: v_dual_mov_b32 v7, s6
	s_and_b32 vcc_lo, exec_lo, vcc_lo
	v_cndmask_b32_e64 v3, s4, v3, s2
	flat_load_b64 v[5:6], v[3:4]
	s_cbranch_vccnz .LBB160_3
; %bb.2:
	v_dual_mov_b32 v3, s4 :: v_dual_mov_b32 v4, s5
	flat_load_b64 v[7:8], v[3:4] offset:8
.LBB160_3:
	s_clause 0x4
	s_load_b128 s[24:27], s[0:1], 0x88
	s_load_b256 s[12:19], s[0:1], 0x68
	s_load_b128 s[28:31], s[0:1], 0x48
	s_load_b128 s[40:43], s[0:1], 0x8
	s_load_b256 s[4:11], s[0:1], 0x28
	s_bitcmp1_b32 s35, 8
	v_dual_mov_b32 v4, v2 :: v_dual_mov_b32 v3, v1
	s_cselect_b32 s3, -1, 0
	s_bfe_u32 s35, s35, 0x10008
	s_delay_alu instid0(SALU_CYCLE_1)
	s_cmp_eq_u32 s35, 0
	s_cbranch_scc1 .LBB160_6
; %bb.4:
	s_mov_b64 s[46:47], src_private_base
	s_and_b32 s35, s2, exec_lo
	s_cselect_b32 s35, s47, s37
	s_delay_alu instid0(SALU_CYCLE_1) | instskip(SKIP_1) | instid1(VALU_DEP_1)
	v_dual_mov_b32 v1, 24 :: v_dual_mov_b32 v2, s35
	s_and_not1_b32 vcc_lo, exec_lo, s34
	v_cndmask_b32_e64 v1, s36, v1, s2
	flat_load_b64 v[3:4], v[1:2]
	v_dual_mov_b32 v1, s38 :: v_dual_mov_b32 v2, s39
	s_cbranch_vccnz .LBB160_6
; %bb.5:
	v_dual_mov_b32 v1, s36 :: v_dual_mov_b32 v2, s37
	flat_load_b64 v[1:2], v[1:2] offset:8
.LBB160_6:
	s_load_b64 s[34:35], s[0:1], 0x0
	s_mov_b32 s0, 0
	v_or_b32_e32 v27, 0xfffffe00, v0
	s_mov_b32 s1, s0
	s_delay_alu instid0(SALU_CYCLE_1) | instskip(SKIP_3) | instid1(VALU_DEP_2)
	v_dual_mov_b32 v10, s1 :: v_dual_lshlrev_b32 v11, 4, v0
	v_lshl_add_u32 v28, v0, 3, 0
	s_mov_b32 s36, s0
	s_mov_b32 s37, s0
	v_add3_u32 v29, v11, 0, 0x2000
	v_dual_mov_b32 v11, s36 :: v_dual_mov_b32 v16, v27
	v_dual_mov_b32 v9, s0 :: v_dual_mov_b32 v12, s37
	v_mov_b32_e32 v15, v28
	s_delay_alu instid0(VALU_DEP_4)
	v_mov_b32_e32 v17, v29
	s_waitcnt lgkmcnt(0)
	v_dual_mov_b32 v13, s34 :: v_dual_mov_b32 v14, s35
.LBB160_7:                              ; =>This Inner Loop Header: Depth=1
	v_add_co_u32 v16, s1, 0x200, v16
	s_delay_alu instid0(VALU_DEP_1)
	s_xor_b32 s1, s1, -1
	ds_store_b64 v15, v[13:14]
	ds_store_2addr_b64 v17, v[9:10], v[11:12] offset1:1
	v_add_nc_u32_e32 v17, 0x2000, v17
	v_add_nc_u32_e32 v15, 0x1000, v15
	s_and_b32 s1, exec_lo, s1
	s_delay_alu instid0(SALU_CYCLE_1) | instskip(NEXT) | instid1(SALU_CYCLE_1)
	s_or_b32 s0, s1, s0
	s_and_not1_b32 exec_lo, exec_lo, s0
	s_cbranch_execnz .LBB160_7
; %bb.8:
	s_or_b32 exec_lo, exec_lo, s0
	s_waitcnt vmcnt(0) lgkmcnt(0)
	s_waitcnt_vscnt null, 0x0
	s_barrier
	buffer_gl0_inv
	s_load_b64 s[0:1], s[40:41], 0x0
	s_mov_b32 s45, 0
	v_lshrrev_b32_e32 v30, 5, v0
	s_waitcnt lgkmcnt(0)
	s_lshl_b64 s[0:1], s[0:1], 3
	s_delay_alu instid0(SALU_CYCLE_1) | instskip(SKIP_2) | instid1(SALU_CYCLE_1)
	s_add_u32 s2, s42, s0
	s_addc_u32 s36, s43, s1
	s_lshl_b64 s[0:1], s[44:45], 3
	s_add_u32 s0, s2, s0
	s_addc_u32 s1, s36, s1
	s_and_b32 vcc_lo, exec_lo, s33
	s_load_b64 s[36:37], s[0:1], 0x0
	s_cbranch_vccz .LBB160_36
; %bb.9:
	s_waitcnt lgkmcnt(0)
	s_lshl_b64 s[0:1], s[36:37], 3
	s_mov_b32 s2, exec_lo
	s_add_u32 s0, s4, s0
	s_addc_u32 s1, s5, s1
	s_load_b128 s[40:43], s[0:1], 0x0
	v_sub_co_u32 v9, s0, v30, s20
	s_delay_alu instid0(VALU_DEP_1) | instskip(SKIP_1) | instid1(VALU_DEP_2)
	v_sub_co_ci_u32_e64 v10, null, 0, 0, s0
	s_waitcnt lgkmcnt(0)
	v_add_co_u32 v9, vcc_lo, s40, v9
	s_delay_alu instid0(VALU_DEP_2)
	v_add_co_ci_u32_e32 v10, vcc_lo, s41, v10, vcc_lo
	s_sub_u32 s0, s42, s20
	s_subb_u32 s1, s43, 0
	s_delay_alu instid0(VALU_DEP_1) | instid1(SALU_CYCLE_1)
	v_cmpx_gt_i64_e64 s[0:1], v[9:10]
	s_cbranch_execz .LBB160_35
; %bb.10:
	v_and_b32_e32 v11, 31, v0
	s_mov_b32 s5, s21
	s_delay_alu instid0(VALU_DEP_1) | instskip(NEXT) | instid1(VALU_DEP_1)
	v_sub_co_u32 v31, s4, v11, s21
	v_sub_co_ci_u32_e64 v32, null, 0, 0, s4
	s_mov_b32 s4, 0
	s_branch .LBB160_12
.LBB160_11:                             ;   in Loop: Header=BB160_12 Depth=1
	s_or_b32 exec_lo, exec_lo, s21
	v_add_co_u32 v9, vcc_lo, v9, 16
	v_add_co_ci_u32_e32 v10, vcc_lo, 0, v10, vcc_lo
	s_delay_alu instid0(VALU_DEP_1) | instskip(SKIP_1) | instid1(SALU_CYCLE_1)
	v_cmp_le_i64_e32 vcc_lo, s[0:1], v[9:10]
	s_or_b32 s4, vcc_lo, s4
	s_and_not1_b32 exec_lo, exec_lo, s4
	s_cbranch_execz .LBB160_35
.LBB160_12:                             ; =>This Loop Header: Depth=1
                                        ;     Child Loop BB160_15 Depth 2
                                        ;       Child Loop BB160_17 Depth 3
                                        ;         Child Loop BB160_23 Depth 4
                                        ;         Child Loop BB160_25 Depth 4
	;; [unrolled: 1-line block ×4, first 2 shown]
	v_lshlrev_b64 v[11:12], 3, v[9:10]
	s_mov_b32 s21, exec_lo
	s_delay_alu instid0(VALU_DEP_1) | instskip(NEXT) | instid1(VALU_DEP_2)
	v_add_co_u32 v11, vcc_lo, s6, v11
	v_add_co_ci_u32_e32 v12, vcc_lo, s7, v12, vcc_lo
	global_load_b64 v[11:12], v[11:12], off
	s_waitcnt vmcnt(0)
	v_sub_co_u32 v11, vcc_lo, v11, s20
	v_subrev_co_ci_u32_e32 v12, vcc_lo, 0, v12, vcc_lo
	s_delay_alu instid0(VALU_DEP_1) | instskip(NEXT) | instid1(VALU_DEP_1)
	v_lshlrev_b64 v[11:12], 3, v[11:12]
	v_add_co_u32 v11, vcc_lo, s10, v11
	s_delay_alu instid0(VALU_DEP_2)
	v_add_co_ci_u32_e32 v12, vcc_lo, s11, v12, vcc_lo
	global_load_b128 v[13:16], v[11:12], off
	s_waitcnt vmcnt(0)
	v_sub_co_u32 v11, vcc_lo, v15, s5
	v_subrev_co_ci_u32_e32 v12, vcc_lo, 0, v16, vcc_lo
	v_add_co_u32 v13, vcc_lo, v13, v31
	v_add_co_ci_u32_e32 v14, vcc_lo, v14, v32, vcc_lo
	s_delay_alu instid0(VALU_DEP_1)
	v_cmpx_lt_i64_e64 v[13:14], v[11:12]
	s_cbranch_execz .LBB160_11
; %bb.13:                               ;   in Loop: Header=BB160_12 Depth=1
	v_lshlrev_b64 v[15:16], 4, v[9:10]
	s_mov_b32 s33, 0
	s_delay_alu instid0(VALU_DEP_1) | instskip(NEXT) | instid1(VALU_DEP_2)
	v_add_co_u32 v15, vcc_lo, s8, v15
	v_add_co_ci_u32_e32 v16, vcc_lo, s9, v16, vcc_lo
	global_load_b128 v[17:20], v[15:16], off
	s_waitcnt vmcnt(0)
	v_mul_f64 v[15:16], v[19:20], -v[7:8]
	v_mul_f64 v[19:20], v[5:6], v[19:20]
	s_delay_alu instid0(VALU_DEP_2) | instskip(NEXT) | instid1(VALU_DEP_2)
	v_fma_f64 v[15:16], v[5:6], v[17:18], v[15:16]
	v_fma_f64 v[17:18], v[7:8], v[17:18], v[19:20]
	s_branch .LBB160_15
.LBB160_14:                             ;   in Loop: Header=BB160_15 Depth=2
	s_or_b32 exec_lo, exec_lo, s38
	v_add_co_u32 v13, vcc_lo, v13, 32
	v_add_co_ci_u32_e32 v14, vcc_lo, 0, v14, vcc_lo
	s_delay_alu instid0(VALU_DEP_1) | instskip(SKIP_1) | instid1(SALU_CYCLE_1)
	v_cmp_ge_i64_e32 vcc_lo, v[13:14], v[11:12]
	s_or_b32 s33, vcc_lo, s33
	s_and_not1_b32 exec_lo, exec_lo, s33
	s_cbranch_execz .LBB160_11
.LBB160_15:                             ;   Parent Loop BB160_12 Depth=1
                                        ; =>  This Loop Header: Depth=2
                                        ;       Child Loop BB160_17 Depth 3
                                        ;         Child Loop BB160_23 Depth 4
                                        ;         Child Loop BB160_25 Depth 4
	;; [unrolled: 1-line block ×4, first 2 shown]
	v_lshlrev_b64 v[19:20], 4, v[13:14]
	s_mov_b32 s38, 0
	s_delay_alu instid0(VALU_DEP_1) | instskip(NEXT) | instid1(VALU_DEP_2)
	v_add_co_u32 v19, vcc_lo, s30, v19
	v_add_co_ci_u32_e32 v20, vcc_lo, s31, v20, vcc_lo
	global_load_b128 v[21:24], v[19:20], off
	v_lshlrev_b64 v[19:20], 3, v[13:14]
	s_delay_alu instid0(VALU_DEP_1) | instskip(NEXT) | instid1(VALU_DEP_2)
	v_add_co_u32 v19, vcc_lo, s28, v19
	v_add_co_ci_u32_e32 v20, vcc_lo, s29, v20, vcc_lo
	global_load_b64 v[25:26], v[19:20], off
	s_waitcnt vmcnt(1)
	v_mul_f64 v[19:20], v[23:24], -v[17:18]
	v_mul_f64 v[23:24], v[15:16], v[23:24]
	s_delay_alu instid0(VALU_DEP_2) | instskip(NEXT) | instid1(VALU_DEP_2)
	v_fma_f64 v[19:20], v[15:16], v[21:22], v[19:20]
	v_fma_f64 v[21:22], v[17:18], v[21:22], v[23:24]
	s_waitcnt vmcnt(0)
	v_sub_co_u32 v23, vcc_lo, v25, s5
	v_subrev_co_ci_u32_e32 v24, vcc_lo, 0, v26, vcc_lo
	s_delay_alu instid0(VALU_DEP_2) | instskip(NEXT) | instid1(VALU_DEP_1)
	v_mul_lo_u32 v25, 0x89, v23
	v_and_b32_e32 v33, 0x3ff, v25
	s_branch .LBB160_17
.LBB160_16:                             ;   in Loop: Header=BB160_17 Depth=3
	s_or_b32 exec_lo, exec_lo, s39
	s_xor_b32 s39, s40, -1
	s_delay_alu instid0(SALU_CYCLE_1) | instskip(NEXT) | instid1(SALU_CYCLE_1)
	s_and_b32 s39, exec_lo, s39
	s_or_b32 s38, s39, s38
	s_delay_alu instid0(SALU_CYCLE_1)
	s_and_not1_b32 exec_lo, exec_lo, s38
	s_cbranch_execz .LBB160_14
.LBB160_17:                             ;   Parent Loop BB160_12 Depth=1
                                        ;     Parent Loop BB160_15 Depth=2
                                        ; =>    This Loop Header: Depth=3
                                        ;         Child Loop BB160_23 Depth 4
                                        ;         Child Loop BB160_25 Depth 4
	;; [unrolled: 1-line block ×4, first 2 shown]
	s_delay_alu instid0(VALU_DEP_1)
	v_lshl_add_u32 v34, v33, 3, 0
	s_mov_b32 s39, exec_lo
                                        ; implicit-def: $sgpr40
	ds_load_b64 v[25:26], v34
	s_waitcnt lgkmcnt(0)
	v_cmpx_ne_u64_e64 v[25:26], v[23:24]
	s_xor_b32 s39, exec_lo, s39
	s_cbranch_execz .LBB160_29
; %bb.18:                               ;   in Loop: Header=BB160_17 Depth=3
	s_mov_b32 s41, exec_lo
                                        ; implicit-def: $sgpr40
	v_cmpx_ne_u64_e64 s[34:35], v[25:26]
	s_xor_b32 s41, exec_lo, s41
; %bb.19:                               ;   in Loop: Header=BB160_17 Depth=3
	v_add_nc_u32_e32 v25, 1, v33
	s_mov_b32 s40, -1
                                        ; implicit-def: $vgpr34
	s_delay_alu instid0(VALU_DEP_1)
	v_and_b32_e32 v33, 0x3ff, v25
; %bb.20:                               ;   in Loop: Header=BB160_17 Depth=3
	s_and_not1_saveexec_b32 s41, s41
	s_cbranch_execz .LBB160_28
; %bb.21:                               ;   in Loop: Header=BB160_17 Depth=3
	v_dual_mov_b32 v25, s34 :: v_dual_mov_b32 v26, s35
	s_mov_b32 s43, -1
	s_mov_b32 s42, exec_lo
	ds_cmpstore_rtn_b64 v[25:26], v34, v[23:24], v[25:26]
	s_waitcnt lgkmcnt(0)
	v_cmpx_eq_u64_e64 s[34:35], v[25:26]
	s_cbranch_execz .LBB160_27
; %bb.22:                               ;   in Loop: Header=BB160_17 Depth=3
	v_lshlrev_b32_e32 v25, 3, v33
	s_mov_b32 s43, 0
	s_delay_alu instid0(VALU_DEP_1)
	v_add_nc_u32_e32 v34, v34, v25
	ds_load_b64 v[25:26], v34 offset:8192
.LBB160_23:                             ;   Parent Loop BB160_12 Depth=1
                                        ;     Parent Loop BB160_15 Depth=2
                                        ;       Parent Loop BB160_17 Depth=3
                                        ; =>      This Inner Loop Header: Depth=4
	s_waitcnt lgkmcnt(0)
	v_add_f64 v[35:36], v[25:26], v[19:20]
	ds_cmpstore_rtn_b64 v[35:36], v34, v[35:36], v[25:26] offset:8192
	s_waitcnt lgkmcnt(0)
	v_cmp_eq_u64_e32 vcc_lo, v[35:36], v[25:26]
	v_dual_mov_b32 v25, v35 :: v_dual_mov_b32 v26, v36
	s_or_b32 s43, vcc_lo, s43
	s_delay_alu instid0(SALU_CYCLE_1)
	s_and_not1_b32 exec_lo, exec_lo, s43
	s_cbranch_execnz .LBB160_23
; %bb.24:                               ;   in Loop: Header=BB160_17 Depth=3
	s_or_b32 exec_lo, exec_lo, s43
	ds_load_b64 v[25:26], v34 offset:8200
	s_mov_b32 s43, 0
.LBB160_25:                             ;   Parent Loop BB160_12 Depth=1
                                        ;     Parent Loop BB160_15 Depth=2
                                        ;       Parent Loop BB160_17 Depth=3
                                        ; =>      This Inner Loop Header: Depth=4
	s_waitcnt lgkmcnt(0)
	v_add_f64 v[35:36], v[25:26], v[21:22]
	ds_cmpstore_rtn_b64 v[35:36], v34, v[35:36], v[25:26] offset:8200
	s_waitcnt lgkmcnt(0)
	v_cmp_eq_u64_e32 vcc_lo, v[35:36], v[25:26]
	v_dual_mov_b32 v25, v35 :: v_dual_mov_b32 v26, v36
	s_or_b32 s43, vcc_lo, s43
	s_delay_alu instid0(SALU_CYCLE_1)
	s_and_not1_b32 exec_lo, exec_lo, s43
	s_cbranch_execnz .LBB160_25
; %bb.26:                               ;   in Loop: Header=BB160_17 Depth=3
	s_or_b32 exec_lo, exec_lo, s43
	s_delay_alu instid0(SALU_CYCLE_1)
	s_xor_b32 s43, exec_lo, -1
.LBB160_27:                             ;   in Loop: Header=BB160_17 Depth=3
	s_or_b32 exec_lo, exec_lo, s42
	s_delay_alu instid0(SALU_CYCLE_1) | instskip(SKIP_1) | instid1(SALU_CYCLE_1)
	s_and_not1_b32 s40, s40, exec_lo
	s_and_b32 s42, s43, exec_lo
	s_or_b32 s40, s40, s42
.LBB160_28:                             ;   in Loop: Header=BB160_17 Depth=3
	s_or_b32 exec_lo, exec_lo, s41
	s_delay_alu instid0(SALU_CYCLE_1)
	s_and_b32 s40, s40, exec_lo
                                        ; implicit-def: $vgpr34
.LBB160_29:                             ;   in Loop: Header=BB160_17 Depth=3
	s_and_not1_saveexec_b32 s39, s39
	s_cbranch_execz .LBB160_16
; %bb.30:                               ;   in Loop: Header=BB160_17 Depth=3
	v_lshlrev_b32_e32 v25, 3, v33
	s_mov_b32 s41, 0
	s_delay_alu instid0(VALU_DEP_1)
	v_add_nc_u32_e32 v34, v34, v25
	ds_load_b64 v[25:26], v34 offset:8192
.LBB160_31:                             ;   Parent Loop BB160_12 Depth=1
                                        ;     Parent Loop BB160_15 Depth=2
                                        ;       Parent Loop BB160_17 Depth=3
                                        ; =>      This Inner Loop Header: Depth=4
	s_waitcnt lgkmcnt(0)
	v_add_f64 v[35:36], v[25:26], v[19:20]
	ds_cmpstore_rtn_b64 v[35:36], v34, v[35:36], v[25:26] offset:8192
	s_waitcnt lgkmcnt(0)
	v_cmp_eq_u64_e32 vcc_lo, v[35:36], v[25:26]
	v_dual_mov_b32 v25, v35 :: v_dual_mov_b32 v26, v36
	s_or_b32 s41, vcc_lo, s41
	s_delay_alu instid0(SALU_CYCLE_1)
	s_and_not1_b32 exec_lo, exec_lo, s41
	s_cbranch_execnz .LBB160_31
; %bb.32:                               ;   in Loop: Header=BB160_17 Depth=3
	s_or_b32 exec_lo, exec_lo, s41
	ds_load_b64 v[25:26], v34 offset:8200
	s_mov_b32 s41, 0
.LBB160_33:                             ;   Parent Loop BB160_12 Depth=1
                                        ;     Parent Loop BB160_15 Depth=2
                                        ;       Parent Loop BB160_17 Depth=3
                                        ; =>      This Inner Loop Header: Depth=4
	s_waitcnt lgkmcnt(0)
	v_add_f64 v[35:36], v[25:26], v[21:22]
	ds_cmpstore_rtn_b64 v[35:36], v34, v[35:36], v[25:26] offset:8200
	s_waitcnt lgkmcnt(0)
	v_cmp_eq_u64_e32 vcc_lo, v[35:36], v[25:26]
	v_dual_mov_b32 v25, v35 :: v_dual_mov_b32 v26, v36
	s_or_b32 s41, vcc_lo, s41
	s_delay_alu instid0(SALU_CYCLE_1)
	s_and_not1_b32 exec_lo, exec_lo, s41
	s_cbranch_execnz .LBB160_33
; %bb.34:                               ;   in Loop: Header=BB160_17 Depth=3
	s_or_b32 exec_lo, exec_lo, s41
	s_delay_alu instid0(SALU_CYCLE_1)
	s_and_not1_b32 s40, s40, exec_lo
	s_branch .LBB160_16
.LBB160_35:
	s_or_b32 exec_lo, exec_lo, s2
.LBB160_36:
	s_delay_alu instid0(SALU_CYCLE_1)
	s_and_not1_b32 vcc_lo, exec_lo, s3
	s_cbranch_vccnz .LBB160_61
; %bb.37:
	s_waitcnt lgkmcnt(0)
	s_lshl_b64 s[0:1], s[36:37], 3
	v_sub_co_u32 v5, s4, v0, s23
	s_add_u32 s0, s12, s0
	s_addc_u32 s1, s13, s1
	v_sub_co_ci_u32_e64 v6, null, 0, 0, s4
	s_load_b128 s[0:3], s[0:1], 0x0
	s_waitcnt lgkmcnt(0)
	v_add_co_u32 v5, vcc_lo, s0, v5
	s_delay_alu instid0(VALU_DEP_2)
	v_add_co_ci_u32_e32 v6, vcc_lo, s1, v6, vcc_lo
	s_sub_u32 s0, s2, s23
	s_subb_u32 s1, s3, 0
	s_mov_b32 s2, 0
	s_mov_b32 s3, exec_lo
	v_cmpx_gt_i64_e64 s[0:1], v[5:6]
	s_cbranch_execz .LBB160_60
; %bb.38:
	s_mov_b32 s4, s23
	s_branch .LBB160_40
.LBB160_39:                             ;   in Loop: Header=BB160_40 Depth=1
	s_or_b32 exec_lo, exec_lo, s5
	v_add_co_u32 v5, vcc_lo, 0x200, v5
	v_add_co_ci_u32_e32 v6, vcc_lo, 0, v6, vcc_lo
	s_delay_alu instid0(VALU_DEP_1) | instskip(SKIP_1) | instid1(SALU_CYCLE_1)
	v_cmp_le_i64_e32 vcc_lo, s[0:1], v[5:6]
	s_or_b32 s2, vcc_lo, s2
	s_and_not1_b32 exec_lo, exec_lo, s2
	s_cbranch_execz .LBB160_60
.LBB160_40:                             ; =>This Loop Header: Depth=1
                                        ;     Child Loop BB160_42 Depth 2
                                        ;       Child Loop BB160_48 Depth 3
                                        ;       Child Loop BB160_50 Depth 3
	;; [unrolled: 1-line block ×4, first 2 shown]
	v_lshlrev_b64 v[7:8], 4, v[5:6]
	s_mov_b32 s5, 0
	s_delay_alu instid0(VALU_DEP_1) | instskip(NEXT) | instid1(VALU_DEP_2)
	v_add_co_u32 v7, vcc_lo, s16, v7
	v_add_co_ci_u32_e32 v8, vcc_lo, s17, v8, vcc_lo
	global_load_b128 v[9:12], v[7:8], off
	v_lshlrev_b64 v[7:8], 3, v[5:6]
	s_delay_alu instid0(VALU_DEP_1) | instskip(NEXT) | instid1(VALU_DEP_2)
	v_add_co_u32 v7, vcc_lo, s14, v7
	v_add_co_ci_u32_e32 v8, vcc_lo, s15, v8, vcc_lo
	global_load_b64 v[13:14], v[7:8], off
	s_waitcnt vmcnt(1)
	v_mul_f64 v[7:8], v[11:12], -v[1:2]
	v_mul_f64 v[11:12], v[3:4], v[11:12]
	s_delay_alu instid0(VALU_DEP_2) | instskip(NEXT) | instid1(VALU_DEP_2)
	v_fma_f64 v[7:8], v[3:4], v[9:10], v[7:8]
	v_fma_f64 v[9:10], v[1:2], v[9:10], v[11:12]
	s_waitcnt vmcnt(0)
	v_sub_co_u32 v11, vcc_lo, v13, s4
	v_subrev_co_ci_u32_e32 v12, vcc_lo, 0, v14, vcc_lo
	s_delay_alu instid0(VALU_DEP_2) | instskip(NEXT) | instid1(VALU_DEP_1)
	v_mul_lo_u32 v13, 0x89, v11
	v_and_b32_e32 v15, 0x3ff, v13
	s_branch .LBB160_42
.LBB160_41:                             ;   in Loop: Header=BB160_42 Depth=2
	s_or_b32 exec_lo, exec_lo, s6
	s_xor_b32 s6, s7, -1
	s_delay_alu instid0(SALU_CYCLE_1) | instskip(NEXT) | instid1(SALU_CYCLE_1)
	s_and_b32 s6, exec_lo, s6
	s_or_b32 s5, s6, s5
	s_delay_alu instid0(SALU_CYCLE_1)
	s_and_not1_b32 exec_lo, exec_lo, s5
	s_cbranch_execz .LBB160_39
.LBB160_42:                             ;   Parent Loop BB160_40 Depth=1
                                        ; =>  This Loop Header: Depth=2
                                        ;       Child Loop BB160_48 Depth 3
                                        ;       Child Loop BB160_50 Depth 3
	;; [unrolled: 1-line block ×4, first 2 shown]
	s_delay_alu instid0(VALU_DEP_1)
	v_lshl_add_u32 v16, v15, 3, 0
	s_mov_b32 s6, exec_lo
                                        ; implicit-def: $sgpr7
	ds_load_b64 v[13:14], v16
	s_waitcnt lgkmcnt(0)
	v_cmpx_ne_u64_e64 v[13:14], v[11:12]
	s_xor_b32 s6, exec_lo, s6
	s_cbranch_execz .LBB160_54
; %bb.43:                               ;   in Loop: Header=BB160_42 Depth=2
	s_mov_b32 s8, exec_lo
                                        ; implicit-def: $sgpr7
	v_cmpx_ne_u64_e64 s[34:35], v[13:14]
	s_xor_b32 s8, exec_lo, s8
; %bb.44:                               ;   in Loop: Header=BB160_42 Depth=2
	v_add_nc_u32_e32 v13, 1, v15
	s_mov_b32 s7, -1
                                        ; implicit-def: $vgpr16
	s_delay_alu instid0(VALU_DEP_1)
	v_and_b32_e32 v15, 0x3ff, v13
; %bb.45:                               ;   in Loop: Header=BB160_42 Depth=2
	s_and_not1_saveexec_b32 s8, s8
	s_cbranch_execz .LBB160_53
; %bb.46:                               ;   in Loop: Header=BB160_42 Depth=2
	v_dual_mov_b32 v13, s34 :: v_dual_mov_b32 v14, s35
	s_mov_b32 s10, -1
	s_mov_b32 s9, exec_lo
	ds_cmpstore_rtn_b64 v[13:14], v16, v[11:12], v[13:14]
	s_waitcnt lgkmcnt(0)
	v_cmpx_eq_u64_e64 s[34:35], v[13:14]
	s_cbranch_execz .LBB160_52
; %bb.47:                               ;   in Loop: Header=BB160_42 Depth=2
	v_lshlrev_b32_e32 v13, 3, v15
	s_mov_b32 s10, 0
	s_delay_alu instid0(VALU_DEP_1)
	v_add_nc_u32_e32 v16, v16, v13
	ds_load_b64 v[13:14], v16 offset:8192
.LBB160_48:                             ;   Parent Loop BB160_40 Depth=1
                                        ;     Parent Loop BB160_42 Depth=2
                                        ; =>    This Inner Loop Header: Depth=3
	s_waitcnt lgkmcnt(0)
	v_add_f64 v[17:18], v[13:14], v[7:8]
	ds_cmpstore_rtn_b64 v[17:18], v16, v[17:18], v[13:14] offset:8192
	s_waitcnt lgkmcnt(0)
	v_cmp_eq_u64_e32 vcc_lo, v[17:18], v[13:14]
	v_dual_mov_b32 v13, v17 :: v_dual_mov_b32 v14, v18
	s_or_b32 s10, vcc_lo, s10
	s_delay_alu instid0(SALU_CYCLE_1)
	s_and_not1_b32 exec_lo, exec_lo, s10
	s_cbranch_execnz .LBB160_48
; %bb.49:                               ;   in Loop: Header=BB160_42 Depth=2
	s_or_b32 exec_lo, exec_lo, s10
	ds_load_b64 v[13:14], v16 offset:8200
	s_mov_b32 s10, 0
.LBB160_50:                             ;   Parent Loop BB160_40 Depth=1
                                        ;     Parent Loop BB160_42 Depth=2
                                        ; =>    This Inner Loop Header: Depth=3
	s_waitcnt lgkmcnt(0)
	v_add_f64 v[17:18], v[13:14], v[9:10]
	ds_cmpstore_rtn_b64 v[17:18], v16, v[17:18], v[13:14] offset:8200
	s_waitcnt lgkmcnt(0)
	v_cmp_eq_u64_e32 vcc_lo, v[17:18], v[13:14]
	v_dual_mov_b32 v13, v17 :: v_dual_mov_b32 v14, v18
	s_or_b32 s10, vcc_lo, s10
	s_delay_alu instid0(SALU_CYCLE_1)
	s_and_not1_b32 exec_lo, exec_lo, s10
	s_cbranch_execnz .LBB160_50
; %bb.51:                               ;   in Loop: Header=BB160_42 Depth=2
	s_or_b32 exec_lo, exec_lo, s10
	s_delay_alu instid0(SALU_CYCLE_1)
	s_xor_b32 s10, exec_lo, -1
.LBB160_52:                             ;   in Loop: Header=BB160_42 Depth=2
	s_or_b32 exec_lo, exec_lo, s9
	s_delay_alu instid0(SALU_CYCLE_1) | instskip(SKIP_1) | instid1(SALU_CYCLE_1)
	s_and_not1_b32 s7, s7, exec_lo
	s_and_b32 s9, s10, exec_lo
	s_or_b32 s7, s7, s9
.LBB160_53:                             ;   in Loop: Header=BB160_42 Depth=2
	s_or_b32 exec_lo, exec_lo, s8
	s_delay_alu instid0(SALU_CYCLE_1)
	s_and_b32 s7, s7, exec_lo
                                        ; implicit-def: $vgpr16
.LBB160_54:                             ;   in Loop: Header=BB160_42 Depth=2
	s_and_not1_saveexec_b32 s6, s6
	s_cbranch_execz .LBB160_41
; %bb.55:                               ;   in Loop: Header=BB160_42 Depth=2
	v_lshlrev_b32_e32 v13, 3, v15
	s_mov_b32 s8, 0
	s_delay_alu instid0(VALU_DEP_1)
	v_add_nc_u32_e32 v16, v16, v13
	ds_load_b64 v[13:14], v16 offset:8192
.LBB160_56:                             ;   Parent Loop BB160_40 Depth=1
                                        ;     Parent Loop BB160_42 Depth=2
                                        ; =>    This Inner Loop Header: Depth=3
	s_waitcnt lgkmcnt(0)
	v_add_f64 v[17:18], v[13:14], v[7:8]
	ds_cmpstore_rtn_b64 v[17:18], v16, v[17:18], v[13:14] offset:8192
	s_waitcnt lgkmcnt(0)
	v_cmp_eq_u64_e32 vcc_lo, v[17:18], v[13:14]
	v_dual_mov_b32 v13, v17 :: v_dual_mov_b32 v14, v18
	s_or_b32 s8, vcc_lo, s8
	s_delay_alu instid0(SALU_CYCLE_1)
	s_and_not1_b32 exec_lo, exec_lo, s8
	s_cbranch_execnz .LBB160_56
; %bb.57:                               ;   in Loop: Header=BB160_42 Depth=2
	s_or_b32 exec_lo, exec_lo, s8
	ds_load_b64 v[13:14], v16 offset:8200
	s_mov_b32 s8, 0
.LBB160_58:                             ;   Parent Loop BB160_40 Depth=1
                                        ;     Parent Loop BB160_42 Depth=2
                                        ; =>    This Inner Loop Header: Depth=3
	s_waitcnt lgkmcnt(0)
	v_add_f64 v[17:18], v[13:14], v[9:10]
	ds_cmpstore_rtn_b64 v[17:18], v16, v[17:18], v[13:14] offset:8200
	s_waitcnt lgkmcnt(0)
	v_cmp_eq_u64_e32 vcc_lo, v[17:18], v[13:14]
	v_dual_mov_b32 v13, v17 :: v_dual_mov_b32 v14, v18
	s_or_b32 s8, vcc_lo, s8
	s_delay_alu instid0(SALU_CYCLE_1)
	s_and_not1_b32 exec_lo, exec_lo, s8
	s_cbranch_execnz .LBB160_58
; %bb.59:                               ;   in Loop: Header=BB160_42 Depth=2
	s_or_b32 exec_lo, exec_lo, s8
	s_delay_alu instid0(SALU_CYCLE_1)
	s_and_not1_b32 s7, s7, exec_lo
	s_branch .LBB160_41
.LBB160_60:
	s_or_b32 exec_lo, exec_lo, s3
.LBB160_61:
	v_mbcnt_lo_u32_b32 v1, -1, 0
	v_lshl_add_u32 v10, v30, 3, 0
	v_cmp_eq_u32_e32 vcc_lo, 0x1ff, v0
	v_cmp_lt_u32_e64 s0, 31, v0
	v_cmp_lt_u32_e64 s1, 63, v0
	v_xor_b32_e32 v1, 63, v1
	v_cmp_lt_u32_e64 s2, 0x5f, v0
	v_cmp_lt_u32_e64 s3, 0x7f, v0
	;; [unrolled: 1-line block ×4, first 2 shown]
	v_lshrrev_b64 v[1:2], v1, -1
	v_dual_mov_b32 v2, 0 :: v_dual_mov_b32 v5, 0
	v_cmp_lt_u32_e64 s6, 0xdf, v0
	v_cmp_lt_u32_e64 s7, 0xff, v0
	;; [unrolled: 1-line block ×9, first 2 shown]
	v_mov_b32_e32 v3, 0
	s_mov_b32 s16, 0
	s_waitcnt lgkmcnt(0)
	s_barrier
	buffer_gl0_inv
	s_branch .LBB160_63
.LBB160_62:                             ;   in Loop: Header=BB160_63 Depth=1
	s_or_b32 exec_lo, exec_lo, s15
	s_waitcnt lgkmcnt(0)
	s_barrier
	buffer_gl0_inv
	ds_load_b64 v[6:7], v5 offset:24696
	v_add_co_u32 v27, s15, 0x200, v27
	s_delay_alu instid0(VALU_DEP_1) | instskip(SKIP_4) | instid1(VALU_DEP_1)
	s_xor_b32 s17, s15, -1
	v_add_nc_u32_e32 v29, 0x2000, v29
	v_add_nc_u32_e32 v28, 0x1000, v28
	s_waitcnt lgkmcnt(0)
	v_add_co_u32 v2, s15, v6, v2
	v_add_co_ci_u32_e64 v3, s15, v7, v3, s15
	s_and_b32 s15, exec_lo, s17
	s_delay_alu instid0(SALU_CYCLE_1) | instskip(NEXT) | instid1(SALU_CYCLE_1)
	s_or_b32 s16, s15, s16
	s_and_not1_b32 exec_lo, exec_lo, s16
	s_cbranch_execz .LBB160_97
.LBB160_63:                             ; =>This Inner Loop Header: Depth=1
	ds_load_b64 v[6:7], v28
	ds_load_2addr_b64 v[11:14], v29 offset1:1
	s_waitcnt lgkmcnt(1)
	v_cmp_gt_i64_e64 s15, s[34:35], v[6:7]
	s_waitcnt lgkmcnt(0)
	scratch_store_b128 off, v[11:14], off
	s_waitcnt_vscnt null, 0x0
	s_barrier
	buffer_gl0_inv
	v_and_b32_e32 v8, s15, v1
	s_bcnt1_i32_b32 s17, s15
	s_delay_alu instid0(SALU_CYCLE_1) | instskip(NEXT) | instid1(VALU_DEP_2)
	v_mov_b32_e32 v4, s17
	v_bcnt_u32_b32 v8, v8, 0
	ds_store_b64 v10, v[4:5] offset:24576
	s_waitcnt lgkmcnt(0)
	s_barrier
	buffer_gl0_inv
	s_and_saveexec_b32 s17, s0
	s_cbranch_execnz .LBB160_80
; %bb.64:                               ;   in Loop: Header=BB160_63 Depth=1
	s_or_b32 exec_lo, exec_lo, s17
	s_and_saveexec_b32 s17, s1
	s_cbranch_execnz .LBB160_81
.LBB160_65:                             ;   in Loop: Header=BB160_63 Depth=1
	s_or_b32 exec_lo, exec_lo, s17
	s_and_saveexec_b32 s17, s2
	s_cbranch_execnz .LBB160_82
.LBB160_66:                             ;   in Loop: Header=BB160_63 Depth=1
	s_or_b32 exec_lo, exec_lo, s17
	s_and_saveexec_b32 s17, s3
	s_cbranch_execnz .LBB160_83
.LBB160_67:                             ;   in Loop: Header=BB160_63 Depth=1
	s_or_b32 exec_lo, exec_lo, s17
	s_and_saveexec_b32 s17, s4
	s_cbranch_execnz .LBB160_84
.LBB160_68:                             ;   in Loop: Header=BB160_63 Depth=1
	s_or_b32 exec_lo, exec_lo, s17
	s_and_saveexec_b32 s17, s5
	s_cbranch_execnz .LBB160_85
.LBB160_69:                             ;   in Loop: Header=BB160_63 Depth=1
	s_or_b32 exec_lo, exec_lo, s17
	s_and_saveexec_b32 s17, s6
	s_cbranch_execnz .LBB160_86
.LBB160_70:                             ;   in Loop: Header=BB160_63 Depth=1
	s_or_b32 exec_lo, exec_lo, s17
	s_and_saveexec_b32 s17, s7
	s_cbranch_execnz .LBB160_87
.LBB160_71:                             ;   in Loop: Header=BB160_63 Depth=1
	s_or_b32 exec_lo, exec_lo, s17
	s_and_saveexec_b32 s17, s8
	s_cbranch_execnz .LBB160_88
.LBB160_72:                             ;   in Loop: Header=BB160_63 Depth=1
	s_or_b32 exec_lo, exec_lo, s17
	s_and_saveexec_b32 s17, s9
	s_cbranch_execnz .LBB160_89
.LBB160_73:                             ;   in Loop: Header=BB160_63 Depth=1
	s_or_b32 exec_lo, exec_lo, s17
	s_and_saveexec_b32 s17, s10
	s_cbranch_execnz .LBB160_90
.LBB160_74:                             ;   in Loop: Header=BB160_63 Depth=1
	s_or_b32 exec_lo, exec_lo, s17
	s_and_saveexec_b32 s17, s11
	s_cbranch_execnz .LBB160_91
.LBB160_75:                             ;   in Loop: Header=BB160_63 Depth=1
	s_or_b32 exec_lo, exec_lo, s17
	s_and_saveexec_b32 s17, s12
	s_cbranch_execnz .LBB160_92
.LBB160_76:                             ;   in Loop: Header=BB160_63 Depth=1
	s_or_b32 exec_lo, exec_lo, s17
	s_and_saveexec_b32 s17, s13
	s_cbranch_execnz .LBB160_93
.LBB160_77:                             ;   in Loop: Header=BB160_63 Depth=1
	s_or_b32 exec_lo, exec_lo, s17
	s_and_saveexec_b32 s17, s14
	s_cbranch_execnz .LBB160_94
.LBB160_78:                             ;   in Loop: Header=BB160_63 Depth=1
	s_or_b32 exec_lo, exec_lo, s17
	v_ashrrev_i32_e32 v9, 31, v8
	s_and_saveexec_b32 s17, s15
	s_cbranch_execnz .LBB160_95
.LBB160_79:                             ;   in Loop: Header=BB160_63 Depth=1
	s_or_b32 exec_lo, exec_lo, s17
	s_and_saveexec_b32 s15, vcc_lo
	s_cbranch_execz .LBB160_62
	s_branch .LBB160_96
.LBB160_80:                             ;   in Loop: Header=BB160_63 Depth=1
	ds_load_b32 v4, v5 offset:24576
	s_waitcnt lgkmcnt(0)
	v_add_nc_u32_e32 v8, v4, v8
	s_or_b32 exec_lo, exec_lo, s17
	s_and_saveexec_b32 s17, s1
	s_cbranch_execz .LBB160_65
.LBB160_81:                             ;   in Loop: Header=BB160_63 Depth=1
	ds_load_b32 v4, v5 offset:24584
	s_waitcnt lgkmcnt(0)
	v_add_nc_u32_e32 v8, v8, v4
	s_or_b32 exec_lo, exec_lo, s17
	s_and_saveexec_b32 s17, s2
	s_cbranch_execz .LBB160_66
.LBB160_82:                             ;   in Loop: Header=BB160_63 Depth=1
	ds_load_b32 v4, v5 offset:24592
	s_waitcnt lgkmcnt(0)
	v_add_nc_u32_e32 v8, v8, v4
	s_or_b32 exec_lo, exec_lo, s17
	s_and_saveexec_b32 s17, s3
	s_cbranch_execz .LBB160_67
.LBB160_83:                             ;   in Loop: Header=BB160_63 Depth=1
	ds_load_b32 v4, v5 offset:24600
	s_waitcnt lgkmcnt(0)
	v_add_nc_u32_e32 v8, v8, v4
	s_or_b32 exec_lo, exec_lo, s17
	s_and_saveexec_b32 s17, s4
	s_cbranch_execz .LBB160_68
.LBB160_84:                             ;   in Loop: Header=BB160_63 Depth=1
	ds_load_b32 v4, v5 offset:24608
	s_waitcnt lgkmcnt(0)
	v_add_nc_u32_e32 v8, v8, v4
	s_or_b32 exec_lo, exec_lo, s17
	s_and_saveexec_b32 s17, s5
	s_cbranch_execz .LBB160_69
.LBB160_85:                             ;   in Loop: Header=BB160_63 Depth=1
	ds_load_b32 v4, v5 offset:24616
	s_waitcnt lgkmcnt(0)
	v_add_nc_u32_e32 v8, v8, v4
	s_or_b32 exec_lo, exec_lo, s17
	s_and_saveexec_b32 s17, s6
	s_cbranch_execz .LBB160_70
.LBB160_86:                             ;   in Loop: Header=BB160_63 Depth=1
	ds_load_b32 v4, v5 offset:24624
	s_waitcnt lgkmcnt(0)
	v_add_nc_u32_e32 v8, v8, v4
	s_or_b32 exec_lo, exec_lo, s17
	s_and_saveexec_b32 s17, s7
	s_cbranch_execz .LBB160_71
.LBB160_87:                             ;   in Loop: Header=BB160_63 Depth=1
	ds_load_b32 v4, v5 offset:24632
	s_waitcnt lgkmcnt(0)
	v_add_nc_u32_e32 v8, v8, v4
	s_or_b32 exec_lo, exec_lo, s17
	s_and_saveexec_b32 s17, s8
	s_cbranch_execz .LBB160_72
.LBB160_88:                             ;   in Loop: Header=BB160_63 Depth=1
	ds_load_b32 v4, v5 offset:24640
	s_waitcnt lgkmcnt(0)
	v_add_nc_u32_e32 v8, v8, v4
	s_or_b32 exec_lo, exec_lo, s17
	s_and_saveexec_b32 s17, s9
	s_cbranch_execz .LBB160_73
.LBB160_89:                             ;   in Loop: Header=BB160_63 Depth=1
	ds_load_b32 v4, v5 offset:24648
	s_waitcnt lgkmcnt(0)
	v_add_nc_u32_e32 v8, v8, v4
	s_or_b32 exec_lo, exec_lo, s17
	s_and_saveexec_b32 s17, s10
	s_cbranch_execz .LBB160_74
.LBB160_90:                             ;   in Loop: Header=BB160_63 Depth=1
	ds_load_b32 v4, v5 offset:24656
	s_waitcnt lgkmcnt(0)
	v_add_nc_u32_e32 v8, v8, v4
	s_or_b32 exec_lo, exec_lo, s17
	s_and_saveexec_b32 s17, s11
	s_cbranch_execz .LBB160_75
.LBB160_91:                             ;   in Loop: Header=BB160_63 Depth=1
	ds_load_b32 v4, v5 offset:24664
	s_waitcnt lgkmcnt(0)
	v_add_nc_u32_e32 v8, v8, v4
	s_or_b32 exec_lo, exec_lo, s17
	s_and_saveexec_b32 s17, s12
	s_cbranch_execz .LBB160_76
.LBB160_92:                             ;   in Loop: Header=BB160_63 Depth=1
	ds_load_b32 v4, v5 offset:24672
	s_waitcnt lgkmcnt(0)
	v_add_nc_u32_e32 v8, v8, v4
	s_or_b32 exec_lo, exec_lo, s17
	s_and_saveexec_b32 s17, s13
	s_cbranch_execz .LBB160_77
.LBB160_93:                             ;   in Loop: Header=BB160_63 Depth=1
	ds_load_b32 v4, v5 offset:24680
	s_waitcnt lgkmcnt(0)
	v_add_nc_u32_e32 v8, v8, v4
	s_or_b32 exec_lo, exec_lo, s17
	s_and_saveexec_b32 s17, s14
	s_cbranch_execz .LBB160_78
.LBB160_94:                             ;   in Loop: Header=BB160_63 Depth=1
	ds_load_b32 v4, v5 offset:24688
	s_waitcnt lgkmcnt(0)
	v_add_nc_u32_e32 v8, v8, v4
	s_or_b32 exec_lo, exec_lo, s17
	s_delay_alu instid0(VALU_DEP_1)
	v_ashrrev_i32_e32 v9, 31, v8
	s_and_saveexec_b32 s17, s15
	s_cbranch_execz .LBB160_79
.LBB160_95:                             ;   in Loop: Header=BB160_63 Depth=1
	scratch_load_b128 v[11:14], off, off
	v_add3_u32 v4, v2, -1, v8
	s_delay_alu instid0(VALU_DEP_1) | instskip(SKIP_1) | instid1(VALU_DEP_2)
	v_lshlrev_b32_e32 v15, 4, v4
	v_lshl_add_u32 v4, v4, 3, 0
	v_add3_u32 v15, 0, v15, 0x2000
	ds_store_b64 v4, v[6:7]
	s_waitcnt vmcnt(0)
	ds_store_2addr_b64 v15, v[11:12], v[13:14] offset1:1
	s_or_b32 exec_lo, exec_lo, s17
	s_and_saveexec_b32 s15, vcc_lo
	s_cbranch_execz .LBB160_62
.LBB160_96:                             ;   in Loop: Header=BB160_63 Depth=1
	ds_store_b64 v5, v[8:9] offset:24696
	s_branch .LBB160_62
.LBB160_97:
	s_or_b32 exec_lo, exec_lo, s16
	s_lshl_b64 s[0:1], s[36:37], 3
	v_mov_b32_e32 v1, 0
	s_add_u32 s0, s18, s0
	s_addc_u32 s1, s19, s1
	s_mov_b32 s6, exec_lo
	s_load_b128 s[0:3], s[0:1], 0x0
	s_waitcnt lgkmcnt(0)
	s_sub_u32 s4, s2, s0
	s_subb_u32 s5, s3, s1
	s_delay_alu instid0(SALU_CYCLE_1)
	v_cmpx_gt_i64_e64 s[4:5], v[0:1]
	s_cbranch_execz .LBB160_107
; %bb.98:
	s_sub_u32 s8, s0, s22
	s_subb_u32 s9, s1, 0
	s_and_b32 s6, s4, 7
	s_sub_u32 s0, s0, s2
	s_subb_u32 s1, s1, s3
	s_mov_b32 s7, 0
	v_cmp_lt_u64_e64 s12, s[0:1], -7
	s_and_b32 s2, s4, -8
	s_cmp_lg_u64 s[6:7], 0
	s_mov_b32 s3, s5
	s_cselect_b32 s13, -1, 0
	s_mov_b32 s14, s7
	s_branch .LBB160_100
.LBB160_99:                             ;   in Loop: Header=BB160_100 Depth=1
	v_lshlrev_b32_e32 v7, 3, v0
	s_waitcnt lgkmcnt(0)
	v_add_co_u32 v2, vcc_lo, v2, s22
	v_lshlrev_b64 v[10:11], 3, v[4:5]
	v_add_co_ci_u32_e32 v3, vcc_lo, 0, v3, vcc_lo
	v_add3_u32 v6, v6, v7, 0x2000
	v_add_co_u32 v0, vcc_lo, 0x200, v0
	v_add_co_ci_u32_e32 v1, vcc_lo, 0, v1, vcc_lo
	ds_load_2addr_b64 v[6:9], v6 offset1:1
	v_lshlrev_b64 v[4:5], 4, v[4:5]
	v_add_co_u32 v10, vcc_lo, s24, v10
	v_add_co_ci_u32_e32 v11, vcc_lo, s25, v11, vcc_lo
	v_cmp_le_i64_e32 vcc_lo, s[4:5], v[0:1]
	s_delay_alu instid0(VALU_DEP_4) | instskip(NEXT) | instid1(VALU_DEP_1)
	v_add_co_u32 v4, s0, s26, v4
	v_add_co_ci_u32_e64 v5, s0, s27, v5, s0
	global_store_b64 v[10:11], v[2:3], off
	s_waitcnt lgkmcnt(0)
	global_store_b128 v[4:5], v[6:9], off
	s_or_b32 s14, vcc_lo, s14
	s_delay_alu instid0(SALU_CYCLE_1)
	s_and_not1_b32 exec_lo, exec_lo, s14
	s_cbranch_execz .LBB160_107
.LBB160_100:                            ; =>This Loop Header: Depth=1
                                        ;     Child Loop BB160_102 Depth 2
                                        ;     Child Loop BB160_106 Depth 2
	v_lshl_add_u32 v6, v0, 3, 0
	v_dual_mov_b32 v4, s8 :: v_dual_mov_b32 v5, s9
	s_and_not1_b32 vcc_lo, exec_lo, s12
	s_mov_b64 s[0:1], 0
	ds_load_b64 v[2:3], v6
	s_cbranch_vccnz .LBB160_104
; %bb.101:                              ;   in Loop: Header=BB160_100 Depth=1
	v_dual_mov_b32 v4, s8 :: v_dual_mov_b32 v5, s9
	s_mov_b64 s[10:11], 0
	s_mov_b32 s1, 0
.LBB160_102:                            ;   Parent Loop BB160_100 Depth=1
                                        ; =>  This Inner Loop Header: Depth=2
	s_delay_alu instid0(SALU_CYCLE_1)
	v_mov_b32_e32 v19, s1
	s_add_u32 s10, s10, 8
	s_addc_u32 s11, s11, 0
	s_add_i32 s1, s1, 64
	s_cmp_eq_u64 s[2:3], s[10:11]
	ds_load_2addr_b64 v[7:10], v19 offset1:1
	ds_load_2addr_b64 v[11:14], v19 offset0:2 offset1:3
	ds_load_2addr_b64 v[15:18], v19 offset0:4 offset1:5
	;; [unrolled: 1-line block ×3, first 2 shown]
	s_waitcnt lgkmcnt(3)
	v_cmp_gt_i64_e32 vcc_lo, v[2:3], v[7:8]
	v_cndmask_b32_e64 v7, 0, 1, vcc_lo
	v_cmp_gt_i64_e32 vcc_lo, v[2:3], v[9:10]
	v_cndmask_b32_e64 v8, 0, 1, vcc_lo
	s_waitcnt lgkmcnt(2)
	v_cmp_gt_i64_e32 vcc_lo, v[2:3], v[11:12]
	v_cndmask_b32_e64 v9, 0, 1, vcc_lo
	v_cmp_gt_i64_e32 vcc_lo, v[2:3], v[13:14]
	v_cndmask_b32_e64 v10, 0, 1, vcc_lo
	s_waitcnt lgkmcnt(1)
	v_cmp_gt_i64_e32 vcc_lo, v[2:3], v[15:16]
	v_cndmask_b32_e64 v11, 0, 1, vcc_lo
	v_add_co_u32 v4, vcc_lo, v4, v7
	v_add_co_ci_u32_e32 v5, vcc_lo, 0, v5, vcc_lo
	v_cmp_gt_i64_e32 vcc_lo, v[2:3], v[17:18]
	s_delay_alu instid0(VALU_DEP_3) | instskip(NEXT) | instid1(VALU_DEP_1)
	v_add_co_u32 v4, s0, v4, v8
	v_add_co_ci_u32_e64 v5, s0, 0, v5, s0
	v_cndmask_b32_e64 v7, 0, 1, vcc_lo
	s_delay_alu instid0(VALU_DEP_3) | instskip(NEXT) | instid1(VALU_DEP_3)
	v_add_co_u32 v4, vcc_lo, v4, v9
	v_add_co_ci_u32_e32 v5, vcc_lo, 0, v5, vcc_lo
	s_waitcnt lgkmcnt(0)
	v_cmp_gt_i64_e32 vcc_lo, v[2:3], v[19:20]
	s_delay_alu instid0(VALU_DEP_3) | instskip(NEXT) | instid1(VALU_DEP_1)
	v_add_co_u32 v4, s0, v4, v10
	v_add_co_ci_u32_e64 v5, s0, 0, v5, s0
	v_cndmask_b32_e64 v8, 0, 1, vcc_lo
	s_delay_alu instid0(VALU_DEP_3) | instskip(NEXT) | instid1(VALU_DEP_3)
	v_add_co_u32 v4, vcc_lo, v4, v11
	v_add_co_ci_u32_e32 v5, vcc_lo, 0, v5, vcc_lo
	v_cmp_gt_i64_e32 vcc_lo, v[2:3], v[21:22]
	s_delay_alu instid0(VALU_DEP_3) | instskip(NEXT) | instid1(VALU_DEP_1)
	v_add_co_u32 v4, s0, v4, v7
	v_add_co_ci_u32_e64 v5, s0, 0, v5, s0
	v_cndmask_b32_e64 v7, 0, 1, vcc_lo
	s_delay_alu instid0(VALU_DEP_3) | instskip(NEXT) | instid1(VALU_DEP_3)
	v_add_co_u32 v4, vcc_lo, v4, v8
	v_add_co_ci_u32_e32 v5, vcc_lo, 0, v5, vcc_lo
	s_delay_alu instid0(VALU_DEP_2) | instskip(NEXT) | instid1(VALU_DEP_2)
	v_add_co_u32 v4, vcc_lo, v4, v7
	v_add_co_ci_u32_e32 v5, vcc_lo, 0, v5, vcc_lo
	s_cbranch_scc0 .LBB160_102
; %bb.103:                              ;   in Loop: Header=BB160_100 Depth=1
	s_mov_b64 s[0:1], s[2:3]
.LBB160_104:                            ;   in Loop: Header=BB160_100 Depth=1
	s_and_not1_b32 vcc_lo, exec_lo, s13
	s_cbranch_vccnz .LBB160_99
; %bb.105:                              ;   in Loop: Header=BB160_100 Depth=1
	s_lshl_b32 s0, s0, 3
	s_delay_alu instid0(SALU_CYCLE_1)
	s_add_i32 s10, s0, 0
	s_mov_b64 s[0:1], s[6:7]
.LBB160_106:                            ;   Parent Loop BB160_100 Depth=1
                                        ; =>  This Inner Loop Header: Depth=2
	v_mov_b32_e32 v7, s10
	s_add_i32 s10, s10, 8
	s_add_u32 s0, s0, -1
	s_addc_u32 s1, s1, -1
	s_delay_alu instid0(SALU_CYCLE_1) | instskip(SKIP_4) | instid1(VALU_DEP_1)
	s_cmp_lg_u64 s[0:1], 0
	ds_load_b64 v[7:8], v7
	s_waitcnt lgkmcnt(0)
	v_cmp_gt_i64_e32 vcc_lo, v[2:3], v[7:8]
	v_cndmask_b32_e64 v7, 0, 1, vcc_lo
	v_add_co_u32 v4, vcc_lo, v4, v7
	v_add_co_ci_u32_e32 v5, vcc_lo, 0, v5, vcc_lo
	s_cbranch_scc1 .LBB160_106
	s_branch .LBB160_99
.LBB160_107:
	s_nop 0
	s_sendmsg sendmsg(MSG_DEALLOC_VGPRS)
	s_endpgm
	.section	.rodata,"a",@progbits
	.p2align	6, 0x0
	.amdhsa_kernel _ZN9rocsparseL26csrgemm_fill_block_per_rowILj512ELj32ELj1024ELj137ELj32Ell21rocsparse_complex_numIdEEEvT5_PKS3_S5_NS_24const_host_device_scalarIT6_EEPKT4_S5_PKS7_SB_S5_SD_S8_SB_S5_SD_SB_PS3_PS7_21rocsparse_index_base_SG_SG_SG_bbb
		.amdhsa_group_segment_fixed_size 0
		.amdhsa_private_segment_fixed_size 40
		.amdhsa_kernarg_size 172
		.amdhsa_user_sgpr_count 15
		.amdhsa_user_sgpr_dispatch_ptr 0
		.amdhsa_user_sgpr_queue_ptr 0
		.amdhsa_user_sgpr_kernarg_segment_ptr 1
		.amdhsa_user_sgpr_dispatch_id 0
		.amdhsa_user_sgpr_private_segment_size 0
		.amdhsa_wavefront_size32 1
		.amdhsa_uses_dynamic_stack 0
		.amdhsa_enable_private_segment 1
		.amdhsa_system_sgpr_workgroup_id_x 1
		.amdhsa_system_sgpr_workgroup_id_y 0
		.amdhsa_system_sgpr_workgroup_id_z 0
		.amdhsa_system_sgpr_workgroup_info 0
		.amdhsa_system_vgpr_workitem_id 0
		.amdhsa_next_free_vgpr 37
		.amdhsa_next_free_sgpr 48
		.amdhsa_reserve_vcc 1
		.amdhsa_float_round_mode_32 0
		.amdhsa_float_round_mode_16_64 0
		.amdhsa_float_denorm_mode_32 3
		.amdhsa_float_denorm_mode_16_64 3
		.amdhsa_dx10_clamp 1
		.amdhsa_ieee_mode 1
		.amdhsa_fp16_overflow 0
		.amdhsa_workgroup_processor_mode 1
		.amdhsa_memory_ordered 1
		.amdhsa_forward_progress 0
		.amdhsa_shared_vgpr_count 0
		.amdhsa_exception_fp_ieee_invalid_op 0
		.amdhsa_exception_fp_denorm_src 0
		.amdhsa_exception_fp_ieee_div_zero 0
		.amdhsa_exception_fp_ieee_overflow 0
		.amdhsa_exception_fp_ieee_underflow 0
		.amdhsa_exception_fp_ieee_inexact 0
		.amdhsa_exception_int_div_zero 0
	.end_amdhsa_kernel
	.section	.text._ZN9rocsparseL26csrgemm_fill_block_per_rowILj512ELj32ELj1024ELj137ELj32Ell21rocsparse_complex_numIdEEEvT5_PKS3_S5_NS_24const_host_device_scalarIT6_EEPKT4_S5_PKS7_SB_S5_SD_S8_SB_S5_SD_SB_PS3_PS7_21rocsparse_index_base_SG_SG_SG_bbb,"axG",@progbits,_ZN9rocsparseL26csrgemm_fill_block_per_rowILj512ELj32ELj1024ELj137ELj32Ell21rocsparse_complex_numIdEEEvT5_PKS3_S5_NS_24const_host_device_scalarIT6_EEPKT4_S5_PKS7_SB_S5_SD_S8_SB_S5_SD_SB_PS3_PS7_21rocsparse_index_base_SG_SG_SG_bbb,comdat
.Lfunc_end160:
	.size	_ZN9rocsparseL26csrgemm_fill_block_per_rowILj512ELj32ELj1024ELj137ELj32Ell21rocsparse_complex_numIdEEEvT5_PKS3_S5_NS_24const_host_device_scalarIT6_EEPKT4_S5_PKS7_SB_S5_SD_S8_SB_S5_SD_SB_PS3_PS7_21rocsparse_index_base_SG_SG_SG_bbb, .Lfunc_end160-_ZN9rocsparseL26csrgemm_fill_block_per_rowILj512ELj32ELj1024ELj137ELj32Ell21rocsparse_complex_numIdEEEvT5_PKS3_S5_NS_24const_host_device_scalarIT6_EEPKT4_S5_PKS7_SB_S5_SD_S8_SB_S5_SD_SB_PS3_PS7_21rocsparse_index_base_SG_SG_SG_bbb
                                        ; -- End function
	.section	.AMDGPU.csdata,"",@progbits
; Kernel info:
; codeLenInByte = 4440
; NumSgprs: 50
; NumVgprs: 37
; ScratchSize: 40
; MemoryBound: 0
; FloatMode: 240
; IeeeMode: 1
; LDSByteSize: 0 bytes/workgroup (compile time only)
; SGPRBlocks: 6
; VGPRBlocks: 4
; NumSGPRsForWavesPerEU: 50
; NumVGPRsForWavesPerEU: 37
; Occupancy: 16
; WaveLimiterHint : 1
; COMPUTE_PGM_RSRC2:SCRATCH_EN: 1
; COMPUTE_PGM_RSRC2:USER_SGPR: 15
; COMPUTE_PGM_RSRC2:TRAP_HANDLER: 0
; COMPUTE_PGM_RSRC2:TGID_X_EN: 1
; COMPUTE_PGM_RSRC2:TGID_Y_EN: 0
; COMPUTE_PGM_RSRC2:TGID_Z_EN: 0
; COMPUTE_PGM_RSRC2:TIDIG_COMP_CNT: 0
	.section	.text._ZN9rocsparseL26csrgemm_fill_block_per_rowILj512ELj32ELj1024ELj137ELj64Ell21rocsparse_complex_numIdEEEvT5_PKS3_S5_NS_24const_host_device_scalarIT6_EEPKT4_S5_PKS7_SB_S5_SD_S8_SB_S5_SD_SB_PS3_PS7_21rocsparse_index_base_SG_SG_SG_bbb,"axG",@progbits,_ZN9rocsparseL26csrgemm_fill_block_per_rowILj512ELj32ELj1024ELj137ELj64Ell21rocsparse_complex_numIdEEEvT5_PKS3_S5_NS_24const_host_device_scalarIT6_EEPKT4_S5_PKS7_SB_S5_SD_S8_SB_S5_SD_SB_PS3_PS7_21rocsparse_index_base_SG_SG_SG_bbb,comdat
	.globl	_ZN9rocsparseL26csrgemm_fill_block_per_rowILj512ELj32ELj1024ELj137ELj64Ell21rocsparse_complex_numIdEEEvT5_PKS3_S5_NS_24const_host_device_scalarIT6_EEPKT4_S5_PKS7_SB_S5_SD_S8_SB_S5_SD_SB_PS3_PS7_21rocsparse_index_base_SG_SG_SG_bbb ; -- Begin function _ZN9rocsparseL26csrgemm_fill_block_per_rowILj512ELj32ELj1024ELj137ELj64Ell21rocsparse_complex_numIdEEEvT5_PKS3_S5_NS_24const_host_device_scalarIT6_EEPKT4_S5_PKS7_SB_S5_SD_S8_SB_S5_SD_SB_PS3_PS7_21rocsparse_index_base_SG_SG_SG_bbb
	.p2align	8
	.type	_ZN9rocsparseL26csrgemm_fill_block_per_rowILj512ELj32ELj1024ELj137ELj64Ell21rocsparse_complex_numIdEEEvT5_PKS3_S5_NS_24const_host_device_scalarIT6_EEPKT4_S5_PKS7_SB_S5_SD_S8_SB_S5_SD_SB_PS3_PS7_21rocsparse_index_base_SG_SG_SG_bbb,@function
_ZN9rocsparseL26csrgemm_fill_block_per_rowILj512ELj32ELj1024ELj137ELj64Ell21rocsparse_complex_numIdEEEvT5_PKS3_S5_NS_24const_host_device_scalarIT6_EEPKT4_S5_PKS7_SB_S5_SD_S8_SB_S5_SD_SB_PS3_PS7_21rocsparse_index_base_SG_SG_SG_bbb: ; @_ZN9rocsparseL26csrgemm_fill_block_per_rowILj512ELj32ELj1024ELj137ELj64Ell21rocsparse_complex_numIdEEEvT5_PKS3_S5_NS_24const_host_device_scalarIT6_EEPKT4_S5_PKS7_SB_S5_SD_S8_SB_S5_SD_SB_PS3_PS7_21rocsparse_index_base_SG_SG_SG_bbb
; %bb.0:
	s_clause 0x3
	s_load_b32 s35, s[0:1], 0xa8
	s_load_b128 s[4:7], s[0:1], 0x18
	s_load_b128 s[36:39], s[0:1], 0x58
	;; [unrolled: 1-line block ×3, first 2 shown]
	v_mov_b32_e32 v1, 0
	v_mov_b32_e32 v2, 0
	s_mov_b32 s44, s15
	s_waitcnt lgkmcnt(0)
	s_bitcmp1_b32 s35, 0
	v_mov_b32_e32 v3, s4
	s_cselect_b32 s33, -1, 0
	s_bitcmp1_b32 s35, 16
	v_dual_mov_b32 v6, v2 :: v_dual_mov_b32 v5, v1
	s_cselect_b32 s2, -1, 0
	v_mov_b32_e32 v4, s5
	s_xor_b32 s34, s2, -1
	v_dual_mov_b32 v9, s36 :: v_dual_mov_b32 v10, s37
	v_cndmask_b32_e64 v7, 0, 1, s34
	s_bitcmp0_b32 s35, 0
	s_clause 0x1
	scratch_store_b64 off, v[3:4], off offset:16
	scratch_store_b64 off, v[9:10], off offset:24
	v_cmp_ne_u32_e32 vcc_lo, 1, v7
	v_dual_mov_b32 v8, v2 :: v_dual_mov_b32 v7, v1
	s_cbranch_scc1 .LBB161_3
; %bb.1:
	s_mov_b64 s[8:9], src_private_base
	s_and_b32 s3, s2, exec_lo
	s_cselect_b32 s3, s9, s5
	s_delay_alu instid0(SALU_CYCLE_1) | instskip(SKIP_2) | instid1(VALU_DEP_2)
	v_dual_mov_b32 v3, 16 :: v_dual_mov_b32 v4, s3
	v_dual_mov_b32 v8, s7 :: v_dual_mov_b32 v7, s6
	s_and_b32 vcc_lo, exec_lo, vcc_lo
	v_cndmask_b32_e64 v3, s4, v3, s2
	flat_load_b64 v[5:6], v[3:4]
	s_cbranch_vccnz .LBB161_3
; %bb.2:
	v_dual_mov_b32 v3, s4 :: v_dual_mov_b32 v4, s5
	flat_load_b64 v[7:8], v[3:4] offset:8
.LBB161_3:
	s_clause 0x4
	s_load_b128 s[24:27], s[0:1], 0x88
	s_load_b256 s[4:11], s[0:1], 0x68
	s_load_b128 s[28:31], s[0:1], 0x48
	s_load_b128 s[40:43], s[0:1], 0x8
	s_load_b256 s[12:19], s[0:1], 0x28
	s_bitcmp1_b32 s35, 8
	v_dual_mov_b32 v4, v2 :: v_dual_mov_b32 v3, v1
	s_cselect_b32 s3, -1, 0
	s_bfe_u32 s35, s35, 0x10008
	s_delay_alu instid0(SALU_CYCLE_1)
	s_cmp_eq_u32 s35, 0
	s_cbranch_scc1 .LBB161_6
; %bb.4:
	s_mov_b64 s[46:47], src_private_base
	s_and_b32 s35, s2, exec_lo
	s_cselect_b32 s35, s47, s37
	s_delay_alu instid0(SALU_CYCLE_1) | instskip(SKIP_1) | instid1(VALU_DEP_1)
	v_dual_mov_b32 v1, 24 :: v_dual_mov_b32 v2, s35
	s_and_not1_b32 vcc_lo, exec_lo, s34
	v_cndmask_b32_e64 v1, s36, v1, s2
	flat_load_b64 v[3:4], v[1:2]
	v_dual_mov_b32 v1, s38 :: v_dual_mov_b32 v2, s39
	s_cbranch_vccnz .LBB161_6
; %bb.5:
	v_dual_mov_b32 v1, s36 :: v_dual_mov_b32 v2, s37
	flat_load_b64 v[1:2], v[1:2] offset:8
.LBB161_6:
	s_load_b64 s[34:35], s[0:1], 0x0
	s_mov_b32 s0, 0
	v_or_b32_e32 v27, 0xfffffe00, v0
	s_mov_b32 s1, s0
	s_delay_alu instid0(SALU_CYCLE_1) | instskip(SKIP_3) | instid1(VALU_DEP_2)
	v_dual_mov_b32 v10, s1 :: v_dual_lshlrev_b32 v11, 4, v0
	v_lshl_add_u32 v28, v0, 3, 0
	s_mov_b32 s36, s0
	s_mov_b32 s37, s0
	v_add3_u32 v29, v11, 0, 0x2000
	v_dual_mov_b32 v11, s36 :: v_dual_mov_b32 v16, v27
	v_dual_mov_b32 v9, s0 :: v_dual_mov_b32 v12, s37
	v_mov_b32_e32 v15, v28
	s_delay_alu instid0(VALU_DEP_4)
	v_mov_b32_e32 v17, v29
	s_waitcnt lgkmcnt(0)
	v_dual_mov_b32 v13, s34 :: v_dual_mov_b32 v14, s35
.LBB161_7:                              ; =>This Inner Loop Header: Depth=1
	v_add_co_u32 v16, s1, 0x200, v16
	s_delay_alu instid0(VALU_DEP_1)
	s_xor_b32 s1, s1, -1
	ds_store_b64 v15, v[13:14]
	ds_store_2addr_b64 v17, v[9:10], v[11:12] offset1:1
	v_add_nc_u32_e32 v17, 0x2000, v17
	v_add_nc_u32_e32 v15, 0x1000, v15
	s_and_b32 s1, exec_lo, s1
	s_delay_alu instid0(SALU_CYCLE_1) | instskip(NEXT) | instid1(SALU_CYCLE_1)
	s_or_b32 s0, s1, s0
	s_and_not1_b32 exec_lo, exec_lo, s0
	s_cbranch_execnz .LBB161_7
; %bb.8:
	s_or_b32 exec_lo, exec_lo, s0
	s_waitcnt vmcnt(0) lgkmcnt(0)
	s_waitcnt_vscnt null, 0x0
	s_barrier
	buffer_gl0_inv
	s_load_b64 s[0:1], s[40:41], 0x0
	s_mov_b32 s45, 0
	s_waitcnt lgkmcnt(0)
	s_lshl_b64 s[0:1], s[0:1], 3
	s_delay_alu instid0(SALU_CYCLE_1) | instskip(SKIP_2) | instid1(SALU_CYCLE_1)
	s_add_u32 s2, s42, s0
	s_addc_u32 s36, s43, s1
	s_lshl_b64 s[0:1], s[44:45], 3
	s_add_u32 s0, s2, s0
	s_addc_u32 s1, s36, s1
	s_and_b32 vcc_lo, exec_lo, s33
	s_load_b64 s[36:37], s[0:1], 0x0
	s_cbranch_vccz .LBB161_36
; %bb.9:
	s_waitcnt lgkmcnt(0)
	s_lshl_b64 s[0:1], s[36:37], 3
	v_lshrrev_b32_e32 v9, 5, v0
	s_add_u32 s0, s12, s0
	s_addc_u32 s1, s13, s1
	s_mov_b32 s2, exec_lo
	s_load_b128 s[40:43], s[0:1], 0x0
	v_sub_co_u32 v9, s0, v9, s20
	s_delay_alu instid0(VALU_DEP_1) | instskip(SKIP_1) | instid1(VALU_DEP_2)
	v_sub_co_ci_u32_e64 v10, null, 0, 0, s0
	s_waitcnt lgkmcnt(0)
	v_add_co_u32 v9, vcc_lo, s40, v9
	s_delay_alu instid0(VALU_DEP_2)
	v_add_co_ci_u32_e32 v10, vcc_lo, s41, v10, vcc_lo
	s_sub_u32 s0, s42, s20
	s_subb_u32 s1, s43, 0
	s_delay_alu instid0(VALU_DEP_1) | instid1(SALU_CYCLE_1)
	v_cmpx_gt_i64_e64 s[0:1], v[9:10]
	s_cbranch_execz .LBB161_35
; %bb.10:
	v_and_b32_e32 v11, 31, v0
	s_mov_b32 s13, s21
	s_delay_alu instid0(VALU_DEP_1) | instskip(NEXT) | instid1(VALU_DEP_1)
	v_sub_co_u32 v30, s12, v11, s21
	v_sub_co_ci_u32_e64 v31, null, 0, 0, s12
	s_mov_b32 s12, 0
	s_branch .LBB161_12
.LBB161_11:                             ;   in Loop: Header=BB161_12 Depth=1
	s_or_b32 exec_lo, exec_lo, s21
	v_add_co_u32 v9, vcc_lo, v9, 16
	v_add_co_ci_u32_e32 v10, vcc_lo, 0, v10, vcc_lo
	s_delay_alu instid0(VALU_DEP_1) | instskip(SKIP_1) | instid1(SALU_CYCLE_1)
	v_cmp_le_i64_e32 vcc_lo, s[0:1], v[9:10]
	s_or_b32 s12, vcc_lo, s12
	s_and_not1_b32 exec_lo, exec_lo, s12
	s_cbranch_execz .LBB161_35
.LBB161_12:                             ; =>This Loop Header: Depth=1
                                        ;     Child Loop BB161_15 Depth 2
                                        ;       Child Loop BB161_17 Depth 3
                                        ;         Child Loop BB161_23 Depth 4
                                        ;         Child Loop BB161_25 Depth 4
	;; [unrolled: 1-line block ×4, first 2 shown]
	v_lshlrev_b64 v[11:12], 3, v[9:10]
	s_mov_b32 s21, exec_lo
	s_delay_alu instid0(VALU_DEP_1) | instskip(NEXT) | instid1(VALU_DEP_2)
	v_add_co_u32 v11, vcc_lo, s14, v11
	v_add_co_ci_u32_e32 v12, vcc_lo, s15, v12, vcc_lo
	global_load_b64 v[11:12], v[11:12], off
	s_waitcnt vmcnt(0)
	v_sub_co_u32 v11, vcc_lo, v11, s20
	v_subrev_co_ci_u32_e32 v12, vcc_lo, 0, v12, vcc_lo
	s_delay_alu instid0(VALU_DEP_1) | instskip(NEXT) | instid1(VALU_DEP_1)
	v_lshlrev_b64 v[11:12], 3, v[11:12]
	v_add_co_u32 v11, vcc_lo, s18, v11
	s_delay_alu instid0(VALU_DEP_2)
	v_add_co_ci_u32_e32 v12, vcc_lo, s19, v12, vcc_lo
	global_load_b128 v[13:16], v[11:12], off
	s_waitcnt vmcnt(0)
	v_sub_co_u32 v11, vcc_lo, v15, s13
	v_subrev_co_ci_u32_e32 v12, vcc_lo, 0, v16, vcc_lo
	v_add_co_u32 v13, vcc_lo, v13, v30
	v_add_co_ci_u32_e32 v14, vcc_lo, v14, v31, vcc_lo
	s_delay_alu instid0(VALU_DEP_1)
	v_cmpx_lt_i64_e64 v[13:14], v[11:12]
	s_cbranch_execz .LBB161_11
; %bb.13:                               ;   in Loop: Header=BB161_12 Depth=1
	v_lshlrev_b64 v[15:16], 4, v[9:10]
	s_mov_b32 s33, 0
	s_delay_alu instid0(VALU_DEP_1) | instskip(NEXT) | instid1(VALU_DEP_2)
	v_add_co_u32 v15, vcc_lo, s16, v15
	v_add_co_ci_u32_e32 v16, vcc_lo, s17, v16, vcc_lo
	global_load_b128 v[17:20], v[15:16], off
	s_waitcnt vmcnt(0)
	v_mul_f64 v[15:16], v[19:20], -v[7:8]
	v_mul_f64 v[19:20], v[5:6], v[19:20]
	s_delay_alu instid0(VALU_DEP_2) | instskip(NEXT) | instid1(VALU_DEP_2)
	v_fma_f64 v[15:16], v[5:6], v[17:18], v[15:16]
	v_fma_f64 v[17:18], v[7:8], v[17:18], v[19:20]
	s_branch .LBB161_15
.LBB161_14:                             ;   in Loop: Header=BB161_15 Depth=2
	s_or_b32 exec_lo, exec_lo, s38
	v_add_co_u32 v13, vcc_lo, v13, 32
	v_add_co_ci_u32_e32 v14, vcc_lo, 0, v14, vcc_lo
	s_delay_alu instid0(VALU_DEP_1) | instskip(SKIP_1) | instid1(SALU_CYCLE_1)
	v_cmp_ge_i64_e32 vcc_lo, v[13:14], v[11:12]
	s_or_b32 s33, vcc_lo, s33
	s_and_not1_b32 exec_lo, exec_lo, s33
	s_cbranch_execz .LBB161_11
.LBB161_15:                             ;   Parent Loop BB161_12 Depth=1
                                        ; =>  This Loop Header: Depth=2
                                        ;       Child Loop BB161_17 Depth 3
                                        ;         Child Loop BB161_23 Depth 4
                                        ;         Child Loop BB161_25 Depth 4
	;; [unrolled: 1-line block ×4, first 2 shown]
	v_lshlrev_b64 v[19:20], 4, v[13:14]
	s_mov_b32 s38, 0
	s_delay_alu instid0(VALU_DEP_1) | instskip(NEXT) | instid1(VALU_DEP_2)
	v_add_co_u32 v19, vcc_lo, s30, v19
	v_add_co_ci_u32_e32 v20, vcc_lo, s31, v20, vcc_lo
	global_load_b128 v[21:24], v[19:20], off
	v_lshlrev_b64 v[19:20], 3, v[13:14]
	s_delay_alu instid0(VALU_DEP_1) | instskip(NEXT) | instid1(VALU_DEP_2)
	v_add_co_u32 v19, vcc_lo, s28, v19
	v_add_co_ci_u32_e32 v20, vcc_lo, s29, v20, vcc_lo
	global_load_b64 v[25:26], v[19:20], off
	s_waitcnt vmcnt(1)
	v_mul_f64 v[19:20], v[23:24], -v[17:18]
	v_mul_f64 v[23:24], v[15:16], v[23:24]
	s_delay_alu instid0(VALU_DEP_2) | instskip(NEXT) | instid1(VALU_DEP_2)
	v_fma_f64 v[19:20], v[15:16], v[21:22], v[19:20]
	v_fma_f64 v[21:22], v[17:18], v[21:22], v[23:24]
	s_waitcnt vmcnt(0)
	v_sub_co_u32 v23, vcc_lo, v25, s13
	v_subrev_co_ci_u32_e32 v24, vcc_lo, 0, v26, vcc_lo
	s_delay_alu instid0(VALU_DEP_2) | instskip(NEXT) | instid1(VALU_DEP_1)
	v_mul_lo_u32 v25, 0x89, v23
	v_and_b32_e32 v32, 0x3ff, v25
	s_branch .LBB161_17
.LBB161_16:                             ;   in Loop: Header=BB161_17 Depth=3
	s_or_b32 exec_lo, exec_lo, s39
	s_xor_b32 s39, s40, -1
	s_delay_alu instid0(SALU_CYCLE_1) | instskip(NEXT) | instid1(SALU_CYCLE_1)
	s_and_b32 s39, exec_lo, s39
	s_or_b32 s38, s39, s38
	s_delay_alu instid0(SALU_CYCLE_1)
	s_and_not1_b32 exec_lo, exec_lo, s38
	s_cbranch_execz .LBB161_14
.LBB161_17:                             ;   Parent Loop BB161_12 Depth=1
                                        ;     Parent Loop BB161_15 Depth=2
                                        ; =>    This Loop Header: Depth=3
                                        ;         Child Loop BB161_23 Depth 4
                                        ;         Child Loop BB161_25 Depth 4
	;; [unrolled: 1-line block ×4, first 2 shown]
	s_delay_alu instid0(VALU_DEP_1)
	v_lshl_add_u32 v33, v32, 3, 0
	s_mov_b32 s39, exec_lo
                                        ; implicit-def: $sgpr40
	ds_load_b64 v[25:26], v33
	s_waitcnt lgkmcnt(0)
	v_cmpx_ne_u64_e64 v[25:26], v[23:24]
	s_xor_b32 s39, exec_lo, s39
	s_cbranch_execz .LBB161_29
; %bb.18:                               ;   in Loop: Header=BB161_17 Depth=3
	s_mov_b32 s41, exec_lo
                                        ; implicit-def: $sgpr40
	v_cmpx_ne_u64_e64 s[34:35], v[25:26]
	s_xor_b32 s41, exec_lo, s41
; %bb.19:                               ;   in Loop: Header=BB161_17 Depth=3
	v_add_nc_u32_e32 v25, 1, v32
	s_mov_b32 s40, -1
                                        ; implicit-def: $vgpr33
	s_delay_alu instid0(VALU_DEP_1)
	v_and_b32_e32 v32, 0x3ff, v25
; %bb.20:                               ;   in Loop: Header=BB161_17 Depth=3
	s_and_not1_saveexec_b32 s41, s41
	s_cbranch_execz .LBB161_28
; %bb.21:                               ;   in Loop: Header=BB161_17 Depth=3
	v_dual_mov_b32 v25, s34 :: v_dual_mov_b32 v26, s35
	s_mov_b32 s43, -1
	s_mov_b32 s42, exec_lo
	ds_cmpstore_rtn_b64 v[25:26], v33, v[23:24], v[25:26]
	s_waitcnt lgkmcnt(0)
	v_cmpx_eq_u64_e64 s[34:35], v[25:26]
	s_cbranch_execz .LBB161_27
; %bb.22:                               ;   in Loop: Header=BB161_17 Depth=3
	v_lshlrev_b32_e32 v25, 3, v32
	s_mov_b32 s43, 0
	s_delay_alu instid0(VALU_DEP_1)
	v_add_nc_u32_e32 v33, v33, v25
	ds_load_b64 v[25:26], v33 offset:8192
.LBB161_23:                             ;   Parent Loop BB161_12 Depth=1
                                        ;     Parent Loop BB161_15 Depth=2
                                        ;       Parent Loop BB161_17 Depth=3
                                        ; =>      This Inner Loop Header: Depth=4
	s_waitcnt lgkmcnt(0)
	v_add_f64 v[34:35], v[25:26], v[19:20]
	ds_cmpstore_rtn_b64 v[34:35], v33, v[34:35], v[25:26] offset:8192
	s_waitcnt lgkmcnt(0)
	v_cmp_eq_u64_e32 vcc_lo, v[34:35], v[25:26]
	v_dual_mov_b32 v25, v34 :: v_dual_mov_b32 v26, v35
	s_or_b32 s43, vcc_lo, s43
	s_delay_alu instid0(SALU_CYCLE_1)
	s_and_not1_b32 exec_lo, exec_lo, s43
	s_cbranch_execnz .LBB161_23
; %bb.24:                               ;   in Loop: Header=BB161_17 Depth=3
	s_or_b32 exec_lo, exec_lo, s43
	ds_load_b64 v[25:26], v33 offset:8200
	s_mov_b32 s43, 0
.LBB161_25:                             ;   Parent Loop BB161_12 Depth=1
                                        ;     Parent Loop BB161_15 Depth=2
                                        ;       Parent Loop BB161_17 Depth=3
                                        ; =>      This Inner Loop Header: Depth=4
	s_waitcnt lgkmcnt(0)
	v_add_f64 v[34:35], v[25:26], v[21:22]
	ds_cmpstore_rtn_b64 v[34:35], v33, v[34:35], v[25:26] offset:8200
	s_waitcnt lgkmcnt(0)
	v_cmp_eq_u64_e32 vcc_lo, v[34:35], v[25:26]
	v_dual_mov_b32 v25, v34 :: v_dual_mov_b32 v26, v35
	s_or_b32 s43, vcc_lo, s43
	s_delay_alu instid0(SALU_CYCLE_1)
	s_and_not1_b32 exec_lo, exec_lo, s43
	s_cbranch_execnz .LBB161_25
; %bb.26:                               ;   in Loop: Header=BB161_17 Depth=3
	s_or_b32 exec_lo, exec_lo, s43
	s_delay_alu instid0(SALU_CYCLE_1)
	s_xor_b32 s43, exec_lo, -1
.LBB161_27:                             ;   in Loop: Header=BB161_17 Depth=3
	s_or_b32 exec_lo, exec_lo, s42
	s_delay_alu instid0(SALU_CYCLE_1) | instskip(SKIP_1) | instid1(SALU_CYCLE_1)
	s_and_not1_b32 s40, s40, exec_lo
	s_and_b32 s42, s43, exec_lo
	s_or_b32 s40, s40, s42
.LBB161_28:                             ;   in Loop: Header=BB161_17 Depth=3
	s_or_b32 exec_lo, exec_lo, s41
	s_delay_alu instid0(SALU_CYCLE_1)
	s_and_b32 s40, s40, exec_lo
                                        ; implicit-def: $vgpr33
.LBB161_29:                             ;   in Loop: Header=BB161_17 Depth=3
	s_and_not1_saveexec_b32 s39, s39
	s_cbranch_execz .LBB161_16
; %bb.30:                               ;   in Loop: Header=BB161_17 Depth=3
	v_lshlrev_b32_e32 v25, 3, v32
	s_mov_b32 s41, 0
	s_delay_alu instid0(VALU_DEP_1)
	v_add_nc_u32_e32 v33, v33, v25
	ds_load_b64 v[25:26], v33 offset:8192
.LBB161_31:                             ;   Parent Loop BB161_12 Depth=1
                                        ;     Parent Loop BB161_15 Depth=2
                                        ;       Parent Loop BB161_17 Depth=3
                                        ; =>      This Inner Loop Header: Depth=4
	s_waitcnt lgkmcnt(0)
	v_add_f64 v[34:35], v[25:26], v[19:20]
	ds_cmpstore_rtn_b64 v[34:35], v33, v[34:35], v[25:26] offset:8192
	s_waitcnt lgkmcnt(0)
	v_cmp_eq_u64_e32 vcc_lo, v[34:35], v[25:26]
	v_dual_mov_b32 v25, v34 :: v_dual_mov_b32 v26, v35
	s_or_b32 s41, vcc_lo, s41
	s_delay_alu instid0(SALU_CYCLE_1)
	s_and_not1_b32 exec_lo, exec_lo, s41
	s_cbranch_execnz .LBB161_31
; %bb.32:                               ;   in Loop: Header=BB161_17 Depth=3
	s_or_b32 exec_lo, exec_lo, s41
	ds_load_b64 v[25:26], v33 offset:8200
	s_mov_b32 s41, 0
.LBB161_33:                             ;   Parent Loop BB161_12 Depth=1
                                        ;     Parent Loop BB161_15 Depth=2
                                        ;       Parent Loop BB161_17 Depth=3
                                        ; =>      This Inner Loop Header: Depth=4
	s_waitcnt lgkmcnt(0)
	v_add_f64 v[34:35], v[25:26], v[21:22]
	ds_cmpstore_rtn_b64 v[34:35], v33, v[34:35], v[25:26] offset:8200
	s_waitcnt lgkmcnt(0)
	v_cmp_eq_u64_e32 vcc_lo, v[34:35], v[25:26]
	v_dual_mov_b32 v25, v34 :: v_dual_mov_b32 v26, v35
	s_or_b32 s41, vcc_lo, s41
	s_delay_alu instid0(SALU_CYCLE_1)
	s_and_not1_b32 exec_lo, exec_lo, s41
	s_cbranch_execnz .LBB161_33
; %bb.34:                               ;   in Loop: Header=BB161_17 Depth=3
	s_or_b32 exec_lo, exec_lo, s41
	s_delay_alu instid0(SALU_CYCLE_1)
	s_and_not1_b32 s40, s40, exec_lo
	s_branch .LBB161_16
.LBB161_35:
	s_or_b32 exec_lo, exec_lo, s2
.LBB161_36:
	s_delay_alu instid0(SALU_CYCLE_1)
	s_and_not1_b32 vcc_lo, exec_lo, s3
	s_cbranch_vccnz .LBB161_61
; %bb.37:
	s_waitcnt lgkmcnt(0)
	s_lshl_b64 s[0:1], s[36:37], 3
	s_delay_alu instid0(SALU_CYCLE_1)
	s_add_u32 s0, s4, s0
	s_addc_u32 s1, s5, s1
	v_sub_co_u32 v5, s4, v0, s23
	s_load_b128 s[0:3], s[0:1], 0x0
	v_sub_co_ci_u32_e64 v6, null, 0, 0, s4
	s_waitcnt lgkmcnt(0)
	s_delay_alu instid0(VALU_DEP_2) | instskip(NEXT) | instid1(VALU_DEP_2)
	v_add_co_u32 v5, vcc_lo, s0, v5
	v_add_co_ci_u32_e32 v6, vcc_lo, s1, v6, vcc_lo
	s_sub_u32 s0, s2, s23
	s_subb_u32 s1, s3, 0
	s_mov_b32 s2, 0
	s_mov_b32 s3, exec_lo
	v_cmpx_gt_i64_e64 s[0:1], v[5:6]
	s_cbranch_execz .LBB161_60
; %bb.38:
	s_mov_b32 s4, s23
	s_branch .LBB161_40
.LBB161_39:                             ;   in Loop: Header=BB161_40 Depth=1
	s_or_b32 exec_lo, exec_lo, s5
	v_add_co_u32 v5, vcc_lo, 0x200, v5
	v_add_co_ci_u32_e32 v6, vcc_lo, 0, v6, vcc_lo
	s_delay_alu instid0(VALU_DEP_1) | instskip(SKIP_1) | instid1(SALU_CYCLE_1)
	v_cmp_le_i64_e32 vcc_lo, s[0:1], v[5:6]
	s_or_b32 s2, vcc_lo, s2
	s_and_not1_b32 exec_lo, exec_lo, s2
	s_cbranch_execz .LBB161_60
.LBB161_40:                             ; =>This Loop Header: Depth=1
                                        ;     Child Loop BB161_42 Depth 2
                                        ;       Child Loop BB161_48 Depth 3
                                        ;       Child Loop BB161_50 Depth 3
	;; [unrolled: 1-line block ×4, first 2 shown]
	v_lshlrev_b64 v[7:8], 4, v[5:6]
	s_mov_b32 s5, 0
	s_delay_alu instid0(VALU_DEP_1) | instskip(NEXT) | instid1(VALU_DEP_2)
	v_add_co_u32 v7, vcc_lo, s8, v7
	v_add_co_ci_u32_e32 v8, vcc_lo, s9, v8, vcc_lo
	global_load_b128 v[9:12], v[7:8], off
	v_lshlrev_b64 v[7:8], 3, v[5:6]
	s_delay_alu instid0(VALU_DEP_1) | instskip(NEXT) | instid1(VALU_DEP_2)
	v_add_co_u32 v7, vcc_lo, s6, v7
	v_add_co_ci_u32_e32 v8, vcc_lo, s7, v8, vcc_lo
	global_load_b64 v[13:14], v[7:8], off
	s_waitcnt vmcnt(1)
	v_mul_f64 v[7:8], v[11:12], -v[1:2]
	v_mul_f64 v[11:12], v[3:4], v[11:12]
	s_delay_alu instid0(VALU_DEP_2) | instskip(NEXT) | instid1(VALU_DEP_2)
	v_fma_f64 v[7:8], v[3:4], v[9:10], v[7:8]
	v_fma_f64 v[9:10], v[1:2], v[9:10], v[11:12]
	s_waitcnt vmcnt(0)
	v_sub_co_u32 v11, vcc_lo, v13, s4
	v_subrev_co_ci_u32_e32 v12, vcc_lo, 0, v14, vcc_lo
	s_delay_alu instid0(VALU_DEP_2) | instskip(NEXT) | instid1(VALU_DEP_1)
	v_mul_lo_u32 v13, 0x89, v11
	v_and_b32_e32 v15, 0x3ff, v13
	s_branch .LBB161_42
.LBB161_41:                             ;   in Loop: Header=BB161_42 Depth=2
	s_or_b32 exec_lo, exec_lo, s12
	s_xor_b32 s12, s13, -1
	s_delay_alu instid0(SALU_CYCLE_1) | instskip(NEXT) | instid1(SALU_CYCLE_1)
	s_and_b32 s12, exec_lo, s12
	s_or_b32 s5, s12, s5
	s_delay_alu instid0(SALU_CYCLE_1)
	s_and_not1_b32 exec_lo, exec_lo, s5
	s_cbranch_execz .LBB161_39
.LBB161_42:                             ;   Parent Loop BB161_40 Depth=1
                                        ; =>  This Loop Header: Depth=2
                                        ;       Child Loop BB161_48 Depth 3
                                        ;       Child Loop BB161_50 Depth 3
	;; [unrolled: 1-line block ×4, first 2 shown]
	s_delay_alu instid0(VALU_DEP_1)
	v_lshl_add_u32 v16, v15, 3, 0
	s_mov_b32 s12, exec_lo
                                        ; implicit-def: $sgpr13
	ds_load_b64 v[13:14], v16
	s_waitcnt lgkmcnt(0)
	v_cmpx_ne_u64_e64 v[13:14], v[11:12]
	s_xor_b32 s12, exec_lo, s12
	s_cbranch_execz .LBB161_54
; %bb.43:                               ;   in Loop: Header=BB161_42 Depth=2
	s_mov_b32 s14, exec_lo
                                        ; implicit-def: $sgpr13
	v_cmpx_ne_u64_e64 s[34:35], v[13:14]
	s_xor_b32 s14, exec_lo, s14
; %bb.44:                               ;   in Loop: Header=BB161_42 Depth=2
	v_add_nc_u32_e32 v13, 1, v15
	s_mov_b32 s13, -1
                                        ; implicit-def: $vgpr16
	s_delay_alu instid0(VALU_DEP_1)
	v_and_b32_e32 v15, 0x3ff, v13
; %bb.45:                               ;   in Loop: Header=BB161_42 Depth=2
	s_and_not1_saveexec_b32 s14, s14
	s_cbranch_execz .LBB161_53
; %bb.46:                               ;   in Loop: Header=BB161_42 Depth=2
	v_dual_mov_b32 v13, s34 :: v_dual_mov_b32 v14, s35
	s_mov_b32 s16, -1
	s_mov_b32 s15, exec_lo
	ds_cmpstore_rtn_b64 v[13:14], v16, v[11:12], v[13:14]
	s_waitcnt lgkmcnt(0)
	v_cmpx_eq_u64_e64 s[34:35], v[13:14]
	s_cbranch_execz .LBB161_52
; %bb.47:                               ;   in Loop: Header=BB161_42 Depth=2
	v_lshlrev_b32_e32 v13, 3, v15
	s_mov_b32 s16, 0
	s_delay_alu instid0(VALU_DEP_1)
	v_add_nc_u32_e32 v16, v16, v13
	ds_load_b64 v[13:14], v16 offset:8192
.LBB161_48:                             ;   Parent Loop BB161_40 Depth=1
                                        ;     Parent Loop BB161_42 Depth=2
                                        ; =>    This Inner Loop Header: Depth=3
	s_waitcnt lgkmcnt(0)
	v_add_f64 v[17:18], v[13:14], v[7:8]
	ds_cmpstore_rtn_b64 v[17:18], v16, v[17:18], v[13:14] offset:8192
	s_waitcnt lgkmcnt(0)
	v_cmp_eq_u64_e32 vcc_lo, v[17:18], v[13:14]
	v_dual_mov_b32 v13, v17 :: v_dual_mov_b32 v14, v18
	s_or_b32 s16, vcc_lo, s16
	s_delay_alu instid0(SALU_CYCLE_1)
	s_and_not1_b32 exec_lo, exec_lo, s16
	s_cbranch_execnz .LBB161_48
; %bb.49:                               ;   in Loop: Header=BB161_42 Depth=2
	s_or_b32 exec_lo, exec_lo, s16
	ds_load_b64 v[13:14], v16 offset:8200
	s_mov_b32 s16, 0
.LBB161_50:                             ;   Parent Loop BB161_40 Depth=1
                                        ;     Parent Loop BB161_42 Depth=2
                                        ; =>    This Inner Loop Header: Depth=3
	s_waitcnt lgkmcnt(0)
	v_add_f64 v[17:18], v[13:14], v[9:10]
	ds_cmpstore_rtn_b64 v[17:18], v16, v[17:18], v[13:14] offset:8200
	s_waitcnt lgkmcnt(0)
	v_cmp_eq_u64_e32 vcc_lo, v[17:18], v[13:14]
	v_dual_mov_b32 v13, v17 :: v_dual_mov_b32 v14, v18
	s_or_b32 s16, vcc_lo, s16
	s_delay_alu instid0(SALU_CYCLE_1)
	s_and_not1_b32 exec_lo, exec_lo, s16
	s_cbranch_execnz .LBB161_50
; %bb.51:                               ;   in Loop: Header=BB161_42 Depth=2
	s_or_b32 exec_lo, exec_lo, s16
	s_delay_alu instid0(SALU_CYCLE_1)
	s_xor_b32 s16, exec_lo, -1
.LBB161_52:                             ;   in Loop: Header=BB161_42 Depth=2
	s_or_b32 exec_lo, exec_lo, s15
	s_delay_alu instid0(SALU_CYCLE_1) | instskip(SKIP_1) | instid1(SALU_CYCLE_1)
	s_and_not1_b32 s13, s13, exec_lo
	s_and_b32 s15, s16, exec_lo
	s_or_b32 s13, s13, s15
.LBB161_53:                             ;   in Loop: Header=BB161_42 Depth=2
	s_or_b32 exec_lo, exec_lo, s14
	s_delay_alu instid0(SALU_CYCLE_1)
	s_and_b32 s13, s13, exec_lo
                                        ; implicit-def: $vgpr16
.LBB161_54:                             ;   in Loop: Header=BB161_42 Depth=2
	s_and_not1_saveexec_b32 s12, s12
	s_cbranch_execz .LBB161_41
; %bb.55:                               ;   in Loop: Header=BB161_42 Depth=2
	v_lshlrev_b32_e32 v13, 3, v15
	s_mov_b32 s14, 0
	s_delay_alu instid0(VALU_DEP_1)
	v_add_nc_u32_e32 v16, v16, v13
	ds_load_b64 v[13:14], v16 offset:8192
.LBB161_56:                             ;   Parent Loop BB161_40 Depth=1
                                        ;     Parent Loop BB161_42 Depth=2
                                        ; =>    This Inner Loop Header: Depth=3
	s_waitcnt lgkmcnt(0)
	v_add_f64 v[17:18], v[13:14], v[7:8]
	ds_cmpstore_rtn_b64 v[17:18], v16, v[17:18], v[13:14] offset:8192
	s_waitcnt lgkmcnt(0)
	v_cmp_eq_u64_e32 vcc_lo, v[17:18], v[13:14]
	v_dual_mov_b32 v13, v17 :: v_dual_mov_b32 v14, v18
	s_or_b32 s14, vcc_lo, s14
	s_delay_alu instid0(SALU_CYCLE_1)
	s_and_not1_b32 exec_lo, exec_lo, s14
	s_cbranch_execnz .LBB161_56
; %bb.57:                               ;   in Loop: Header=BB161_42 Depth=2
	s_or_b32 exec_lo, exec_lo, s14
	ds_load_b64 v[13:14], v16 offset:8200
	s_mov_b32 s14, 0
.LBB161_58:                             ;   Parent Loop BB161_40 Depth=1
                                        ;     Parent Loop BB161_42 Depth=2
                                        ; =>    This Inner Loop Header: Depth=3
	s_waitcnt lgkmcnt(0)
	v_add_f64 v[17:18], v[13:14], v[9:10]
	ds_cmpstore_rtn_b64 v[17:18], v16, v[17:18], v[13:14] offset:8200
	s_waitcnt lgkmcnt(0)
	v_cmp_eq_u64_e32 vcc_lo, v[17:18], v[13:14]
	v_dual_mov_b32 v13, v17 :: v_dual_mov_b32 v14, v18
	s_or_b32 s14, vcc_lo, s14
	s_delay_alu instid0(SALU_CYCLE_1)
	s_and_not1_b32 exec_lo, exec_lo, s14
	s_cbranch_execnz .LBB161_58
; %bb.59:                               ;   in Loop: Header=BB161_42 Depth=2
	s_or_b32 exec_lo, exec_lo, s14
	s_delay_alu instid0(SALU_CYCLE_1)
	s_and_not1_b32 s13, s13, exec_lo
	s_branch .LBB161_41
.LBB161_60:
	s_or_b32 exec_lo, exec_lo, s3
.LBB161_61:
	v_mbcnt_lo_u32_b32 v1, -1, 0
	v_lshrrev_b32_e32 v2, 3, v0
	v_cmp_eq_u32_e32 vcc_lo, 0x1ff, v0
	v_cmp_lt_u32_e64 s0, 63, v0
	v_cmp_lt_u32_e64 s1, 0x7f, v0
	v_xor_b32_e32 v1, 63, v1
	v_and_b32_e32 v3, 56, v2
	v_cmp_lt_u32_e64 s2, 0xbf, v0
	v_cmp_lt_u32_e64 s3, 0xff, v0
	;; [unrolled: 1-line block ×3, first 2 shown]
	v_lshrrev_b64 v[1:2], v1, -1
	v_add_nc_u32_e32 v10, 0, v3
	v_dual_mov_b32 v2, 0 :: v_dual_mov_b32 v5, 0
	v_cmp_lt_u32_e64 s5, 0x17f, v0
	v_cmp_lt_u32_e64 s6, 0x1bf, v0
	v_mov_b32_e32 v3, 0
	s_mov_b32 s8, 0
	s_waitcnt lgkmcnt(0)
	s_barrier
	buffer_gl0_inv
	s_branch .LBB161_63
.LBB161_62:                             ;   in Loop: Header=BB161_63 Depth=1
	s_or_b32 exec_lo, exec_lo, s7
	s_waitcnt lgkmcnt(0)
	s_barrier
	buffer_gl0_inv
	ds_load_b64 v[6:7], v5 offset:24632
	v_add_co_u32 v27, s7, 0x200, v27
	s_delay_alu instid0(VALU_DEP_1) | instskip(SKIP_4) | instid1(VALU_DEP_1)
	s_xor_b32 s9, s7, -1
	v_add_nc_u32_e32 v29, 0x2000, v29
	v_add_nc_u32_e32 v28, 0x1000, v28
	s_waitcnt lgkmcnt(0)
	v_add_co_u32 v2, s7, v6, v2
	v_add_co_ci_u32_e64 v3, s7, v7, v3, s7
	s_and_b32 s7, exec_lo, s9
	s_delay_alu instid0(SALU_CYCLE_1) | instskip(NEXT) | instid1(SALU_CYCLE_1)
	s_or_b32 s8, s7, s8
	s_and_not1_b32 exec_lo, exec_lo, s8
	s_cbranch_execz .LBB161_81
.LBB161_63:                             ; =>This Inner Loop Header: Depth=1
	ds_load_b64 v[6:7], v28
	ds_load_2addr_b64 v[11:14], v29 offset1:1
	s_waitcnt lgkmcnt(1)
	v_cmp_gt_i64_e64 s7, s[34:35], v[6:7]
	s_waitcnt lgkmcnt(0)
	scratch_store_b128 off, v[11:14], off
	s_waitcnt_vscnt null, 0x0
	s_barrier
	buffer_gl0_inv
	v_and_b32_e32 v8, s7, v1
	s_bcnt1_i32_b32 s9, s7
	s_delay_alu instid0(SALU_CYCLE_1) | instskip(NEXT) | instid1(VALU_DEP_2)
	v_mov_b32_e32 v4, s9
	v_bcnt_u32_b32 v8, v8, 0
	ds_store_b64 v10, v[4:5] offset:24576
	s_waitcnt lgkmcnt(0)
	s_barrier
	buffer_gl0_inv
	s_and_saveexec_b32 s9, s0
	s_cbranch_execnz .LBB161_72
; %bb.64:                               ;   in Loop: Header=BB161_63 Depth=1
	s_or_b32 exec_lo, exec_lo, s9
	s_and_saveexec_b32 s9, s1
	s_cbranch_execnz .LBB161_73
.LBB161_65:                             ;   in Loop: Header=BB161_63 Depth=1
	s_or_b32 exec_lo, exec_lo, s9
	s_and_saveexec_b32 s9, s2
	s_cbranch_execnz .LBB161_74
.LBB161_66:                             ;   in Loop: Header=BB161_63 Depth=1
	s_or_b32 exec_lo, exec_lo, s9
	s_and_saveexec_b32 s9, s3
	s_cbranch_execnz .LBB161_75
.LBB161_67:                             ;   in Loop: Header=BB161_63 Depth=1
	s_or_b32 exec_lo, exec_lo, s9
	s_and_saveexec_b32 s9, s4
	s_cbranch_execnz .LBB161_76
.LBB161_68:                             ;   in Loop: Header=BB161_63 Depth=1
	s_or_b32 exec_lo, exec_lo, s9
	s_and_saveexec_b32 s9, s5
	s_cbranch_execnz .LBB161_77
.LBB161_69:                             ;   in Loop: Header=BB161_63 Depth=1
	s_or_b32 exec_lo, exec_lo, s9
	s_and_saveexec_b32 s9, s6
	s_cbranch_execnz .LBB161_78
.LBB161_70:                             ;   in Loop: Header=BB161_63 Depth=1
	s_or_b32 exec_lo, exec_lo, s9
	v_ashrrev_i32_e32 v9, 31, v8
	s_and_saveexec_b32 s9, s7
	s_cbranch_execnz .LBB161_79
.LBB161_71:                             ;   in Loop: Header=BB161_63 Depth=1
	s_or_b32 exec_lo, exec_lo, s9
	s_and_saveexec_b32 s7, vcc_lo
	s_cbranch_execz .LBB161_62
	s_branch .LBB161_80
.LBB161_72:                             ;   in Loop: Header=BB161_63 Depth=1
	ds_load_b32 v4, v5 offset:24576
	s_waitcnt lgkmcnt(0)
	v_add_nc_u32_e32 v8, v4, v8
	s_or_b32 exec_lo, exec_lo, s9
	s_and_saveexec_b32 s9, s1
	s_cbranch_execz .LBB161_65
.LBB161_73:                             ;   in Loop: Header=BB161_63 Depth=1
	ds_load_b32 v4, v5 offset:24584
	s_waitcnt lgkmcnt(0)
	v_add_nc_u32_e32 v8, v8, v4
	s_or_b32 exec_lo, exec_lo, s9
	s_and_saveexec_b32 s9, s2
	s_cbranch_execz .LBB161_66
.LBB161_74:                             ;   in Loop: Header=BB161_63 Depth=1
	ds_load_b32 v4, v5 offset:24592
	s_waitcnt lgkmcnt(0)
	v_add_nc_u32_e32 v8, v8, v4
	s_or_b32 exec_lo, exec_lo, s9
	s_and_saveexec_b32 s9, s3
	s_cbranch_execz .LBB161_67
.LBB161_75:                             ;   in Loop: Header=BB161_63 Depth=1
	ds_load_b32 v4, v5 offset:24600
	s_waitcnt lgkmcnt(0)
	v_add_nc_u32_e32 v8, v8, v4
	s_or_b32 exec_lo, exec_lo, s9
	s_and_saveexec_b32 s9, s4
	s_cbranch_execz .LBB161_68
.LBB161_76:                             ;   in Loop: Header=BB161_63 Depth=1
	ds_load_b32 v4, v5 offset:24608
	s_waitcnt lgkmcnt(0)
	v_add_nc_u32_e32 v8, v8, v4
	s_or_b32 exec_lo, exec_lo, s9
	s_and_saveexec_b32 s9, s5
	s_cbranch_execz .LBB161_69
.LBB161_77:                             ;   in Loop: Header=BB161_63 Depth=1
	ds_load_b32 v4, v5 offset:24616
	s_waitcnt lgkmcnt(0)
	v_add_nc_u32_e32 v8, v8, v4
	s_or_b32 exec_lo, exec_lo, s9
	s_and_saveexec_b32 s9, s6
	s_cbranch_execz .LBB161_70
.LBB161_78:                             ;   in Loop: Header=BB161_63 Depth=1
	ds_load_b32 v4, v5 offset:24624
	s_waitcnt lgkmcnt(0)
	v_add_nc_u32_e32 v8, v8, v4
	s_or_b32 exec_lo, exec_lo, s9
	s_delay_alu instid0(VALU_DEP_1)
	v_ashrrev_i32_e32 v9, 31, v8
	s_and_saveexec_b32 s9, s7
	s_cbranch_execz .LBB161_71
.LBB161_79:                             ;   in Loop: Header=BB161_63 Depth=1
	scratch_load_b128 v[11:14], off, off
	v_add3_u32 v4, v2, -1, v8
	s_delay_alu instid0(VALU_DEP_1) | instskip(SKIP_1) | instid1(VALU_DEP_2)
	v_lshlrev_b32_e32 v15, 4, v4
	v_lshl_add_u32 v4, v4, 3, 0
	v_add3_u32 v15, 0, v15, 0x2000
	ds_store_b64 v4, v[6:7]
	s_waitcnt vmcnt(0)
	ds_store_2addr_b64 v15, v[11:12], v[13:14] offset1:1
	s_or_b32 exec_lo, exec_lo, s9
	s_and_saveexec_b32 s7, vcc_lo
	s_cbranch_execz .LBB161_62
.LBB161_80:                             ;   in Loop: Header=BB161_63 Depth=1
	ds_store_b64 v5, v[8:9] offset:24632
	s_branch .LBB161_62
.LBB161_81:
	s_or_b32 exec_lo, exec_lo, s8
	s_lshl_b64 s[0:1], s[36:37], 3
	v_mov_b32_e32 v1, 0
	s_add_u32 s0, s10, s0
	s_addc_u32 s1, s11, s1
	s_mov_b32 s6, exec_lo
	s_load_b128 s[0:3], s[0:1], 0x0
	s_waitcnt lgkmcnt(0)
	s_sub_u32 s4, s2, s0
	s_subb_u32 s5, s3, s1
	s_delay_alu instid0(SALU_CYCLE_1)
	v_cmpx_gt_i64_e64 s[4:5], v[0:1]
	s_cbranch_execz .LBB161_91
; %bb.82:
	s_sub_u32 s8, s0, s22
	s_subb_u32 s9, s1, 0
	s_and_b32 s6, s4, 7
	s_sub_u32 s0, s0, s2
	s_subb_u32 s1, s1, s3
	s_mov_b32 s7, 0
	v_cmp_lt_u64_e64 s12, s[0:1], -7
	s_and_b32 s2, s4, -8
	s_cmp_lg_u64 s[6:7], 0
	s_mov_b32 s3, s5
	s_cselect_b32 s13, -1, 0
	s_mov_b32 s14, s7
	s_branch .LBB161_84
.LBB161_83:                             ;   in Loop: Header=BB161_84 Depth=1
	v_lshlrev_b32_e32 v7, 3, v0
	s_waitcnt lgkmcnt(0)
	v_add_co_u32 v2, vcc_lo, v2, s22
	v_lshlrev_b64 v[10:11], 3, v[4:5]
	v_add_co_ci_u32_e32 v3, vcc_lo, 0, v3, vcc_lo
	v_add3_u32 v6, v6, v7, 0x2000
	v_add_co_u32 v0, vcc_lo, 0x200, v0
	v_add_co_ci_u32_e32 v1, vcc_lo, 0, v1, vcc_lo
	ds_load_2addr_b64 v[6:9], v6 offset1:1
	v_lshlrev_b64 v[4:5], 4, v[4:5]
	v_add_co_u32 v10, vcc_lo, s24, v10
	v_add_co_ci_u32_e32 v11, vcc_lo, s25, v11, vcc_lo
	v_cmp_le_i64_e32 vcc_lo, s[4:5], v[0:1]
	s_delay_alu instid0(VALU_DEP_4) | instskip(NEXT) | instid1(VALU_DEP_1)
	v_add_co_u32 v4, s0, s26, v4
	v_add_co_ci_u32_e64 v5, s0, s27, v5, s0
	global_store_b64 v[10:11], v[2:3], off
	s_waitcnt lgkmcnt(0)
	global_store_b128 v[4:5], v[6:9], off
	s_or_b32 s14, vcc_lo, s14
	s_delay_alu instid0(SALU_CYCLE_1)
	s_and_not1_b32 exec_lo, exec_lo, s14
	s_cbranch_execz .LBB161_91
.LBB161_84:                             ; =>This Loop Header: Depth=1
                                        ;     Child Loop BB161_86 Depth 2
                                        ;     Child Loop BB161_90 Depth 2
	v_lshl_add_u32 v6, v0, 3, 0
	v_dual_mov_b32 v4, s8 :: v_dual_mov_b32 v5, s9
	s_and_not1_b32 vcc_lo, exec_lo, s12
	s_mov_b64 s[0:1], 0
	ds_load_b64 v[2:3], v6
	s_cbranch_vccnz .LBB161_88
; %bb.85:                               ;   in Loop: Header=BB161_84 Depth=1
	v_dual_mov_b32 v4, s8 :: v_dual_mov_b32 v5, s9
	s_mov_b64 s[10:11], 0
	s_mov_b32 s1, 0
.LBB161_86:                             ;   Parent Loop BB161_84 Depth=1
                                        ; =>  This Inner Loop Header: Depth=2
	s_delay_alu instid0(SALU_CYCLE_1)
	v_mov_b32_e32 v19, s1
	s_add_u32 s10, s10, 8
	s_addc_u32 s11, s11, 0
	s_add_i32 s1, s1, 64
	s_cmp_eq_u64 s[2:3], s[10:11]
	ds_load_2addr_b64 v[7:10], v19 offset1:1
	ds_load_2addr_b64 v[11:14], v19 offset0:2 offset1:3
	ds_load_2addr_b64 v[15:18], v19 offset0:4 offset1:5
	;; [unrolled: 1-line block ×3, first 2 shown]
	s_waitcnt lgkmcnt(3)
	v_cmp_gt_i64_e32 vcc_lo, v[2:3], v[7:8]
	v_cndmask_b32_e64 v7, 0, 1, vcc_lo
	v_cmp_gt_i64_e32 vcc_lo, v[2:3], v[9:10]
	v_cndmask_b32_e64 v8, 0, 1, vcc_lo
	s_waitcnt lgkmcnt(2)
	v_cmp_gt_i64_e32 vcc_lo, v[2:3], v[11:12]
	v_cndmask_b32_e64 v9, 0, 1, vcc_lo
	v_cmp_gt_i64_e32 vcc_lo, v[2:3], v[13:14]
	v_cndmask_b32_e64 v10, 0, 1, vcc_lo
	s_waitcnt lgkmcnt(1)
	v_cmp_gt_i64_e32 vcc_lo, v[2:3], v[15:16]
	v_cndmask_b32_e64 v11, 0, 1, vcc_lo
	v_add_co_u32 v4, vcc_lo, v4, v7
	v_add_co_ci_u32_e32 v5, vcc_lo, 0, v5, vcc_lo
	v_cmp_gt_i64_e32 vcc_lo, v[2:3], v[17:18]
	s_delay_alu instid0(VALU_DEP_3) | instskip(NEXT) | instid1(VALU_DEP_1)
	v_add_co_u32 v4, s0, v4, v8
	v_add_co_ci_u32_e64 v5, s0, 0, v5, s0
	v_cndmask_b32_e64 v7, 0, 1, vcc_lo
	s_delay_alu instid0(VALU_DEP_3) | instskip(NEXT) | instid1(VALU_DEP_3)
	v_add_co_u32 v4, vcc_lo, v4, v9
	v_add_co_ci_u32_e32 v5, vcc_lo, 0, v5, vcc_lo
	s_waitcnt lgkmcnt(0)
	v_cmp_gt_i64_e32 vcc_lo, v[2:3], v[19:20]
	s_delay_alu instid0(VALU_DEP_3) | instskip(NEXT) | instid1(VALU_DEP_1)
	v_add_co_u32 v4, s0, v4, v10
	v_add_co_ci_u32_e64 v5, s0, 0, v5, s0
	v_cndmask_b32_e64 v8, 0, 1, vcc_lo
	s_delay_alu instid0(VALU_DEP_3) | instskip(NEXT) | instid1(VALU_DEP_3)
	v_add_co_u32 v4, vcc_lo, v4, v11
	v_add_co_ci_u32_e32 v5, vcc_lo, 0, v5, vcc_lo
	v_cmp_gt_i64_e32 vcc_lo, v[2:3], v[21:22]
	s_delay_alu instid0(VALU_DEP_3) | instskip(NEXT) | instid1(VALU_DEP_1)
	v_add_co_u32 v4, s0, v4, v7
	v_add_co_ci_u32_e64 v5, s0, 0, v5, s0
	v_cndmask_b32_e64 v7, 0, 1, vcc_lo
	s_delay_alu instid0(VALU_DEP_3) | instskip(NEXT) | instid1(VALU_DEP_3)
	v_add_co_u32 v4, vcc_lo, v4, v8
	v_add_co_ci_u32_e32 v5, vcc_lo, 0, v5, vcc_lo
	s_delay_alu instid0(VALU_DEP_2) | instskip(NEXT) | instid1(VALU_DEP_2)
	v_add_co_u32 v4, vcc_lo, v4, v7
	v_add_co_ci_u32_e32 v5, vcc_lo, 0, v5, vcc_lo
	s_cbranch_scc0 .LBB161_86
; %bb.87:                               ;   in Loop: Header=BB161_84 Depth=1
	s_mov_b64 s[0:1], s[2:3]
.LBB161_88:                             ;   in Loop: Header=BB161_84 Depth=1
	s_and_not1_b32 vcc_lo, exec_lo, s13
	s_cbranch_vccnz .LBB161_83
; %bb.89:                               ;   in Loop: Header=BB161_84 Depth=1
	s_lshl_b32 s0, s0, 3
	s_delay_alu instid0(SALU_CYCLE_1)
	s_add_i32 s10, s0, 0
	s_mov_b64 s[0:1], s[6:7]
.LBB161_90:                             ;   Parent Loop BB161_84 Depth=1
                                        ; =>  This Inner Loop Header: Depth=2
	v_mov_b32_e32 v7, s10
	s_add_i32 s10, s10, 8
	s_add_u32 s0, s0, -1
	s_addc_u32 s1, s1, -1
	s_delay_alu instid0(SALU_CYCLE_1) | instskip(SKIP_4) | instid1(VALU_DEP_1)
	s_cmp_lg_u64 s[0:1], 0
	ds_load_b64 v[7:8], v7
	s_waitcnt lgkmcnt(0)
	v_cmp_gt_i64_e32 vcc_lo, v[2:3], v[7:8]
	v_cndmask_b32_e64 v7, 0, 1, vcc_lo
	v_add_co_u32 v4, vcc_lo, v4, v7
	v_add_co_ci_u32_e32 v5, vcc_lo, 0, v5, vcc_lo
	s_cbranch_scc1 .LBB161_90
	s_branch .LBB161_83
.LBB161_91:
	s_nop 0
	s_sendmsg sendmsg(MSG_DEALLOC_VGPRS)
	s_endpgm
	.section	.rodata,"a",@progbits
	.p2align	6, 0x0
	.amdhsa_kernel _ZN9rocsparseL26csrgemm_fill_block_per_rowILj512ELj32ELj1024ELj137ELj64Ell21rocsparse_complex_numIdEEEvT5_PKS3_S5_NS_24const_host_device_scalarIT6_EEPKT4_S5_PKS7_SB_S5_SD_S8_SB_S5_SD_SB_PS3_PS7_21rocsparse_index_base_SG_SG_SG_bbb
		.amdhsa_group_segment_fixed_size 0
		.amdhsa_private_segment_fixed_size 40
		.amdhsa_kernarg_size 172
		.amdhsa_user_sgpr_count 15
		.amdhsa_user_sgpr_dispatch_ptr 0
		.amdhsa_user_sgpr_queue_ptr 0
		.amdhsa_user_sgpr_kernarg_segment_ptr 1
		.amdhsa_user_sgpr_dispatch_id 0
		.amdhsa_user_sgpr_private_segment_size 0
		.amdhsa_wavefront_size32 1
		.amdhsa_uses_dynamic_stack 0
		.amdhsa_enable_private_segment 1
		.amdhsa_system_sgpr_workgroup_id_x 1
		.amdhsa_system_sgpr_workgroup_id_y 0
		.amdhsa_system_sgpr_workgroup_id_z 0
		.amdhsa_system_sgpr_workgroup_info 0
		.amdhsa_system_vgpr_workitem_id 0
		.amdhsa_next_free_vgpr 36
		.amdhsa_next_free_sgpr 48
		.amdhsa_reserve_vcc 1
		.amdhsa_float_round_mode_32 0
		.amdhsa_float_round_mode_16_64 0
		.amdhsa_float_denorm_mode_32 3
		.amdhsa_float_denorm_mode_16_64 3
		.amdhsa_dx10_clamp 1
		.amdhsa_ieee_mode 1
		.amdhsa_fp16_overflow 0
		.amdhsa_workgroup_processor_mode 1
		.amdhsa_memory_ordered 1
		.amdhsa_forward_progress 0
		.amdhsa_shared_vgpr_count 0
		.amdhsa_exception_fp_ieee_invalid_op 0
		.amdhsa_exception_fp_denorm_src 0
		.amdhsa_exception_fp_ieee_div_zero 0
		.amdhsa_exception_fp_ieee_overflow 0
		.amdhsa_exception_fp_ieee_underflow 0
		.amdhsa_exception_fp_ieee_inexact 0
		.amdhsa_exception_int_div_zero 0
	.end_amdhsa_kernel
	.section	.text._ZN9rocsparseL26csrgemm_fill_block_per_rowILj512ELj32ELj1024ELj137ELj64Ell21rocsparse_complex_numIdEEEvT5_PKS3_S5_NS_24const_host_device_scalarIT6_EEPKT4_S5_PKS7_SB_S5_SD_S8_SB_S5_SD_SB_PS3_PS7_21rocsparse_index_base_SG_SG_SG_bbb,"axG",@progbits,_ZN9rocsparseL26csrgemm_fill_block_per_rowILj512ELj32ELj1024ELj137ELj64Ell21rocsparse_complex_numIdEEEvT5_PKS3_S5_NS_24const_host_device_scalarIT6_EEPKT4_S5_PKS7_SB_S5_SD_S8_SB_S5_SD_SB_PS3_PS7_21rocsparse_index_base_SG_SG_SG_bbb,comdat
.Lfunc_end161:
	.size	_ZN9rocsparseL26csrgemm_fill_block_per_rowILj512ELj32ELj1024ELj137ELj64Ell21rocsparse_complex_numIdEEEvT5_PKS3_S5_NS_24const_host_device_scalarIT6_EEPKT4_S5_PKS7_SB_S5_SD_S8_SB_S5_SD_SB_PS3_PS7_21rocsparse_index_base_SG_SG_SG_bbb, .Lfunc_end161-_ZN9rocsparseL26csrgemm_fill_block_per_rowILj512ELj32ELj1024ELj137ELj64Ell21rocsparse_complex_numIdEEEvT5_PKS3_S5_NS_24const_host_device_scalarIT6_EEPKT4_S5_PKS7_SB_S5_SD_S8_SB_S5_SD_SB_PS3_PS7_21rocsparse_index_base_SG_SG_SG_bbb
                                        ; -- End function
	.section	.AMDGPU.csdata,"",@progbits
; Kernel info:
; codeLenInByte = 4036
; NumSgprs: 50
; NumVgprs: 36
; ScratchSize: 40
; MemoryBound: 0
; FloatMode: 240
; IeeeMode: 1
; LDSByteSize: 0 bytes/workgroup (compile time only)
; SGPRBlocks: 6
; VGPRBlocks: 4
; NumSGPRsForWavesPerEU: 50
; NumVGPRsForWavesPerEU: 36
; Occupancy: 16
; WaveLimiterHint : 1
; COMPUTE_PGM_RSRC2:SCRATCH_EN: 1
; COMPUTE_PGM_RSRC2:USER_SGPR: 15
; COMPUTE_PGM_RSRC2:TRAP_HANDLER: 0
; COMPUTE_PGM_RSRC2:TGID_X_EN: 1
; COMPUTE_PGM_RSRC2:TGID_Y_EN: 0
; COMPUTE_PGM_RSRC2:TGID_Z_EN: 0
; COMPUTE_PGM_RSRC2:TIDIG_COMP_CNT: 0
	.section	.text._ZN9rocsparseL26csrgemm_fill_block_per_rowILj1024ELj32ELj2048ELj137ELj32Ell21rocsparse_complex_numIdEEEvT5_PKS3_S5_NS_24const_host_device_scalarIT6_EEPKT4_S5_PKS7_SB_S5_SD_S8_SB_S5_SD_SB_PS3_PS7_21rocsparse_index_base_SG_SG_SG_bbb,"axG",@progbits,_ZN9rocsparseL26csrgemm_fill_block_per_rowILj1024ELj32ELj2048ELj137ELj32Ell21rocsparse_complex_numIdEEEvT5_PKS3_S5_NS_24const_host_device_scalarIT6_EEPKT4_S5_PKS7_SB_S5_SD_S8_SB_S5_SD_SB_PS3_PS7_21rocsparse_index_base_SG_SG_SG_bbb,comdat
	.globl	_ZN9rocsparseL26csrgemm_fill_block_per_rowILj1024ELj32ELj2048ELj137ELj32Ell21rocsparse_complex_numIdEEEvT5_PKS3_S5_NS_24const_host_device_scalarIT6_EEPKT4_S5_PKS7_SB_S5_SD_S8_SB_S5_SD_SB_PS3_PS7_21rocsparse_index_base_SG_SG_SG_bbb ; -- Begin function _ZN9rocsparseL26csrgemm_fill_block_per_rowILj1024ELj32ELj2048ELj137ELj32Ell21rocsparse_complex_numIdEEEvT5_PKS3_S5_NS_24const_host_device_scalarIT6_EEPKT4_S5_PKS7_SB_S5_SD_S8_SB_S5_SD_SB_PS3_PS7_21rocsparse_index_base_SG_SG_SG_bbb
	.p2align	8
	.type	_ZN9rocsparseL26csrgemm_fill_block_per_rowILj1024ELj32ELj2048ELj137ELj32Ell21rocsparse_complex_numIdEEEvT5_PKS3_S5_NS_24const_host_device_scalarIT6_EEPKT4_S5_PKS7_SB_S5_SD_S8_SB_S5_SD_SB_PS3_PS7_21rocsparse_index_base_SG_SG_SG_bbb,@function
_ZN9rocsparseL26csrgemm_fill_block_per_rowILj1024ELj32ELj2048ELj137ELj32Ell21rocsparse_complex_numIdEEEvT5_PKS3_S5_NS_24const_host_device_scalarIT6_EEPKT4_S5_PKS7_SB_S5_SD_S8_SB_S5_SD_SB_PS3_PS7_21rocsparse_index_base_SG_SG_SG_bbb: ; @_ZN9rocsparseL26csrgemm_fill_block_per_rowILj1024ELj32ELj2048ELj137ELj32Ell21rocsparse_complex_numIdEEEvT5_PKS3_S5_NS_24const_host_device_scalarIT6_EEPKT4_S5_PKS7_SB_S5_SD_S8_SB_S5_SD_SB_PS3_PS7_21rocsparse_index_base_SG_SG_SG_bbb
; %bb.0:
	s_clause 0x3
	s_load_b32 s27, s[0:1], 0xa8
	s_load_b128 s[4:7], s[0:1], 0x18
	s_load_b128 s[16:19], s[0:1], 0x58
	;; [unrolled: 1-line block ×3, first 2 shown]
	v_mov_b32_e32 v1, 0
	v_mov_b32_e32 v2, 0
	s_mov_b32 s24, s15
	s_waitcnt lgkmcnt(0)
	s_bitcmp1_b32 s27, 0
	v_mov_b32_e32 v3, s4
	s_cselect_b32 s26, -1, 0
	s_bitcmp1_b32 s27, 16
	v_dual_mov_b32 v6, v2 :: v_dual_mov_b32 v5, v1
	s_cselect_b32 s2, -1, 0
	v_mov_b32_e32 v4, s5
	s_xor_b32 s25, s2, -1
	v_dual_mov_b32 v9, s16 :: v_dual_mov_b32 v10, s17
	v_cndmask_b32_e64 v7, 0, 1, s25
	s_bitcmp0_b32 s27, 0
	s_clause 0x1
	scratch_store_b64 off, v[3:4], off offset:16
	scratch_store_b64 off, v[9:10], off offset:24
	v_cmp_ne_u32_e32 vcc_lo, 1, v7
	v_dual_mov_b32 v8, v2 :: v_dual_mov_b32 v7, v1
	s_cbranch_scc1 .LBB162_3
; %bb.1:
	s_mov_b64 s[8:9], src_private_base
	s_and_b32 s3, s2, exec_lo
	s_cselect_b32 s3, s9, s5
	s_delay_alu instid0(SALU_CYCLE_1) | instskip(SKIP_2) | instid1(VALU_DEP_2)
	v_dual_mov_b32 v3, 16 :: v_dual_mov_b32 v4, s3
	v_dual_mov_b32 v8, s7 :: v_dual_mov_b32 v7, s6
	s_and_b32 vcc_lo, exec_lo, vcc_lo
	v_cndmask_b32_e64 v3, s4, v3, s2
	flat_load_b64 v[5:6], v[3:4]
	s_cbranch_vccnz .LBB162_3
; %bb.2:
	v_dual_mov_b32 v3, s4 :: v_dual_mov_b32 v4, s5
	flat_load_b64 v[7:8], v[3:4] offset:8
.LBB162_3:
	s_clause 0x4
	s_load_b128 s[48:51], s[0:1], 0x88
	s_load_b256 s[36:43], s[0:1], 0x68
	s_load_b128 s[12:15], s[0:1], 0x48
	s_load_b128 s[20:23], s[0:1], 0x8
	s_load_b256 s[4:11], s[0:1], 0x28
	s_bitcmp1_b32 s27, 8
	v_dual_mov_b32 v4, v2 :: v_dual_mov_b32 v3, v1
	s_cselect_b32 s3, -1, 0
	s_bfe_u32 s27, s27, 0x10008
	s_delay_alu instid0(SALU_CYCLE_1)
	s_cmp_eq_u32 s27, 0
	s_cbranch_scc1 .LBB162_6
; %bb.4:
	s_mov_b64 s[28:29], src_private_base
	s_and_b32 s27, s2, exec_lo
	s_cselect_b32 s27, s29, s17
	s_delay_alu instid0(SALU_CYCLE_1) | instskip(SKIP_1) | instid1(VALU_DEP_1)
	v_dual_mov_b32 v1, 24 :: v_dual_mov_b32 v2, s27
	s_and_not1_b32 vcc_lo, exec_lo, s25
	v_cndmask_b32_e64 v1, s16, v1, s2
	flat_load_b64 v[3:4], v[1:2]
	v_dual_mov_b32 v1, s18 :: v_dual_mov_b32 v2, s19
	s_cbranch_vccnz .LBB162_6
; %bb.5:
	v_dual_mov_b32 v1, s16 :: v_dual_mov_b32 v2, s17
	flat_load_b64 v[1:2], v[1:2] offset:8
.LBB162_6:
	s_load_b64 s[34:35], s[0:1], 0x0
	s_mov_b32 s0, 0
	v_or_b32_e32 v27, 0xfffffc00, v0
	s_mov_b32 s1, s0
	s_delay_alu instid0(SALU_CYCLE_1) | instskip(SKIP_3) | instid1(VALU_DEP_2)
	v_dual_mov_b32 v10, s1 :: v_dual_lshlrev_b32 v11, 4, v0
	v_lshl_add_u32 v28, v0, 3, 0
	s_mov_b32 s16, s0
	s_mov_b32 s17, s0
	v_add3_u32 v29, v11, 0, 0x4000
	v_dual_mov_b32 v11, s16 :: v_dual_mov_b32 v16, v27
	v_dual_mov_b32 v9, s0 :: v_dual_mov_b32 v12, s17
	v_mov_b32_e32 v15, v28
	s_delay_alu instid0(VALU_DEP_4)
	v_mov_b32_e32 v17, v29
	s_waitcnt lgkmcnt(0)
	v_dual_mov_b32 v13, s34 :: v_dual_mov_b32 v14, s35
.LBB162_7:                              ; =>This Inner Loop Header: Depth=1
	v_add_co_u32 v16, s1, 0x400, v16
	s_delay_alu instid0(VALU_DEP_1)
	s_xor_b32 s1, s1, -1
	ds_store_b64 v15, v[13:14]
	ds_store_2addr_b64 v17, v[9:10], v[11:12] offset1:1
	v_add_nc_u32_e32 v17, 0x4000, v17
	v_add_nc_u32_e32 v15, 0x2000, v15
	s_and_b32 s1, exec_lo, s1
	s_delay_alu instid0(SALU_CYCLE_1) | instskip(NEXT) | instid1(SALU_CYCLE_1)
	s_or_b32 s0, s1, s0
	s_and_not1_b32 exec_lo, exec_lo, s0
	s_cbranch_execnz .LBB162_7
; %bb.8:
	s_or_b32 exec_lo, exec_lo, s0
	s_waitcnt vmcnt(0) lgkmcnt(0)
	s_waitcnt_vscnt null, 0x0
	s_barrier
	buffer_gl0_inv
	s_load_b64 s[0:1], s[20:21], 0x0
	s_mov_b32 s25, 0
	v_lshrrev_b32_e32 v30, 5, v0
	s_waitcnt lgkmcnt(0)
	s_lshl_b64 s[0:1], s[0:1], 3
	s_delay_alu instid0(SALU_CYCLE_1) | instskip(SKIP_2) | instid1(SALU_CYCLE_1)
	s_add_u32 s2, s22, s0
	s_addc_u32 s16, s23, s1
	s_lshl_b64 s[0:1], s[24:25], 3
	s_add_u32 s0, s2, s0
	s_addc_u32 s1, s16, s1
	s_and_b32 vcc_lo, exec_lo, s26
	s_load_b64 s[52:53], s[0:1], 0x0
	s_cbranch_vccz .LBB162_36
; %bb.9:
	s_waitcnt lgkmcnt(0)
	s_lshl_b64 s[0:1], s[52:53], 3
	s_mov_b32 s2, exec_lo
	s_add_u32 s0, s4, s0
	s_addc_u32 s1, s5, s1
	s_load_b128 s[16:19], s[0:1], 0x0
	v_sub_co_u32 v9, s0, v30, s44
	s_delay_alu instid0(VALU_DEP_1) | instskip(SKIP_1) | instid1(VALU_DEP_2)
	v_sub_co_ci_u32_e64 v10, null, 0, 0, s0
	s_waitcnt lgkmcnt(0)
	v_add_co_u32 v9, vcc_lo, s16, v9
	s_delay_alu instid0(VALU_DEP_2)
	v_add_co_ci_u32_e32 v10, vcc_lo, s17, v10, vcc_lo
	s_sub_u32 s0, s18, s44
	s_subb_u32 s1, s19, 0
	s_delay_alu instid0(VALU_DEP_1) | instid1(SALU_CYCLE_1)
	v_cmpx_gt_i64_e64 s[0:1], v[9:10]
	s_cbranch_execz .LBB162_35
; %bb.10:
	v_and_b32_e32 v11, 31, v0
	s_mov_b32 s5, s45
	s_delay_alu instid0(VALU_DEP_1) | instskip(NEXT) | instid1(VALU_DEP_1)
	v_sub_co_u32 v31, s4, v11, s45
	v_sub_co_ci_u32_e64 v32, null, 0, 0, s4
	s_mov_b32 s4, 0
	s_branch .LBB162_12
.LBB162_11:                             ;   in Loop: Header=BB162_12 Depth=1
	s_or_b32 exec_lo, exec_lo, s16
	v_add_co_u32 v9, vcc_lo, v9, 32
	v_add_co_ci_u32_e32 v10, vcc_lo, 0, v10, vcc_lo
	s_delay_alu instid0(VALU_DEP_1) | instskip(SKIP_1) | instid1(SALU_CYCLE_1)
	v_cmp_le_i64_e32 vcc_lo, s[0:1], v[9:10]
	s_or_b32 s4, vcc_lo, s4
	s_and_not1_b32 exec_lo, exec_lo, s4
	s_cbranch_execz .LBB162_35
.LBB162_12:                             ; =>This Loop Header: Depth=1
                                        ;     Child Loop BB162_15 Depth 2
                                        ;       Child Loop BB162_17 Depth 3
                                        ;         Child Loop BB162_23 Depth 4
                                        ;         Child Loop BB162_25 Depth 4
	;; [unrolled: 1-line block ×4, first 2 shown]
	v_lshlrev_b64 v[11:12], 3, v[9:10]
	s_mov_b32 s16, exec_lo
	s_delay_alu instid0(VALU_DEP_1) | instskip(NEXT) | instid1(VALU_DEP_2)
	v_add_co_u32 v11, vcc_lo, s6, v11
	v_add_co_ci_u32_e32 v12, vcc_lo, s7, v12, vcc_lo
	global_load_b64 v[11:12], v[11:12], off
	s_waitcnt vmcnt(0)
	v_sub_co_u32 v11, vcc_lo, v11, s44
	v_subrev_co_ci_u32_e32 v12, vcc_lo, 0, v12, vcc_lo
	s_delay_alu instid0(VALU_DEP_1) | instskip(NEXT) | instid1(VALU_DEP_1)
	v_lshlrev_b64 v[11:12], 3, v[11:12]
	v_add_co_u32 v11, vcc_lo, s10, v11
	s_delay_alu instid0(VALU_DEP_2)
	v_add_co_ci_u32_e32 v12, vcc_lo, s11, v12, vcc_lo
	global_load_b128 v[13:16], v[11:12], off
	s_waitcnt vmcnt(0)
	v_sub_co_u32 v11, vcc_lo, v15, s5
	v_subrev_co_ci_u32_e32 v12, vcc_lo, 0, v16, vcc_lo
	v_add_co_u32 v13, vcc_lo, v13, v31
	v_add_co_ci_u32_e32 v14, vcc_lo, v14, v32, vcc_lo
	s_delay_alu instid0(VALU_DEP_1)
	v_cmpx_lt_i64_e64 v[13:14], v[11:12]
	s_cbranch_execz .LBB162_11
; %bb.13:                               ;   in Loop: Header=BB162_12 Depth=1
	v_lshlrev_b64 v[15:16], 4, v[9:10]
	s_mov_b32 s17, 0
	s_delay_alu instid0(VALU_DEP_1) | instskip(NEXT) | instid1(VALU_DEP_2)
	v_add_co_u32 v15, vcc_lo, s8, v15
	v_add_co_ci_u32_e32 v16, vcc_lo, s9, v16, vcc_lo
	global_load_b128 v[17:20], v[15:16], off
	s_waitcnt vmcnt(0)
	v_mul_f64 v[15:16], v[19:20], -v[7:8]
	v_mul_f64 v[19:20], v[5:6], v[19:20]
	s_delay_alu instid0(VALU_DEP_2) | instskip(NEXT) | instid1(VALU_DEP_2)
	v_fma_f64 v[15:16], v[5:6], v[17:18], v[15:16]
	v_fma_f64 v[17:18], v[7:8], v[17:18], v[19:20]
	s_branch .LBB162_15
.LBB162_14:                             ;   in Loop: Header=BB162_15 Depth=2
	s_or_b32 exec_lo, exec_lo, s18
	v_add_co_u32 v13, vcc_lo, v13, 32
	v_add_co_ci_u32_e32 v14, vcc_lo, 0, v14, vcc_lo
	s_delay_alu instid0(VALU_DEP_1) | instskip(SKIP_1) | instid1(SALU_CYCLE_1)
	v_cmp_ge_i64_e32 vcc_lo, v[13:14], v[11:12]
	s_or_b32 s17, vcc_lo, s17
	s_and_not1_b32 exec_lo, exec_lo, s17
	s_cbranch_execz .LBB162_11
.LBB162_15:                             ;   Parent Loop BB162_12 Depth=1
                                        ; =>  This Loop Header: Depth=2
                                        ;       Child Loop BB162_17 Depth 3
                                        ;         Child Loop BB162_23 Depth 4
                                        ;         Child Loop BB162_25 Depth 4
	;; [unrolled: 1-line block ×4, first 2 shown]
	v_lshlrev_b64 v[19:20], 4, v[13:14]
	s_mov_b32 s18, 0
	s_delay_alu instid0(VALU_DEP_1) | instskip(NEXT) | instid1(VALU_DEP_2)
	v_add_co_u32 v19, vcc_lo, s14, v19
	v_add_co_ci_u32_e32 v20, vcc_lo, s15, v20, vcc_lo
	global_load_b128 v[21:24], v[19:20], off
	v_lshlrev_b64 v[19:20], 3, v[13:14]
	s_delay_alu instid0(VALU_DEP_1) | instskip(NEXT) | instid1(VALU_DEP_2)
	v_add_co_u32 v19, vcc_lo, s12, v19
	v_add_co_ci_u32_e32 v20, vcc_lo, s13, v20, vcc_lo
	global_load_b64 v[25:26], v[19:20], off
	s_waitcnt vmcnt(1)
	v_mul_f64 v[19:20], v[23:24], -v[17:18]
	v_mul_f64 v[23:24], v[15:16], v[23:24]
	s_delay_alu instid0(VALU_DEP_2) | instskip(NEXT) | instid1(VALU_DEP_2)
	v_fma_f64 v[19:20], v[15:16], v[21:22], v[19:20]
	v_fma_f64 v[21:22], v[17:18], v[21:22], v[23:24]
	s_waitcnt vmcnt(0)
	v_sub_co_u32 v23, vcc_lo, v25, s5
	v_subrev_co_ci_u32_e32 v24, vcc_lo, 0, v26, vcc_lo
	s_delay_alu instid0(VALU_DEP_2) | instskip(NEXT) | instid1(VALU_DEP_1)
	v_mul_lo_u32 v25, 0x89, v23
	v_and_b32_e32 v33, 0x7ff, v25
	s_branch .LBB162_17
.LBB162_16:                             ;   in Loop: Header=BB162_17 Depth=3
	s_or_b32 exec_lo, exec_lo, s19
	s_xor_b32 s19, s20, -1
	s_delay_alu instid0(SALU_CYCLE_1) | instskip(NEXT) | instid1(SALU_CYCLE_1)
	s_and_b32 s19, exec_lo, s19
	s_or_b32 s18, s19, s18
	s_delay_alu instid0(SALU_CYCLE_1)
	s_and_not1_b32 exec_lo, exec_lo, s18
	s_cbranch_execz .LBB162_14
.LBB162_17:                             ;   Parent Loop BB162_12 Depth=1
                                        ;     Parent Loop BB162_15 Depth=2
                                        ; =>    This Loop Header: Depth=3
                                        ;         Child Loop BB162_23 Depth 4
                                        ;         Child Loop BB162_25 Depth 4
	;; [unrolled: 1-line block ×4, first 2 shown]
	s_delay_alu instid0(VALU_DEP_1)
	v_lshl_add_u32 v34, v33, 3, 0
	s_mov_b32 s19, exec_lo
                                        ; implicit-def: $sgpr20
	ds_load_b64 v[25:26], v34
	s_waitcnt lgkmcnt(0)
	v_cmpx_ne_u64_e64 v[25:26], v[23:24]
	s_xor_b32 s19, exec_lo, s19
	s_cbranch_execz .LBB162_29
; %bb.18:                               ;   in Loop: Header=BB162_17 Depth=3
	s_mov_b32 s21, exec_lo
                                        ; implicit-def: $sgpr20
	v_cmpx_ne_u64_e64 s[34:35], v[25:26]
	s_xor_b32 s21, exec_lo, s21
; %bb.19:                               ;   in Loop: Header=BB162_17 Depth=3
	v_add_nc_u32_e32 v25, 1, v33
	s_mov_b32 s20, -1
                                        ; implicit-def: $vgpr34
	s_delay_alu instid0(VALU_DEP_1)
	v_and_b32_e32 v33, 0x7ff, v25
; %bb.20:                               ;   in Loop: Header=BB162_17 Depth=3
	s_and_not1_saveexec_b32 s21, s21
	s_cbranch_execz .LBB162_28
; %bb.21:                               ;   in Loop: Header=BB162_17 Depth=3
	v_dual_mov_b32 v25, s34 :: v_dual_mov_b32 v26, s35
	s_mov_b32 s23, -1
	s_mov_b32 s22, exec_lo
	ds_cmpstore_rtn_b64 v[25:26], v34, v[23:24], v[25:26]
	s_waitcnt lgkmcnt(0)
	v_cmpx_eq_u64_e64 s[34:35], v[25:26]
	s_cbranch_execz .LBB162_27
; %bb.22:                               ;   in Loop: Header=BB162_17 Depth=3
	v_lshlrev_b32_e32 v25, 3, v33
	s_mov_b32 s23, 0
	s_delay_alu instid0(VALU_DEP_1)
	v_add_nc_u32_e32 v34, v34, v25
	ds_load_b64 v[25:26], v34 offset:16384
.LBB162_23:                             ;   Parent Loop BB162_12 Depth=1
                                        ;     Parent Loop BB162_15 Depth=2
                                        ;       Parent Loop BB162_17 Depth=3
                                        ; =>      This Inner Loop Header: Depth=4
	s_waitcnt lgkmcnt(0)
	v_add_f64 v[35:36], v[25:26], v[19:20]
	ds_cmpstore_rtn_b64 v[35:36], v34, v[35:36], v[25:26] offset:16384
	s_waitcnt lgkmcnt(0)
	v_cmp_eq_u64_e32 vcc_lo, v[35:36], v[25:26]
	v_dual_mov_b32 v25, v35 :: v_dual_mov_b32 v26, v36
	s_or_b32 s23, vcc_lo, s23
	s_delay_alu instid0(SALU_CYCLE_1)
	s_and_not1_b32 exec_lo, exec_lo, s23
	s_cbranch_execnz .LBB162_23
; %bb.24:                               ;   in Loop: Header=BB162_17 Depth=3
	s_or_b32 exec_lo, exec_lo, s23
	ds_load_b64 v[25:26], v34 offset:16392
	s_mov_b32 s23, 0
.LBB162_25:                             ;   Parent Loop BB162_12 Depth=1
                                        ;     Parent Loop BB162_15 Depth=2
                                        ;       Parent Loop BB162_17 Depth=3
                                        ; =>      This Inner Loop Header: Depth=4
	s_waitcnt lgkmcnt(0)
	v_add_f64 v[35:36], v[25:26], v[21:22]
	ds_cmpstore_rtn_b64 v[35:36], v34, v[35:36], v[25:26] offset:16392
	s_waitcnt lgkmcnt(0)
	v_cmp_eq_u64_e32 vcc_lo, v[35:36], v[25:26]
	v_dual_mov_b32 v25, v35 :: v_dual_mov_b32 v26, v36
	s_or_b32 s23, vcc_lo, s23
	s_delay_alu instid0(SALU_CYCLE_1)
	s_and_not1_b32 exec_lo, exec_lo, s23
	s_cbranch_execnz .LBB162_25
; %bb.26:                               ;   in Loop: Header=BB162_17 Depth=3
	s_or_b32 exec_lo, exec_lo, s23
	s_delay_alu instid0(SALU_CYCLE_1)
	s_xor_b32 s23, exec_lo, -1
.LBB162_27:                             ;   in Loop: Header=BB162_17 Depth=3
	s_or_b32 exec_lo, exec_lo, s22
	s_delay_alu instid0(SALU_CYCLE_1) | instskip(SKIP_1) | instid1(SALU_CYCLE_1)
	s_and_not1_b32 s20, s20, exec_lo
	s_and_b32 s22, s23, exec_lo
	s_or_b32 s20, s20, s22
.LBB162_28:                             ;   in Loop: Header=BB162_17 Depth=3
	s_or_b32 exec_lo, exec_lo, s21
	s_delay_alu instid0(SALU_CYCLE_1)
	s_and_b32 s20, s20, exec_lo
                                        ; implicit-def: $vgpr34
.LBB162_29:                             ;   in Loop: Header=BB162_17 Depth=3
	s_and_not1_saveexec_b32 s19, s19
	s_cbranch_execz .LBB162_16
; %bb.30:                               ;   in Loop: Header=BB162_17 Depth=3
	v_lshlrev_b32_e32 v25, 3, v33
	s_mov_b32 s21, 0
	s_delay_alu instid0(VALU_DEP_1)
	v_add_nc_u32_e32 v34, v34, v25
	ds_load_b64 v[25:26], v34 offset:16384
.LBB162_31:                             ;   Parent Loop BB162_12 Depth=1
                                        ;     Parent Loop BB162_15 Depth=2
                                        ;       Parent Loop BB162_17 Depth=3
                                        ; =>      This Inner Loop Header: Depth=4
	s_waitcnt lgkmcnt(0)
	v_add_f64 v[35:36], v[25:26], v[19:20]
	ds_cmpstore_rtn_b64 v[35:36], v34, v[35:36], v[25:26] offset:16384
	s_waitcnt lgkmcnt(0)
	v_cmp_eq_u64_e32 vcc_lo, v[35:36], v[25:26]
	v_dual_mov_b32 v25, v35 :: v_dual_mov_b32 v26, v36
	s_or_b32 s21, vcc_lo, s21
	s_delay_alu instid0(SALU_CYCLE_1)
	s_and_not1_b32 exec_lo, exec_lo, s21
	s_cbranch_execnz .LBB162_31
; %bb.32:                               ;   in Loop: Header=BB162_17 Depth=3
	s_or_b32 exec_lo, exec_lo, s21
	ds_load_b64 v[25:26], v34 offset:16392
	s_mov_b32 s21, 0
.LBB162_33:                             ;   Parent Loop BB162_12 Depth=1
                                        ;     Parent Loop BB162_15 Depth=2
                                        ;       Parent Loop BB162_17 Depth=3
                                        ; =>      This Inner Loop Header: Depth=4
	s_waitcnt lgkmcnt(0)
	v_add_f64 v[35:36], v[25:26], v[21:22]
	ds_cmpstore_rtn_b64 v[35:36], v34, v[35:36], v[25:26] offset:16392
	s_waitcnt lgkmcnt(0)
	v_cmp_eq_u64_e32 vcc_lo, v[35:36], v[25:26]
	v_dual_mov_b32 v25, v35 :: v_dual_mov_b32 v26, v36
	s_or_b32 s21, vcc_lo, s21
	s_delay_alu instid0(SALU_CYCLE_1)
	s_and_not1_b32 exec_lo, exec_lo, s21
	s_cbranch_execnz .LBB162_33
; %bb.34:                               ;   in Loop: Header=BB162_17 Depth=3
	s_or_b32 exec_lo, exec_lo, s21
	s_delay_alu instid0(SALU_CYCLE_1)
	s_and_not1_b32 s20, s20, exec_lo
	s_branch .LBB162_16
.LBB162_35:
	s_or_b32 exec_lo, exec_lo, s2
.LBB162_36:
	s_delay_alu instid0(SALU_CYCLE_1)
	s_and_not1_b32 vcc_lo, exec_lo, s3
	s_cbranch_vccnz .LBB162_61
; %bb.37:
	s_waitcnt lgkmcnt(0)
	s_lshl_b64 s[0:1], s[52:53], 3
	v_sub_co_u32 v5, s4, v0, s47
	s_add_u32 s0, s36, s0
	s_addc_u32 s1, s37, s1
	v_sub_co_ci_u32_e64 v6, null, 0, 0, s4
	s_load_b128 s[0:3], s[0:1], 0x0
	s_waitcnt lgkmcnt(0)
	v_add_co_u32 v5, vcc_lo, s0, v5
	s_delay_alu instid0(VALU_DEP_2)
	v_add_co_ci_u32_e32 v6, vcc_lo, s1, v6, vcc_lo
	s_sub_u32 s0, s2, s47
	s_subb_u32 s1, s3, 0
	s_mov_b32 s2, 0
	s_mov_b32 s3, exec_lo
	v_cmpx_gt_i64_e64 s[0:1], v[5:6]
	s_cbranch_execz .LBB162_60
; %bb.38:
	s_mov_b32 s4, s47
	s_branch .LBB162_40
.LBB162_39:                             ;   in Loop: Header=BB162_40 Depth=1
	s_or_b32 exec_lo, exec_lo, s5
	v_add_co_u32 v5, vcc_lo, 0x400, v5
	v_add_co_ci_u32_e32 v6, vcc_lo, 0, v6, vcc_lo
	s_delay_alu instid0(VALU_DEP_1) | instskip(SKIP_1) | instid1(SALU_CYCLE_1)
	v_cmp_le_i64_e32 vcc_lo, s[0:1], v[5:6]
	s_or_b32 s2, vcc_lo, s2
	s_and_not1_b32 exec_lo, exec_lo, s2
	s_cbranch_execz .LBB162_60
.LBB162_40:                             ; =>This Loop Header: Depth=1
                                        ;     Child Loop BB162_42 Depth 2
                                        ;       Child Loop BB162_48 Depth 3
                                        ;       Child Loop BB162_50 Depth 3
	;; [unrolled: 1-line block ×4, first 2 shown]
	v_lshlrev_b64 v[7:8], 4, v[5:6]
	s_mov_b32 s5, 0
	s_delay_alu instid0(VALU_DEP_1) | instskip(NEXT) | instid1(VALU_DEP_2)
	v_add_co_u32 v7, vcc_lo, s40, v7
	v_add_co_ci_u32_e32 v8, vcc_lo, s41, v8, vcc_lo
	global_load_b128 v[9:12], v[7:8], off
	v_lshlrev_b64 v[7:8], 3, v[5:6]
	s_delay_alu instid0(VALU_DEP_1) | instskip(NEXT) | instid1(VALU_DEP_2)
	v_add_co_u32 v7, vcc_lo, s38, v7
	v_add_co_ci_u32_e32 v8, vcc_lo, s39, v8, vcc_lo
	global_load_b64 v[13:14], v[7:8], off
	s_waitcnt vmcnt(1)
	v_mul_f64 v[7:8], v[11:12], -v[1:2]
	v_mul_f64 v[11:12], v[3:4], v[11:12]
	s_delay_alu instid0(VALU_DEP_2) | instskip(NEXT) | instid1(VALU_DEP_2)
	v_fma_f64 v[7:8], v[3:4], v[9:10], v[7:8]
	v_fma_f64 v[9:10], v[1:2], v[9:10], v[11:12]
	s_waitcnt vmcnt(0)
	v_sub_co_u32 v11, vcc_lo, v13, s4
	v_subrev_co_ci_u32_e32 v12, vcc_lo, 0, v14, vcc_lo
	s_delay_alu instid0(VALU_DEP_2) | instskip(NEXT) | instid1(VALU_DEP_1)
	v_mul_lo_u32 v13, 0x89, v11
	v_and_b32_e32 v15, 0x7ff, v13
	s_branch .LBB162_42
.LBB162_41:                             ;   in Loop: Header=BB162_42 Depth=2
	s_or_b32 exec_lo, exec_lo, s6
	s_xor_b32 s6, s7, -1
	s_delay_alu instid0(SALU_CYCLE_1) | instskip(NEXT) | instid1(SALU_CYCLE_1)
	s_and_b32 s6, exec_lo, s6
	s_or_b32 s5, s6, s5
	s_delay_alu instid0(SALU_CYCLE_1)
	s_and_not1_b32 exec_lo, exec_lo, s5
	s_cbranch_execz .LBB162_39
.LBB162_42:                             ;   Parent Loop BB162_40 Depth=1
                                        ; =>  This Loop Header: Depth=2
                                        ;       Child Loop BB162_48 Depth 3
                                        ;       Child Loop BB162_50 Depth 3
                                        ;       Child Loop BB162_56 Depth 3
                                        ;       Child Loop BB162_58 Depth 3
	s_delay_alu instid0(VALU_DEP_1)
	v_lshl_add_u32 v16, v15, 3, 0
	s_mov_b32 s6, exec_lo
                                        ; implicit-def: $sgpr7
	ds_load_b64 v[13:14], v16
	s_waitcnt lgkmcnt(0)
	v_cmpx_ne_u64_e64 v[13:14], v[11:12]
	s_xor_b32 s6, exec_lo, s6
	s_cbranch_execz .LBB162_54
; %bb.43:                               ;   in Loop: Header=BB162_42 Depth=2
	s_mov_b32 s8, exec_lo
                                        ; implicit-def: $sgpr7
	v_cmpx_ne_u64_e64 s[34:35], v[13:14]
	s_xor_b32 s8, exec_lo, s8
; %bb.44:                               ;   in Loop: Header=BB162_42 Depth=2
	v_add_nc_u32_e32 v13, 1, v15
	s_mov_b32 s7, -1
                                        ; implicit-def: $vgpr16
	s_delay_alu instid0(VALU_DEP_1)
	v_and_b32_e32 v15, 0x7ff, v13
; %bb.45:                               ;   in Loop: Header=BB162_42 Depth=2
	s_and_not1_saveexec_b32 s8, s8
	s_cbranch_execz .LBB162_53
; %bb.46:                               ;   in Loop: Header=BB162_42 Depth=2
	v_dual_mov_b32 v13, s34 :: v_dual_mov_b32 v14, s35
	s_mov_b32 s10, -1
	s_mov_b32 s9, exec_lo
	ds_cmpstore_rtn_b64 v[13:14], v16, v[11:12], v[13:14]
	s_waitcnt lgkmcnt(0)
	v_cmpx_eq_u64_e64 s[34:35], v[13:14]
	s_cbranch_execz .LBB162_52
; %bb.47:                               ;   in Loop: Header=BB162_42 Depth=2
	v_lshlrev_b32_e32 v13, 3, v15
	s_mov_b32 s10, 0
	s_delay_alu instid0(VALU_DEP_1)
	v_add_nc_u32_e32 v16, v16, v13
	ds_load_b64 v[13:14], v16 offset:16384
.LBB162_48:                             ;   Parent Loop BB162_40 Depth=1
                                        ;     Parent Loop BB162_42 Depth=2
                                        ; =>    This Inner Loop Header: Depth=3
	s_waitcnt lgkmcnt(0)
	v_add_f64 v[17:18], v[13:14], v[7:8]
	ds_cmpstore_rtn_b64 v[17:18], v16, v[17:18], v[13:14] offset:16384
	s_waitcnt lgkmcnt(0)
	v_cmp_eq_u64_e32 vcc_lo, v[17:18], v[13:14]
	v_dual_mov_b32 v13, v17 :: v_dual_mov_b32 v14, v18
	s_or_b32 s10, vcc_lo, s10
	s_delay_alu instid0(SALU_CYCLE_1)
	s_and_not1_b32 exec_lo, exec_lo, s10
	s_cbranch_execnz .LBB162_48
; %bb.49:                               ;   in Loop: Header=BB162_42 Depth=2
	s_or_b32 exec_lo, exec_lo, s10
	ds_load_b64 v[13:14], v16 offset:16392
	s_mov_b32 s10, 0
.LBB162_50:                             ;   Parent Loop BB162_40 Depth=1
                                        ;     Parent Loop BB162_42 Depth=2
                                        ; =>    This Inner Loop Header: Depth=3
	s_waitcnt lgkmcnt(0)
	v_add_f64 v[17:18], v[13:14], v[9:10]
	ds_cmpstore_rtn_b64 v[17:18], v16, v[17:18], v[13:14] offset:16392
	s_waitcnt lgkmcnt(0)
	v_cmp_eq_u64_e32 vcc_lo, v[17:18], v[13:14]
	v_dual_mov_b32 v13, v17 :: v_dual_mov_b32 v14, v18
	s_or_b32 s10, vcc_lo, s10
	s_delay_alu instid0(SALU_CYCLE_1)
	s_and_not1_b32 exec_lo, exec_lo, s10
	s_cbranch_execnz .LBB162_50
; %bb.51:                               ;   in Loop: Header=BB162_42 Depth=2
	s_or_b32 exec_lo, exec_lo, s10
	s_delay_alu instid0(SALU_CYCLE_1)
	s_xor_b32 s10, exec_lo, -1
.LBB162_52:                             ;   in Loop: Header=BB162_42 Depth=2
	s_or_b32 exec_lo, exec_lo, s9
	s_delay_alu instid0(SALU_CYCLE_1) | instskip(SKIP_1) | instid1(SALU_CYCLE_1)
	s_and_not1_b32 s7, s7, exec_lo
	s_and_b32 s9, s10, exec_lo
	s_or_b32 s7, s7, s9
.LBB162_53:                             ;   in Loop: Header=BB162_42 Depth=2
	s_or_b32 exec_lo, exec_lo, s8
	s_delay_alu instid0(SALU_CYCLE_1)
	s_and_b32 s7, s7, exec_lo
                                        ; implicit-def: $vgpr16
.LBB162_54:                             ;   in Loop: Header=BB162_42 Depth=2
	s_and_not1_saveexec_b32 s6, s6
	s_cbranch_execz .LBB162_41
; %bb.55:                               ;   in Loop: Header=BB162_42 Depth=2
	v_lshlrev_b32_e32 v13, 3, v15
	s_mov_b32 s8, 0
	s_delay_alu instid0(VALU_DEP_1)
	v_add_nc_u32_e32 v16, v16, v13
	ds_load_b64 v[13:14], v16 offset:16384
.LBB162_56:                             ;   Parent Loop BB162_40 Depth=1
                                        ;     Parent Loop BB162_42 Depth=2
                                        ; =>    This Inner Loop Header: Depth=3
	s_waitcnt lgkmcnt(0)
	v_add_f64 v[17:18], v[13:14], v[7:8]
	ds_cmpstore_rtn_b64 v[17:18], v16, v[17:18], v[13:14] offset:16384
	s_waitcnt lgkmcnt(0)
	v_cmp_eq_u64_e32 vcc_lo, v[17:18], v[13:14]
	v_dual_mov_b32 v13, v17 :: v_dual_mov_b32 v14, v18
	s_or_b32 s8, vcc_lo, s8
	s_delay_alu instid0(SALU_CYCLE_1)
	s_and_not1_b32 exec_lo, exec_lo, s8
	s_cbranch_execnz .LBB162_56
; %bb.57:                               ;   in Loop: Header=BB162_42 Depth=2
	s_or_b32 exec_lo, exec_lo, s8
	ds_load_b64 v[13:14], v16 offset:16392
	s_mov_b32 s8, 0
.LBB162_58:                             ;   Parent Loop BB162_40 Depth=1
                                        ;     Parent Loop BB162_42 Depth=2
                                        ; =>    This Inner Loop Header: Depth=3
	s_waitcnt lgkmcnt(0)
	v_add_f64 v[17:18], v[13:14], v[9:10]
	ds_cmpstore_rtn_b64 v[17:18], v16, v[17:18], v[13:14] offset:16392
	s_waitcnt lgkmcnt(0)
	v_cmp_eq_u64_e32 vcc_lo, v[17:18], v[13:14]
	v_dual_mov_b32 v13, v17 :: v_dual_mov_b32 v14, v18
	s_or_b32 s8, vcc_lo, s8
	s_delay_alu instid0(SALU_CYCLE_1)
	s_and_not1_b32 exec_lo, exec_lo, s8
	s_cbranch_execnz .LBB162_58
; %bb.59:                               ;   in Loop: Header=BB162_42 Depth=2
	s_or_b32 exec_lo, exec_lo, s8
	s_delay_alu instid0(SALU_CYCLE_1)
	s_and_not1_b32 s7, s7, exec_lo
	s_branch .LBB162_41
.LBB162_60:
	s_or_b32 exec_lo, exec_lo, s3
.LBB162_61:
	v_mbcnt_lo_u32_b32 v1, -1, 0
	v_lshl_add_u32 v10, v30, 3, 0
	v_cmp_eq_u32_e32 vcc_lo, 0x3ff, v0
	v_cmp_lt_u32_e64 s0, 31, v0
	v_cmp_lt_u32_e64 s1, 63, v0
	v_xor_b32_e32 v1, 63, v1
	v_cmp_lt_u32_e64 s2, 0x5f, v0
	v_cmp_lt_u32_e64 s3, 0x7f, v0
	;; [unrolled: 1-line block ×4, first 2 shown]
	v_lshrrev_b64 v[1:2], v1, -1
	v_dual_mov_b32 v2, 0 :: v_dual_mov_b32 v5, 0
	v_cmp_lt_u32_e64 s6, 0xdf, v0
	v_cmp_lt_u32_e64 s7, 0xff, v0
	;; [unrolled: 1-line block ×25, first 2 shown]
	v_mov_b32_e32 v3, 0
	s_mov_b32 s33, 0
	s_waitcnt lgkmcnt(0)
	s_barrier
	buffer_gl0_inv
	s_branch .LBB162_63
.LBB162_62:                             ;   in Loop: Header=BB162_63 Depth=1
	s_or_b32 exec_lo, exec_lo, s31
	s_waitcnt lgkmcnt(0)
	s_barrier
	buffer_gl0_inv
	ds_load_b64 v[6:7], v5 offset:49400
	v_add_co_u32 v27, s31, 0x400, v27
	s_delay_alu instid0(VALU_DEP_1) | instskip(SKIP_4) | instid1(VALU_DEP_1)
	s_xor_b32 s36, s31, -1
	v_add_nc_u32_e32 v29, 0x4000, v29
	v_add_nc_u32_e32 v28, 0x2000, v28
	s_waitcnt lgkmcnt(0)
	v_add_co_u32 v2, s31, v6, v2
	v_add_co_ci_u32_e64 v3, s31, v7, v3, s31
	s_and_b32 s31, exec_lo, s36
	s_delay_alu instid0(SALU_CYCLE_1) | instskip(NEXT) | instid1(SALU_CYCLE_1)
	s_or_b32 s33, s31, s33
	s_and_not1_b32 exec_lo, exec_lo, s33
	s_cbranch_execz .LBB162_129
.LBB162_63:                             ; =>This Inner Loop Header: Depth=1
	ds_load_b64 v[6:7], v28
	ds_load_2addr_b64 v[11:14], v29 offset1:1
	s_waitcnt lgkmcnt(1)
	v_cmp_gt_i64_e64 s31, s[34:35], v[6:7]
	s_waitcnt lgkmcnt(0)
	scratch_store_b128 off, v[11:14], off
	s_waitcnt_vscnt null, 0x0
	s_barrier
	buffer_gl0_inv
	v_and_b32_e32 v8, s31, v1
	s_bcnt1_i32_b32 s36, s31
	s_delay_alu instid0(SALU_CYCLE_1) | instskip(NEXT) | instid1(VALU_DEP_2)
	v_mov_b32_e32 v4, s36
	v_bcnt_u32_b32 v8, v8, 0
	ds_store_b64 v10, v[4:5] offset:49152
	s_waitcnt lgkmcnt(0)
	s_barrier
	buffer_gl0_inv
	s_and_saveexec_b32 s36, s0
	s_cbranch_execnz .LBB162_96
; %bb.64:                               ;   in Loop: Header=BB162_63 Depth=1
	s_or_b32 exec_lo, exec_lo, s36
	s_and_saveexec_b32 s36, s1
	s_cbranch_execnz .LBB162_97
.LBB162_65:                             ;   in Loop: Header=BB162_63 Depth=1
	s_or_b32 exec_lo, exec_lo, s36
	s_and_saveexec_b32 s36, s2
	s_cbranch_execnz .LBB162_98
.LBB162_66:                             ;   in Loop: Header=BB162_63 Depth=1
	s_or_b32 exec_lo, exec_lo, s36
	s_and_saveexec_b32 s36, s3
	s_cbranch_execnz .LBB162_99
.LBB162_67:                             ;   in Loop: Header=BB162_63 Depth=1
	s_or_b32 exec_lo, exec_lo, s36
	s_and_saveexec_b32 s36, s4
	s_cbranch_execnz .LBB162_100
.LBB162_68:                             ;   in Loop: Header=BB162_63 Depth=1
	s_or_b32 exec_lo, exec_lo, s36
	s_and_saveexec_b32 s36, s5
	s_cbranch_execnz .LBB162_101
.LBB162_69:                             ;   in Loop: Header=BB162_63 Depth=1
	s_or_b32 exec_lo, exec_lo, s36
	s_and_saveexec_b32 s36, s6
	s_cbranch_execnz .LBB162_102
.LBB162_70:                             ;   in Loop: Header=BB162_63 Depth=1
	s_or_b32 exec_lo, exec_lo, s36
	s_and_saveexec_b32 s36, s7
	s_cbranch_execnz .LBB162_103
.LBB162_71:                             ;   in Loop: Header=BB162_63 Depth=1
	s_or_b32 exec_lo, exec_lo, s36
	s_and_saveexec_b32 s36, s8
	s_cbranch_execnz .LBB162_104
.LBB162_72:                             ;   in Loop: Header=BB162_63 Depth=1
	s_or_b32 exec_lo, exec_lo, s36
	s_and_saveexec_b32 s36, s9
	s_cbranch_execnz .LBB162_105
.LBB162_73:                             ;   in Loop: Header=BB162_63 Depth=1
	s_or_b32 exec_lo, exec_lo, s36
	s_and_saveexec_b32 s36, s10
	s_cbranch_execnz .LBB162_106
.LBB162_74:                             ;   in Loop: Header=BB162_63 Depth=1
	s_or_b32 exec_lo, exec_lo, s36
	s_and_saveexec_b32 s36, s11
	s_cbranch_execnz .LBB162_107
.LBB162_75:                             ;   in Loop: Header=BB162_63 Depth=1
	s_or_b32 exec_lo, exec_lo, s36
	s_and_saveexec_b32 s36, s12
	s_cbranch_execnz .LBB162_108
.LBB162_76:                             ;   in Loop: Header=BB162_63 Depth=1
	s_or_b32 exec_lo, exec_lo, s36
	s_and_saveexec_b32 s36, s13
	s_cbranch_execnz .LBB162_109
.LBB162_77:                             ;   in Loop: Header=BB162_63 Depth=1
	s_or_b32 exec_lo, exec_lo, s36
	s_and_saveexec_b32 s36, s14
	s_cbranch_execnz .LBB162_110
.LBB162_78:                             ;   in Loop: Header=BB162_63 Depth=1
	s_or_b32 exec_lo, exec_lo, s36
	s_and_saveexec_b32 s36, s15
	s_cbranch_execnz .LBB162_111
.LBB162_79:                             ;   in Loop: Header=BB162_63 Depth=1
	s_or_b32 exec_lo, exec_lo, s36
	s_and_saveexec_b32 s36, s16
	s_cbranch_execnz .LBB162_112
.LBB162_80:                             ;   in Loop: Header=BB162_63 Depth=1
	s_or_b32 exec_lo, exec_lo, s36
	s_and_saveexec_b32 s36, s17
	s_cbranch_execnz .LBB162_113
.LBB162_81:                             ;   in Loop: Header=BB162_63 Depth=1
	s_or_b32 exec_lo, exec_lo, s36
	s_and_saveexec_b32 s36, s18
	s_cbranch_execnz .LBB162_114
.LBB162_82:                             ;   in Loop: Header=BB162_63 Depth=1
	s_or_b32 exec_lo, exec_lo, s36
	s_and_saveexec_b32 s36, s19
	s_cbranch_execnz .LBB162_115
.LBB162_83:                             ;   in Loop: Header=BB162_63 Depth=1
	s_or_b32 exec_lo, exec_lo, s36
	s_and_saveexec_b32 s36, s20
	s_cbranch_execnz .LBB162_116
.LBB162_84:                             ;   in Loop: Header=BB162_63 Depth=1
	s_or_b32 exec_lo, exec_lo, s36
	s_and_saveexec_b32 s36, s21
	s_cbranch_execnz .LBB162_117
.LBB162_85:                             ;   in Loop: Header=BB162_63 Depth=1
	s_or_b32 exec_lo, exec_lo, s36
	s_and_saveexec_b32 s36, s22
	s_cbranch_execnz .LBB162_118
.LBB162_86:                             ;   in Loop: Header=BB162_63 Depth=1
	s_or_b32 exec_lo, exec_lo, s36
	s_and_saveexec_b32 s36, s23
	s_cbranch_execnz .LBB162_119
.LBB162_87:                             ;   in Loop: Header=BB162_63 Depth=1
	s_or_b32 exec_lo, exec_lo, s36
	s_and_saveexec_b32 s36, s24
	s_cbranch_execnz .LBB162_120
.LBB162_88:                             ;   in Loop: Header=BB162_63 Depth=1
	s_or_b32 exec_lo, exec_lo, s36
	s_and_saveexec_b32 s36, s25
	s_cbranch_execnz .LBB162_121
.LBB162_89:                             ;   in Loop: Header=BB162_63 Depth=1
	s_or_b32 exec_lo, exec_lo, s36
	s_and_saveexec_b32 s36, s26
	s_cbranch_execnz .LBB162_122
.LBB162_90:                             ;   in Loop: Header=BB162_63 Depth=1
	s_or_b32 exec_lo, exec_lo, s36
	s_and_saveexec_b32 s36, s27
	s_cbranch_execnz .LBB162_123
.LBB162_91:                             ;   in Loop: Header=BB162_63 Depth=1
	s_or_b32 exec_lo, exec_lo, s36
	s_and_saveexec_b32 s36, s28
	s_cbranch_execnz .LBB162_124
.LBB162_92:                             ;   in Loop: Header=BB162_63 Depth=1
	s_or_b32 exec_lo, exec_lo, s36
	s_and_saveexec_b32 s36, s29
	s_cbranch_execnz .LBB162_125
.LBB162_93:                             ;   in Loop: Header=BB162_63 Depth=1
	s_or_b32 exec_lo, exec_lo, s36
	s_and_saveexec_b32 s36, s30
	s_cbranch_execnz .LBB162_126
.LBB162_94:                             ;   in Loop: Header=BB162_63 Depth=1
	s_or_b32 exec_lo, exec_lo, s36
	v_ashrrev_i32_e32 v9, 31, v8
	s_and_saveexec_b32 s36, s31
	s_cbranch_execnz .LBB162_127
.LBB162_95:                             ;   in Loop: Header=BB162_63 Depth=1
	s_or_b32 exec_lo, exec_lo, s36
	s_and_saveexec_b32 s31, vcc_lo
	s_cbranch_execz .LBB162_62
	s_branch .LBB162_128
.LBB162_96:                             ;   in Loop: Header=BB162_63 Depth=1
	ds_load_b32 v4, v5 offset:49152
	s_waitcnt lgkmcnt(0)
	v_add_nc_u32_e32 v8, v4, v8
	s_or_b32 exec_lo, exec_lo, s36
	s_and_saveexec_b32 s36, s1
	s_cbranch_execz .LBB162_65
.LBB162_97:                             ;   in Loop: Header=BB162_63 Depth=1
	ds_load_b32 v4, v5 offset:49160
	s_waitcnt lgkmcnt(0)
	v_add_nc_u32_e32 v8, v8, v4
	s_or_b32 exec_lo, exec_lo, s36
	s_and_saveexec_b32 s36, s2
	s_cbranch_execz .LBB162_66
.LBB162_98:                             ;   in Loop: Header=BB162_63 Depth=1
	ds_load_b32 v4, v5 offset:49168
	s_waitcnt lgkmcnt(0)
	v_add_nc_u32_e32 v8, v8, v4
	s_or_b32 exec_lo, exec_lo, s36
	s_and_saveexec_b32 s36, s3
	s_cbranch_execz .LBB162_67
.LBB162_99:                             ;   in Loop: Header=BB162_63 Depth=1
	ds_load_b32 v4, v5 offset:49176
	s_waitcnt lgkmcnt(0)
	v_add_nc_u32_e32 v8, v8, v4
	s_or_b32 exec_lo, exec_lo, s36
	s_and_saveexec_b32 s36, s4
	s_cbranch_execz .LBB162_68
.LBB162_100:                            ;   in Loop: Header=BB162_63 Depth=1
	ds_load_b32 v4, v5 offset:49184
	s_waitcnt lgkmcnt(0)
	v_add_nc_u32_e32 v8, v8, v4
	s_or_b32 exec_lo, exec_lo, s36
	s_and_saveexec_b32 s36, s5
	s_cbranch_execz .LBB162_69
.LBB162_101:                            ;   in Loop: Header=BB162_63 Depth=1
	ds_load_b32 v4, v5 offset:49192
	s_waitcnt lgkmcnt(0)
	v_add_nc_u32_e32 v8, v8, v4
	s_or_b32 exec_lo, exec_lo, s36
	s_and_saveexec_b32 s36, s6
	s_cbranch_execz .LBB162_70
.LBB162_102:                            ;   in Loop: Header=BB162_63 Depth=1
	ds_load_b32 v4, v5 offset:49200
	s_waitcnt lgkmcnt(0)
	v_add_nc_u32_e32 v8, v8, v4
	s_or_b32 exec_lo, exec_lo, s36
	s_and_saveexec_b32 s36, s7
	s_cbranch_execz .LBB162_71
.LBB162_103:                            ;   in Loop: Header=BB162_63 Depth=1
	ds_load_b32 v4, v5 offset:49208
	s_waitcnt lgkmcnt(0)
	v_add_nc_u32_e32 v8, v8, v4
	s_or_b32 exec_lo, exec_lo, s36
	s_and_saveexec_b32 s36, s8
	s_cbranch_execz .LBB162_72
.LBB162_104:                            ;   in Loop: Header=BB162_63 Depth=1
	ds_load_b32 v4, v5 offset:49216
	s_waitcnt lgkmcnt(0)
	v_add_nc_u32_e32 v8, v8, v4
	s_or_b32 exec_lo, exec_lo, s36
	s_and_saveexec_b32 s36, s9
	s_cbranch_execz .LBB162_73
.LBB162_105:                            ;   in Loop: Header=BB162_63 Depth=1
	ds_load_b32 v4, v5 offset:49224
	s_waitcnt lgkmcnt(0)
	v_add_nc_u32_e32 v8, v8, v4
	s_or_b32 exec_lo, exec_lo, s36
	s_and_saveexec_b32 s36, s10
	s_cbranch_execz .LBB162_74
.LBB162_106:                            ;   in Loop: Header=BB162_63 Depth=1
	ds_load_b32 v4, v5 offset:49232
	s_waitcnt lgkmcnt(0)
	v_add_nc_u32_e32 v8, v8, v4
	s_or_b32 exec_lo, exec_lo, s36
	s_and_saveexec_b32 s36, s11
	s_cbranch_execz .LBB162_75
.LBB162_107:                            ;   in Loop: Header=BB162_63 Depth=1
	ds_load_b32 v4, v5 offset:49240
	s_waitcnt lgkmcnt(0)
	v_add_nc_u32_e32 v8, v8, v4
	s_or_b32 exec_lo, exec_lo, s36
	s_and_saveexec_b32 s36, s12
	s_cbranch_execz .LBB162_76
.LBB162_108:                            ;   in Loop: Header=BB162_63 Depth=1
	ds_load_b32 v4, v5 offset:49248
	s_waitcnt lgkmcnt(0)
	v_add_nc_u32_e32 v8, v8, v4
	s_or_b32 exec_lo, exec_lo, s36
	s_and_saveexec_b32 s36, s13
	s_cbranch_execz .LBB162_77
.LBB162_109:                            ;   in Loop: Header=BB162_63 Depth=1
	ds_load_b32 v4, v5 offset:49256
	s_waitcnt lgkmcnt(0)
	v_add_nc_u32_e32 v8, v8, v4
	s_or_b32 exec_lo, exec_lo, s36
	s_and_saveexec_b32 s36, s14
	s_cbranch_execz .LBB162_78
.LBB162_110:                            ;   in Loop: Header=BB162_63 Depth=1
	ds_load_b32 v4, v5 offset:49264
	s_waitcnt lgkmcnt(0)
	v_add_nc_u32_e32 v8, v8, v4
	s_or_b32 exec_lo, exec_lo, s36
	s_and_saveexec_b32 s36, s15
	s_cbranch_execz .LBB162_79
.LBB162_111:                            ;   in Loop: Header=BB162_63 Depth=1
	ds_load_b32 v4, v5 offset:49272
	s_waitcnt lgkmcnt(0)
	v_add_nc_u32_e32 v8, v8, v4
	s_or_b32 exec_lo, exec_lo, s36
	s_and_saveexec_b32 s36, s16
	s_cbranch_execz .LBB162_80
.LBB162_112:                            ;   in Loop: Header=BB162_63 Depth=1
	ds_load_b32 v4, v5 offset:49280
	s_waitcnt lgkmcnt(0)
	v_add_nc_u32_e32 v8, v8, v4
	s_or_b32 exec_lo, exec_lo, s36
	s_and_saveexec_b32 s36, s17
	s_cbranch_execz .LBB162_81
.LBB162_113:                            ;   in Loop: Header=BB162_63 Depth=1
	ds_load_b32 v4, v5 offset:49288
	s_waitcnt lgkmcnt(0)
	v_add_nc_u32_e32 v8, v8, v4
	s_or_b32 exec_lo, exec_lo, s36
	s_and_saveexec_b32 s36, s18
	s_cbranch_execz .LBB162_82
.LBB162_114:                            ;   in Loop: Header=BB162_63 Depth=1
	ds_load_b32 v4, v5 offset:49296
	s_waitcnt lgkmcnt(0)
	v_add_nc_u32_e32 v8, v8, v4
	s_or_b32 exec_lo, exec_lo, s36
	s_and_saveexec_b32 s36, s19
	s_cbranch_execz .LBB162_83
.LBB162_115:                            ;   in Loop: Header=BB162_63 Depth=1
	ds_load_b32 v4, v5 offset:49304
	s_waitcnt lgkmcnt(0)
	v_add_nc_u32_e32 v8, v8, v4
	s_or_b32 exec_lo, exec_lo, s36
	s_and_saveexec_b32 s36, s20
	s_cbranch_execz .LBB162_84
.LBB162_116:                            ;   in Loop: Header=BB162_63 Depth=1
	ds_load_b32 v4, v5 offset:49312
	s_waitcnt lgkmcnt(0)
	v_add_nc_u32_e32 v8, v8, v4
	s_or_b32 exec_lo, exec_lo, s36
	s_and_saveexec_b32 s36, s21
	s_cbranch_execz .LBB162_85
.LBB162_117:                            ;   in Loop: Header=BB162_63 Depth=1
	ds_load_b32 v4, v5 offset:49320
	s_waitcnt lgkmcnt(0)
	v_add_nc_u32_e32 v8, v8, v4
	s_or_b32 exec_lo, exec_lo, s36
	s_and_saveexec_b32 s36, s22
	s_cbranch_execz .LBB162_86
.LBB162_118:                            ;   in Loop: Header=BB162_63 Depth=1
	ds_load_b32 v4, v5 offset:49328
	s_waitcnt lgkmcnt(0)
	v_add_nc_u32_e32 v8, v8, v4
	s_or_b32 exec_lo, exec_lo, s36
	s_and_saveexec_b32 s36, s23
	s_cbranch_execz .LBB162_87
.LBB162_119:                            ;   in Loop: Header=BB162_63 Depth=1
	ds_load_b32 v4, v5 offset:49336
	s_waitcnt lgkmcnt(0)
	v_add_nc_u32_e32 v8, v8, v4
	s_or_b32 exec_lo, exec_lo, s36
	s_and_saveexec_b32 s36, s24
	s_cbranch_execz .LBB162_88
.LBB162_120:                            ;   in Loop: Header=BB162_63 Depth=1
	ds_load_b32 v4, v5 offset:49344
	s_waitcnt lgkmcnt(0)
	v_add_nc_u32_e32 v8, v8, v4
	s_or_b32 exec_lo, exec_lo, s36
	s_and_saveexec_b32 s36, s25
	s_cbranch_execz .LBB162_89
.LBB162_121:                            ;   in Loop: Header=BB162_63 Depth=1
	ds_load_b32 v4, v5 offset:49352
	s_waitcnt lgkmcnt(0)
	v_add_nc_u32_e32 v8, v8, v4
	s_or_b32 exec_lo, exec_lo, s36
	s_and_saveexec_b32 s36, s26
	s_cbranch_execz .LBB162_90
.LBB162_122:                            ;   in Loop: Header=BB162_63 Depth=1
	ds_load_b32 v4, v5 offset:49360
	s_waitcnt lgkmcnt(0)
	v_add_nc_u32_e32 v8, v8, v4
	s_or_b32 exec_lo, exec_lo, s36
	s_and_saveexec_b32 s36, s27
	s_cbranch_execz .LBB162_91
.LBB162_123:                            ;   in Loop: Header=BB162_63 Depth=1
	ds_load_b32 v4, v5 offset:49368
	s_waitcnt lgkmcnt(0)
	v_add_nc_u32_e32 v8, v8, v4
	s_or_b32 exec_lo, exec_lo, s36
	s_and_saveexec_b32 s36, s28
	s_cbranch_execz .LBB162_92
.LBB162_124:                            ;   in Loop: Header=BB162_63 Depth=1
	ds_load_b32 v4, v5 offset:49376
	s_waitcnt lgkmcnt(0)
	v_add_nc_u32_e32 v8, v8, v4
	s_or_b32 exec_lo, exec_lo, s36
	s_and_saveexec_b32 s36, s29
	s_cbranch_execz .LBB162_93
.LBB162_125:                            ;   in Loop: Header=BB162_63 Depth=1
	ds_load_b32 v4, v5 offset:49384
	s_waitcnt lgkmcnt(0)
	v_add_nc_u32_e32 v8, v8, v4
	s_or_b32 exec_lo, exec_lo, s36
	s_and_saveexec_b32 s36, s30
	s_cbranch_execz .LBB162_94
.LBB162_126:                            ;   in Loop: Header=BB162_63 Depth=1
	ds_load_b32 v4, v5 offset:49392
	s_waitcnt lgkmcnt(0)
	v_add_nc_u32_e32 v8, v8, v4
	s_or_b32 exec_lo, exec_lo, s36
	s_delay_alu instid0(VALU_DEP_1)
	v_ashrrev_i32_e32 v9, 31, v8
	s_and_saveexec_b32 s36, s31
	s_cbranch_execz .LBB162_95
.LBB162_127:                            ;   in Loop: Header=BB162_63 Depth=1
	scratch_load_b128 v[11:14], off, off
	v_add3_u32 v4, v2, -1, v8
	s_delay_alu instid0(VALU_DEP_1) | instskip(SKIP_1) | instid1(VALU_DEP_2)
	v_lshlrev_b32_e32 v15, 4, v4
	v_lshl_add_u32 v4, v4, 3, 0
	v_add3_u32 v15, 0, v15, 0x4000
	ds_store_b64 v4, v[6:7]
	s_waitcnt vmcnt(0)
	ds_store_2addr_b64 v15, v[11:12], v[13:14] offset1:1
	s_or_b32 exec_lo, exec_lo, s36
	s_and_saveexec_b32 s31, vcc_lo
	s_cbranch_execz .LBB162_62
.LBB162_128:                            ;   in Loop: Header=BB162_63 Depth=1
	ds_store_b64 v5, v[8:9] offset:49400
	s_branch .LBB162_62
.LBB162_129:
	s_or_b32 exec_lo, exec_lo, s33
	s_lshl_b64 s[0:1], s[52:53], 3
	v_mov_b32_e32 v1, 0
	s_add_u32 s0, s42, s0
	s_addc_u32 s1, s43, s1
	s_mov_b32 s6, exec_lo
	s_load_b128 s[0:3], s[0:1], 0x0
	s_waitcnt lgkmcnt(0)
	s_sub_u32 s4, s2, s0
	s_subb_u32 s5, s3, s1
	s_delay_alu instid0(SALU_CYCLE_1)
	v_cmpx_gt_i64_e64 s[4:5], v[0:1]
	s_cbranch_execz .LBB162_139
; %bb.130:
	s_sub_u32 s8, s0, s46
	s_subb_u32 s9, s1, 0
	s_and_b32 s6, s4, 7
	s_sub_u32 s0, s0, s2
	s_subb_u32 s1, s1, s3
	s_mov_b32 s7, 0
	v_cmp_lt_u64_e64 s12, s[0:1], -7
	s_and_b32 s2, s4, -8
	s_cmp_lg_u64 s[6:7], 0
	s_mov_b32 s3, s5
	s_cselect_b32 s13, -1, 0
	s_mov_b32 s14, s7
	s_branch .LBB162_132
.LBB162_131:                            ;   in Loop: Header=BB162_132 Depth=1
	v_lshlrev_b32_e32 v7, 3, v0
	s_waitcnt lgkmcnt(0)
	v_add_co_u32 v2, vcc_lo, v2, s46
	v_lshlrev_b64 v[10:11], 3, v[4:5]
	v_add_co_ci_u32_e32 v3, vcc_lo, 0, v3, vcc_lo
	v_add3_u32 v6, v6, v7, 0x4000
	v_add_co_u32 v0, vcc_lo, 0x400, v0
	v_add_co_ci_u32_e32 v1, vcc_lo, 0, v1, vcc_lo
	ds_load_2addr_b64 v[6:9], v6 offset1:1
	v_lshlrev_b64 v[4:5], 4, v[4:5]
	v_add_co_u32 v10, vcc_lo, s48, v10
	v_add_co_ci_u32_e32 v11, vcc_lo, s49, v11, vcc_lo
	v_cmp_le_i64_e32 vcc_lo, s[4:5], v[0:1]
	s_delay_alu instid0(VALU_DEP_4) | instskip(NEXT) | instid1(VALU_DEP_1)
	v_add_co_u32 v4, s0, s50, v4
	v_add_co_ci_u32_e64 v5, s0, s51, v5, s0
	global_store_b64 v[10:11], v[2:3], off
	s_waitcnt lgkmcnt(0)
	global_store_b128 v[4:5], v[6:9], off
	s_or_b32 s14, vcc_lo, s14
	s_delay_alu instid0(SALU_CYCLE_1)
	s_and_not1_b32 exec_lo, exec_lo, s14
	s_cbranch_execz .LBB162_139
.LBB162_132:                            ; =>This Loop Header: Depth=1
                                        ;     Child Loop BB162_134 Depth 2
                                        ;     Child Loop BB162_138 Depth 2
	v_lshl_add_u32 v6, v0, 3, 0
	v_dual_mov_b32 v4, s8 :: v_dual_mov_b32 v5, s9
	s_and_not1_b32 vcc_lo, exec_lo, s12
	s_mov_b64 s[0:1], 0
	ds_load_b64 v[2:3], v6
	s_cbranch_vccnz .LBB162_136
; %bb.133:                              ;   in Loop: Header=BB162_132 Depth=1
	v_dual_mov_b32 v4, s8 :: v_dual_mov_b32 v5, s9
	s_mov_b64 s[10:11], 0
	s_mov_b32 s1, 0
.LBB162_134:                            ;   Parent Loop BB162_132 Depth=1
                                        ; =>  This Inner Loop Header: Depth=2
	s_delay_alu instid0(SALU_CYCLE_1)
	v_mov_b32_e32 v19, s1
	s_add_u32 s10, s10, 8
	s_addc_u32 s11, s11, 0
	s_add_i32 s1, s1, 64
	s_cmp_eq_u64 s[2:3], s[10:11]
	ds_load_2addr_b64 v[7:10], v19 offset1:1
	ds_load_2addr_b64 v[11:14], v19 offset0:2 offset1:3
	ds_load_2addr_b64 v[15:18], v19 offset0:4 offset1:5
	;; [unrolled: 1-line block ×3, first 2 shown]
	s_waitcnt lgkmcnt(3)
	v_cmp_gt_i64_e32 vcc_lo, v[2:3], v[7:8]
	v_cndmask_b32_e64 v7, 0, 1, vcc_lo
	v_cmp_gt_i64_e32 vcc_lo, v[2:3], v[9:10]
	v_cndmask_b32_e64 v8, 0, 1, vcc_lo
	s_waitcnt lgkmcnt(2)
	v_cmp_gt_i64_e32 vcc_lo, v[2:3], v[11:12]
	v_cndmask_b32_e64 v9, 0, 1, vcc_lo
	v_cmp_gt_i64_e32 vcc_lo, v[2:3], v[13:14]
	v_cndmask_b32_e64 v10, 0, 1, vcc_lo
	s_waitcnt lgkmcnt(1)
	v_cmp_gt_i64_e32 vcc_lo, v[2:3], v[15:16]
	v_cndmask_b32_e64 v11, 0, 1, vcc_lo
	v_add_co_u32 v4, vcc_lo, v4, v7
	v_add_co_ci_u32_e32 v5, vcc_lo, 0, v5, vcc_lo
	v_cmp_gt_i64_e32 vcc_lo, v[2:3], v[17:18]
	s_delay_alu instid0(VALU_DEP_3) | instskip(NEXT) | instid1(VALU_DEP_1)
	v_add_co_u32 v4, s0, v4, v8
	v_add_co_ci_u32_e64 v5, s0, 0, v5, s0
	v_cndmask_b32_e64 v7, 0, 1, vcc_lo
	s_delay_alu instid0(VALU_DEP_3) | instskip(NEXT) | instid1(VALU_DEP_3)
	v_add_co_u32 v4, vcc_lo, v4, v9
	v_add_co_ci_u32_e32 v5, vcc_lo, 0, v5, vcc_lo
	s_waitcnt lgkmcnt(0)
	v_cmp_gt_i64_e32 vcc_lo, v[2:3], v[19:20]
	s_delay_alu instid0(VALU_DEP_3) | instskip(NEXT) | instid1(VALU_DEP_1)
	v_add_co_u32 v4, s0, v4, v10
	v_add_co_ci_u32_e64 v5, s0, 0, v5, s0
	v_cndmask_b32_e64 v8, 0, 1, vcc_lo
	s_delay_alu instid0(VALU_DEP_3) | instskip(NEXT) | instid1(VALU_DEP_3)
	v_add_co_u32 v4, vcc_lo, v4, v11
	v_add_co_ci_u32_e32 v5, vcc_lo, 0, v5, vcc_lo
	v_cmp_gt_i64_e32 vcc_lo, v[2:3], v[21:22]
	s_delay_alu instid0(VALU_DEP_3) | instskip(NEXT) | instid1(VALU_DEP_1)
	v_add_co_u32 v4, s0, v4, v7
	v_add_co_ci_u32_e64 v5, s0, 0, v5, s0
	v_cndmask_b32_e64 v7, 0, 1, vcc_lo
	s_delay_alu instid0(VALU_DEP_3) | instskip(NEXT) | instid1(VALU_DEP_3)
	v_add_co_u32 v4, vcc_lo, v4, v8
	v_add_co_ci_u32_e32 v5, vcc_lo, 0, v5, vcc_lo
	s_delay_alu instid0(VALU_DEP_2) | instskip(NEXT) | instid1(VALU_DEP_2)
	v_add_co_u32 v4, vcc_lo, v4, v7
	v_add_co_ci_u32_e32 v5, vcc_lo, 0, v5, vcc_lo
	s_cbranch_scc0 .LBB162_134
; %bb.135:                              ;   in Loop: Header=BB162_132 Depth=1
	s_mov_b64 s[0:1], s[2:3]
.LBB162_136:                            ;   in Loop: Header=BB162_132 Depth=1
	s_and_not1_b32 vcc_lo, exec_lo, s13
	s_cbranch_vccnz .LBB162_131
; %bb.137:                              ;   in Loop: Header=BB162_132 Depth=1
	s_lshl_b32 s0, s0, 3
	s_delay_alu instid0(SALU_CYCLE_1)
	s_add_i32 s10, s0, 0
	s_mov_b64 s[0:1], s[6:7]
.LBB162_138:                            ;   Parent Loop BB162_132 Depth=1
                                        ; =>  This Inner Loop Header: Depth=2
	v_mov_b32_e32 v7, s10
	s_add_i32 s10, s10, 8
	s_add_u32 s0, s0, -1
	s_addc_u32 s1, s1, -1
	s_delay_alu instid0(SALU_CYCLE_1) | instskip(SKIP_4) | instid1(VALU_DEP_1)
	s_cmp_lg_u64 s[0:1], 0
	ds_load_b64 v[7:8], v7
	s_waitcnt lgkmcnt(0)
	v_cmp_gt_i64_e32 vcc_lo, v[2:3], v[7:8]
	v_cndmask_b32_e64 v7, 0, 1, vcc_lo
	v_add_co_u32 v4, vcc_lo, v4, v7
	v_add_co_ci_u32_e32 v5, vcc_lo, 0, v5, vcc_lo
	s_cbranch_scc1 .LBB162_138
	s_branch .LBB162_131
.LBB162_139:
	s_nop 0
	s_sendmsg sendmsg(MSG_DEALLOC_VGPRS)
	s_endpgm
	.section	.rodata,"a",@progbits
	.p2align	6, 0x0
	.amdhsa_kernel _ZN9rocsparseL26csrgemm_fill_block_per_rowILj1024ELj32ELj2048ELj137ELj32Ell21rocsparse_complex_numIdEEEvT5_PKS3_S5_NS_24const_host_device_scalarIT6_EEPKT4_S5_PKS7_SB_S5_SD_S8_SB_S5_SD_SB_PS3_PS7_21rocsparse_index_base_SG_SG_SG_bbb
		.amdhsa_group_segment_fixed_size 0
		.amdhsa_private_segment_fixed_size 40
		.amdhsa_kernarg_size 172
		.amdhsa_user_sgpr_count 15
		.amdhsa_user_sgpr_dispatch_ptr 0
		.amdhsa_user_sgpr_queue_ptr 0
		.amdhsa_user_sgpr_kernarg_segment_ptr 1
		.amdhsa_user_sgpr_dispatch_id 0
		.amdhsa_user_sgpr_private_segment_size 0
		.amdhsa_wavefront_size32 1
		.amdhsa_uses_dynamic_stack 0
		.amdhsa_enable_private_segment 1
		.amdhsa_system_sgpr_workgroup_id_x 1
		.amdhsa_system_sgpr_workgroup_id_y 0
		.amdhsa_system_sgpr_workgroup_id_z 0
		.amdhsa_system_sgpr_workgroup_info 0
		.amdhsa_system_vgpr_workitem_id 0
		.amdhsa_next_free_vgpr 37
		.amdhsa_next_free_sgpr 54
		.amdhsa_reserve_vcc 1
		.amdhsa_float_round_mode_32 0
		.amdhsa_float_round_mode_16_64 0
		.amdhsa_float_denorm_mode_32 3
		.amdhsa_float_denorm_mode_16_64 3
		.amdhsa_dx10_clamp 1
		.amdhsa_ieee_mode 1
		.amdhsa_fp16_overflow 0
		.amdhsa_workgroup_processor_mode 1
		.amdhsa_memory_ordered 1
		.amdhsa_forward_progress 0
		.amdhsa_shared_vgpr_count 0
		.amdhsa_exception_fp_ieee_invalid_op 0
		.amdhsa_exception_fp_denorm_src 0
		.amdhsa_exception_fp_ieee_div_zero 0
		.amdhsa_exception_fp_ieee_overflow 0
		.amdhsa_exception_fp_ieee_underflow 0
		.amdhsa_exception_fp_ieee_inexact 0
		.amdhsa_exception_int_div_zero 0
	.end_amdhsa_kernel
	.section	.text._ZN9rocsparseL26csrgemm_fill_block_per_rowILj1024ELj32ELj2048ELj137ELj32Ell21rocsparse_complex_numIdEEEvT5_PKS3_S5_NS_24const_host_device_scalarIT6_EEPKT4_S5_PKS7_SB_S5_SD_S8_SB_S5_SD_SB_PS3_PS7_21rocsparse_index_base_SG_SG_SG_bbb,"axG",@progbits,_ZN9rocsparseL26csrgemm_fill_block_per_rowILj1024ELj32ELj2048ELj137ELj32Ell21rocsparse_complex_numIdEEEvT5_PKS3_S5_NS_24const_host_device_scalarIT6_EEPKT4_S5_PKS7_SB_S5_SD_S8_SB_S5_SD_SB_PS3_PS7_21rocsparse_index_base_SG_SG_SG_bbb,comdat
.Lfunc_end162:
	.size	_ZN9rocsparseL26csrgemm_fill_block_per_rowILj1024ELj32ELj2048ELj137ELj32Ell21rocsparse_complex_numIdEEEvT5_PKS3_S5_NS_24const_host_device_scalarIT6_EEPKT4_S5_PKS7_SB_S5_SD_S8_SB_S5_SD_SB_PS3_PS7_21rocsparse_index_base_SG_SG_SG_bbb, .Lfunc_end162-_ZN9rocsparseL26csrgemm_fill_block_per_rowILj1024ELj32ELj2048ELj137ELj32Ell21rocsparse_complex_numIdEEEvT5_PKS3_S5_NS_24const_host_device_scalarIT6_EEPKT4_S5_PKS7_SB_S5_SD_S8_SB_S5_SD_SB_PS3_PS7_21rocsparse_index_base_SG_SG_SG_bbb
                                        ; -- End function
	.section	.AMDGPU.csdata,"",@progbits
; Kernel info:
; codeLenInByte = 5272
; NumSgprs: 56
; NumVgprs: 37
; ScratchSize: 40
; MemoryBound: 0
; FloatMode: 240
; IeeeMode: 1
; LDSByteSize: 0 bytes/workgroup (compile time only)
; SGPRBlocks: 6
; VGPRBlocks: 4
; NumSGPRsForWavesPerEU: 56
; NumVGPRsForWavesPerEU: 37
; Occupancy: 16
; WaveLimiterHint : 1
; COMPUTE_PGM_RSRC2:SCRATCH_EN: 1
; COMPUTE_PGM_RSRC2:USER_SGPR: 15
; COMPUTE_PGM_RSRC2:TRAP_HANDLER: 0
; COMPUTE_PGM_RSRC2:TGID_X_EN: 1
; COMPUTE_PGM_RSRC2:TGID_Y_EN: 0
; COMPUTE_PGM_RSRC2:TGID_Z_EN: 0
; COMPUTE_PGM_RSRC2:TIDIG_COMP_CNT: 0
	.section	.text._ZN9rocsparseL26csrgemm_fill_block_per_rowILj1024ELj32ELj2048ELj137ELj64Ell21rocsparse_complex_numIdEEEvT5_PKS3_S5_NS_24const_host_device_scalarIT6_EEPKT4_S5_PKS7_SB_S5_SD_S8_SB_S5_SD_SB_PS3_PS7_21rocsparse_index_base_SG_SG_SG_bbb,"axG",@progbits,_ZN9rocsparseL26csrgemm_fill_block_per_rowILj1024ELj32ELj2048ELj137ELj64Ell21rocsparse_complex_numIdEEEvT5_PKS3_S5_NS_24const_host_device_scalarIT6_EEPKT4_S5_PKS7_SB_S5_SD_S8_SB_S5_SD_SB_PS3_PS7_21rocsparse_index_base_SG_SG_SG_bbb,comdat
	.globl	_ZN9rocsparseL26csrgemm_fill_block_per_rowILj1024ELj32ELj2048ELj137ELj64Ell21rocsparse_complex_numIdEEEvT5_PKS3_S5_NS_24const_host_device_scalarIT6_EEPKT4_S5_PKS7_SB_S5_SD_S8_SB_S5_SD_SB_PS3_PS7_21rocsparse_index_base_SG_SG_SG_bbb ; -- Begin function _ZN9rocsparseL26csrgemm_fill_block_per_rowILj1024ELj32ELj2048ELj137ELj64Ell21rocsparse_complex_numIdEEEvT5_PKS3_S5_NS_24const_host_device_scalarIT6_EEPKT4_S5_PKS7_SB_S5_SD_S8_SB_S5_SD_SB_PS3_PS7_21rocsparse_index_base_SG_SG_SG_bbb
	.p2align	8
	.type	_ZN9rocsparseL26csrgemm_fill_block_per_rowILj1024ELj32ELj2048ELj137ELj64Ell21rocsparse_complex_numIdEEEvT5_PKS3_S5_NS_24const_host_device_scalarIT6_EEPKT4_S5_PKS7_SB_S5_SD_S8_SB_S5_SD_SB_PS3_PS7_21rocsparse_index_base_SG_SG_SG_bbb,@function
_ZN9rocsparseL26csrgemm_fill_block_per_rowILj1024ELj32ELj2048ELj137ELj64Ell21rocsparse_complex_numIdEEEvT5_PKS3_S5_NS_24const_host_device_scalarIT6_EEPKT4_S5_PKS7_SB_S5_SD_S8_SB_S5_SD_SB_PS3_PS7_21rocsparse_index_base_SG_SG_SG_bbb: ; @_ZN9rocsparseL26csrgemm_fill_block_per_rowILj1024ELj32ELj2048ELj137ELj64Ell21rocsparse_complex_numIdEEEvT5_PKS3_S5_NS_24const_host_device_scalarIT6_EEPKT4_S5_PKS7_SB_S5_SD_S8_SB_S5_SD_SB_PS3_PS7_21rocsparse_index_base_SG_SG_SG_bbb
; %bb.0:
	s_clause 0x3
	s_load_b32 s35, s[0:1], 0xa8
	s_load_b128 s[4:7], s[0:1], 0x18
	s_load_b128 s[36:39], s[0:1], 0x58
	;; [unrolled: 1-line block ×3, first 2 shown]
	v_mov_b32_e32 v1, 0
	v_mov_b32_e32 v2, 0
	s_mov_b32 s44, s15
	s_waitcnt lgkmcnt(0)
	s_bitcmp1_b32 s35, 0
	v_mov_b32_e32 v3, s4
	s_cselect_b32 s33, -1, 0
	s_bitcmp1_b32 s35, 16
	v_dual_mov_b32 v6, v2 :: v_dual_mov_b32 v5, v1
	s_cselect_b32 s2, -1, 0
	v_mov_b32_e32 v4, s5
	s_xor_b32 s34, s2, -1
	v_dual_mov_b32 v9, s36 :: v_dual_mov_b32 v10, s37
	v_cndmask_b32_e64 v7, 0, 1, s34
	s_bitcmp0_b32 s35, 0
	s_clause 0x1
	scratch_store_b64 off, v[3:4], off offset:16
	scratch_store_b64 off, v[9:10], off offset:24
	v_cmp_ne_u32_e32 vcc_lo, 1, v7
	v_dual_mov_b32 v8, v2 :: v_dual_mov_b32 v7, v1
	s_cbranch_scc1 .LBB163_3
; %bb.1:
	s_mov_b64 s[8:9], src_private_base
	s_and_b32 s3, s2, exec_lo
	s_cselect_b32 s3, s9, s5
	s_delay_alu instid0(SALU_CYCLE_1) | instskip(SKIP_2) | instid1(VALU_DEP_2)
	v_dual_mov_b32 v3, 16 :: v_dual_mov_b32 v4, s3
	v_dual_mov_b32 v8, s7 :: v_dual_mov_b32 v7, s6
	s_and_b32 vcc_lo, exec_lo, vcc_lo
	v_cndmask_b32_e64 v3, s4, v3, s2
	flat_load_b64 v[5:6], v[3:4]
	s_cbranch_vccnz .LBB163_3
; %bb.2:
	v_dual_mov_b32 v3, s4 :: v_dual_mov_b32 v4, s5
	flat_load_b64 v[7:8], v[3:4] offset:8
.LBB163_3:
	s_clause 0x4
	s_load_b128 s[24:27], s[0:1], 0x88
	s_load_b256 s[12:19], s[0:1], 0x68
	s_load_b128 s[28:31], s[0:1], 0x48
	s_load_b128 s[40:43], s[0:1], 0x8
	s_load_b256 s[4:11], s[0:1], 0x28
	s_bitcmp1_b32 s35, 8
	v_dual_mov_b32 v4, v2 :: v_dual_mov_b32 v3, v1
	s_cselect_b32 s3, -1, 0
	s_bfe_u32 s35, s35, 0x10008
	s_delay_alu instid0(SALU_CYCLE_1)
	s_cmp_eq_u32 s35, 0
	s_cbranch_scc1 .LBB163_6
; %bb.4:
	s_mov_b64 s[46:47], src_private_base
	s_and_b32 s35, s2, exec_lo
	s_cselect_b32 s35, s47, s37
	s_delay_alu instid0(SALU_CYCLE_1) | instskip(SKIP_1) | instid1(VALU_DEP_1)
	v_dual_mov_b32 v1, 24 :: v_dual_mov_b32 v2, s35
	s_and_not1_b32 vcc_lo, exec_lo, s34
	v_cndmask_b32_e64 v1, s36, v1, s2
	flat_load_b64 v[3:4], v[1:2]
	v_dual_mov_b32 v1, s38 :: v_dual_mov_b32 v2, s39
	s_cbranch_vccnz .LBB163_6
; %bb.5:
	v_dual_mov_b32 v1, s36 :: v_dual_mov_b32 v2, s37
	flat_load_b64 v[1:2], v[1:2] offset:8
.LBB163_6:
	s_load_b64 s[34:35], s[0:1], 0x0
	s_mov_b32 s0, 0
	v_or_b32_e32 v27, 0xfffffc00, v0
	s_mov_b32 s1, s0
	s_delay_alu instid0(SALU_CYCLE_1) | instskip(SKIP_3) | instid1(VALU_DEP_2)
	v_dual_mov_b32 v10, s1 :: v_dual_lshlrev_b32 v11, 4, v0
	v_lshl_add_u32 v28, v0, 3, 0
	s_mov_b32 s36, s0
	s_mov_b32 s37, s0
	v_add3_u32 v29, v11, 0, 0x4000
	v_dual_mov_b32 v11, s36 :: v_dual_mov_b32 v16, v27
	v_dual_mov_b32 v9, s0 :: v_dual_mov_b32 v12, s37
	v_mov_b32_e32 v15, v28
	s_delay_alu instid0(VALU_DEP_4)
	v_mov_b32_e32 v17, v29
	s_waitcnt lgkmcnt(0)
	v_dual_mov_b32 v13, s34 :: v_dual_mov_b32 v14, s35
.LBB163_7:                              ; =>This Inner Loop Header: Depth=1
	v_add_co_u32 v16, s1, 0x400, v16
	s_delay_alu instid0(VALU_DEP_1)
	s_xor_b32 s1, s1, -1
	ds_store_b64 v15, v[13:14]
	ds_store_2addr_b64 v17, v[9:10], v[11:12] offset1:1
	v_add_nc_u32_e32 v17, 0x4000, v17
	v_add_nc_u32_e32 v15, 0x2000, v15
	s_and_b32 s1, exec_lo, s1
	s_delay_alu instid0(SALU_CYCLE_1) | instskip(NEXT) | instid1(SALU_CYCLE_1)
	s_or_b32 s0, s1, s0
	s_and_not1_b32 exec_lo, exec_lo, s0
	s_cbranch_execnz .LBB163_7
; %bb.8:
	s_or_b32 exec_lo, exec_lo, s0
	s_waitcnt vmcnt(0) lgkmcnt(0)
	s_waitcnt_vscnt null, 0x0
	s_barrier
	buffer_gl0_inv
	s_load_b64 s[0:1], s[40:41], 0x0
	s_mov_b32 s45, 0
	s_waitcnt lgkmcnt(0)
	s_lshl_b64 s[0:1], s[0:1], 3
	s_delay_alu instid0(SALU_CYCLE_1) | instskip(SKIP_2) | instid1(SALU_CYCLE_1)
	s_add_u32 s2, s42, s0
	s_addc_u32 s36, s43, s1
	s_lshl_b64 s[0:1], s[44:45], 3
	s_add_u32 s0, s2, s0
	s_addc_u32 s1, s36, s1
	s_and_b32 vcc_lo, exec_lo, s33
	s_load_b64 s[36:37], s[0:1], 0x0
	s_cbranch_vccz .LBB163_36
; %bb.9:
	s_waitcnt lgkmcnt(0)
	s_lshl_b64 s[0:1], s[36:37], 3
	v_lshrrev_b32_e32 v9, 5, v0
	s_add_u32 s0, s4, s0
	s_addc_u32 s1, s5, s1
	s_mov_b32 s2, exec_lo
	s_load_b128 s[40:43], s[0:1], 0x0
	v_sub_co_u32 v9, s0, v9, s20
	s_delay_alu instid0(VALU_DEP_1) | instskip(SKIP_1) | instid1(VALU_DEP_2)
	v_sub_co_ci_u32_e64 v10, null, 0, 0, s0
	s_waitcnt lgkmcnt(0)
	v_add_co_u32 v9, vcc_lo, s40, v9
	s_delay_alu instid0(VALU_DEP_2)
	v_add_co_ci_u32_e32 v10, vcc_lo, s41, v10, vcc_lo
	s_sub_u32 s0, s42, s20
	s_subb_u32 s1, s43, 0
	s_delay_alu instid0(VALU_DEP_1) | instid1(SALU_CYCLE_1)
	v_cmpx_gt_i64_e64 s[0:1], v[9:10]
	s_cbranch_execz .LBB163_35
; %bb.10:
	v_and_b32_e32 v11, 31, v0
	s_mov_b32 s5, s21
	s_delay_alu instid0(VALU_DEP_1) | instskip(NEXT) | instid1(VALU_DEP_1)
	v_sub_co_u32 v30, s4, v11, s21
	v_sub_co_ci_u32_e64 v31, null, 0, 0, s4
	s_mov_b32 s4, 0
	s_branch .LBB163_12
.LBB163_11:                             ;   in Loop: Header=BB163_12 Depth=1
	s_or_b32 exec_lo, exec_lo, s21
	v_add_co_u32 v9, vcc_lo, v9, 32
	v_add_co_ci_u32_e32 v10, vcc_lo, 0, v10, vcc_lo
	s_delay_alu instid0(VALU_DEP_1) | instskip(SKIP_1) | instid1(SALU_CYCLE_1)
	v_cmp_le_i64_e32 vcc_lo, s[0:1], v[9:10]
	s_or_b32 s4, vcc_lo, s4
	s_and_not1_b32 exec_lo, exec_lo, s4
	s_cbranch_execz .LBB163_35
.LBB163_12:                             ; =>This Loop Header: Depth=1
                                        ;     Child Loop BB163_15 Depth 2
                                        ;       Child Loop BB163_17 Depth 3
                                        ;         Child Loop BB163_23 Depth 4
                                        ;         Child Loop BB163_25 Depth 4
	;; [unrolled: 1-line block ×4, first 2 shown]
	v_lshlrev_b64 v[11:12], 3, v[9:10]
	s_mov_b32 s21, exec_lo
	s_delay_alu instid0(VALU_DEP_1) | instskip(NEXT) | instid1(VALU_DEP_2)
	v_add_co_u32 v11, vcc_lo, s6, v11
	v_add_co_ci_u32_e32 v12, vcc_lo, s7, v12, vcc_lo
	global_load_b64 v[11:12], v[11:12], off
	s_waitcnt vmcnt(0)
	v_sub_co_u32 v11, vcc_lo, v11, s20
	v_subrev_co_ci_u32_e32 v12, vcc_lo, 0, v12, vcc_lo
	s_delay_alu instid0(VALU_DEP_1) | instskip(NEXT) | instid1(VALU_DEP_1)
	v_lshlrev_b64 v[11:12], 3, v[11:12]
	v_add_co_u32 v11, vcc_lo, s10, v11
	s_delay_alu instid0(VALU_DEP_2)
	v_add_co_ci_u32_e32 v12, vcc_lo, s11, v12, vcc_lo
	global_load_b128 v[13:16], v[11:12], off
	s_waitcnt vmcnt(0)
	v_sub_co_u32 v11, vcc_lo, v15, s5
	v_subrev_co_ci_u32_e32 v12, vcc_lo, 0, v16, vcc_lo
	v_add_co_u32 v13, vcc_lo, v13, v30
	v_add_co_ci_u32_e32 v14, vcc_lo, v14, v31, vcc_lo
	s_delay_alu instid0(VALU_DEP_1)
	v_cmpx_lt_i64_e64 v[13:14], v[11:12]
	s_cbranch_execz .LBB163_11
; %bb.13:                               ;   in Loop: Header=BB163_12 Depth=1
	v_lshlrev_b64 v[15:16], 4, v[9:10]
	s_mov_b32 s33, 0
	s_delay_alu instid0(VALU_DEP_1) | instskip(NEXT) | instid1(VALU_DEP_2)
	v_add_co_u32 v15, vcc_lo, s8, v15
	v_add_co_ci_u32_e32 v16, vcc_lo, s9, v16, vcc_lo
	global_load_b128 v[17:20], v[15:16], off
	s_waitcnt vmcnt(0)
	v_mul_f64 v[15:16], v[19:20], -v[7:8]
	v_mul_f64 v[19:20], v[5:6], v[19:20]
	s_delay_alu instid0(VALU_DEP_2) | instskip(NEXT) | instid1(VALU_DEP_2)
	v_fma_f64 v[15:16], v[5:6], v[17:18], v[15:16]
	v_fma_f64 v[17:18], v[7:8], v[17:18], v[19:20]
	s_branch .LBB163_15
.LBB163_14:                             ;   in Loop: Header=BB163_15 Depth=2
	s_or_b32 exec_lo, exec_lo, s38
	v_add_co_u32 v13, vcc_lo, v13, 32
	v_add_co_ci_u32_e32 v14, vcc_lo, 0, v14, vcc_lo
	s_delay_alu instid0(VALU_DEP_1) | instskip(SKIP_1) | instid1(SALU_CYCLE_1)
	v_cmp_ge_i64_e32 vcc_lo, v[13:14], v[11:12]
	s_or_b32 s33, vcc_lo, s33
	s_and_not1_b32 exec_lo, exec_lo, s33
	s_cbranch_execz .LBB163_11
.LBB163_15:                             ;   Parent Loop BB163_12 Depth=1
                                        ; =>  This Loop Header: Depth=2
                                        ;       Child Loop BB163_17 Depth 3
                                        ;         Child Loop BB163_23 Depth 4
                                        ;         Child Loop BB163_25 Depth 4
	;; [unrolled: 1-line block ×4, first 2 shown]
	v_lshlrev_b64 v[19:20], 4, v[13:14]
	s_mov_b32 s38, 0
	s_delay_alu instid0(VALU_DEP_1) | instskip(NEXT) | instid1(VALU_DEP_2)
	v_add_co_u32 v19, vcc_lo, s30, v19
	v_add_co_ci_u32_e32 v20, vcc_lo, s31, v20, vcc_lo
	global_load_b128 v[21:24], v[19:20], off
	v_lshlrev_b64 v[19:20], 3, v[13:14]
	s_delay_alu instid0(VALU_DEP_1) | instskip(NEXT) | instid1(VALU_DEP_2)
	v_add_co_u32 v19, vcc_lo, s28, v19
	v_add_co_ci_u32_e32 v20, vcc_lo, s29, v20, vcc_lo
	global_load_b64 v[25:26], v[19:20], off
	s_waitcnt vmcnt(1)
	v_mul_f64 v[19:20], v[23:24], -v[17:18]
	v_mul_f64 v[23:24], v[15:16], v[23:24]
	s_delay_alu instid0(VALU_DEP_2) | instskip(NEXT) | instid1(VALU_DEP_2)
	v_fma_f64 v[19:20], v[15:16], v[21:22], v[19:20]
	v_fma_f64 v[21:22], v[17:18], v[21:22], v[23:24]
	s_waitcnt vmcnt(0)
	v_sub_co_u32 v23, vcc_lo, v25, s5
	v_subrev_co_ci_u32_e32 v24, vcc_lo, 0, v26, vcc_lo
	s_delay_alu instid0(VALU_DEP_2) | instskip(NEXT) | instid1(VALU_DEP_1)
	v_mul_lo_u32 v25, 0x89, v23
	v_and_b32_e32 v32, 0x7ff, v25
	s_branch .LBB163_17
.LBB163_16:                             ;   in Loop: Header=BB163_17 Depth=3
	s_or_b32 exec_lo, exec_lo, s39
	s_xor_b32 s39, s40, -1
	s_delay_alu instid0(SALU_CYCLE_1) | instskip(NEXT) | instid1(SALU_CYCLE_1)
	s_and_b32 s39, exec_lo, s39
	s_or_b32 s38, s39, s38
	s_delay_alu instid0(SALU_CYCLE_1)
	s_and_not1_b32 exec_lo, exec_lo, s38
	s_cbranch_execz .LBB163_14
.LBB163_17:                             ;   Parent Loop BB163_12 Depth=1
                                        ;     Parent Loop BB163_15 Depth=2
                                        ; =>    This Loop Header: Depth=3
                                        ;         Child Loop BB163_23 Depth 4
                                        ;         Child Loop BB163_25 Depth 4
	;; [unrolled: 1-line block ×4, first 2 shown]
	s_delay_alu instid0(VALU_DEP_1)
	v_lshl_add_u32 v33, v32, 3, 0
	s_mov_b32 s39, exec_lo
                                        ; implicit-def: $sgpr40
	ds_load_b64 v[25:26], v33
	s_waitcnt lgkmcnt(0)
	v_cmpx_ne_u64_e64 v[25:26], v[23:24]
	s_xor_b32 s39, exec_lo, s39
	s_cbranch_execz .LBB163_29
; %bb.18:                               ;   in Loop: Header=BB163_17 Depth=3
	s_mov_b32 s41, exec_lo
                                        ; implicit-def: $sgpr40
	v_cmpx_ne_u64_e64 s[34:35], v[25:26]
	s_xor_b32 s41, exec_lo, s41
; %bb.19:                               ;   in Loop: Header=BB163_17 Depth=3
	v_add_nc_u32_e32 v25, 1, v32
	s_mov_b32 s40, -1
                                        ; implicit-def: $vgpr33
	s_delay_alu instid0(VALU_DEP_1)
	v_and_b32_e32 v32, 0x7ff, v25
; %bb.20:                               ;   in Loop: Header=BB163_17 Depth=3
	s_and_not1_saveexec_b32 s41, s41
	s_cbranch_execz .LBB163_28
; %bb.21:                               ;   in Loop: Header=BB163_17 Depth=3
	v_dual_mov_b32 v25, s34 :: v_dual_mov_b32 v26, s35
	s_mov_b32 s43, -1
	s_mov_b32 s42, exec_lo
	ds_cmpstore_rtn_b64 v[25:26], v33, v[23:24], v[25:26]
	s_waitcnt lgkmcnt(0)
	v_cmpx_eq_u64_e64 s[34:35], v[25:26]
	s_cbranch_execz .LBB163_27
; %bb.22:                               ;   in Loop: Header=BB163_17 Depth=3
	v_lshlrev_b32_e32 v25, 3, v32
	s_mov_b32 s43, 0
	s_delay_alu instid0(VALU_DEP_1)
	v_add_nc_u32_e32 v33, v33, v25
	ds_load_b64 v[25:26], v33 offset:16384
.LBB163_23:                             ;   Parent Loop BB163_12 Depth=1
                                        ;     Parent Loop BB163_15 Depth=2
                                        ;       Parent Loop BB163_17 Depth=3
                                        ; =>      This Inner Loop Header: Depth=4
	s_waitcnt lgkmcnt(0)
	v_add_f64 v[34:35], v[25:26], v[19:20]
	ds_cmpstore_rtn_b64 v[34:35], v33, v[34:35], v[25:26] offset:16384
	s_waitcnt lgkmcnt(0)
	v_cmp_eq_u64_e32 vcc_lo, v[34:35], v[25:26]
	v_dual_mov_b32 v25, v34 :: v_dual_mov_b32 v26, v35
	s_or_b32 s43, vcc_lo, s43
	s_delay_alu instid0(SALU_CYCLE_1)
	s_and_not1_b32 exec_lo, exec_lo, s43
	s_cbranch_execnz .LBB163_23
; %bb.24:                               ;   in Loop: Header=BB163_17 Depth=3
	s_or_b32 exec_lo, exec_lo, s43
	ds_load_b64 v[25:26], v33 offset:16392
	s_mov_b32 s43, 0
.LBB163_25:                             ;   Parent Loop BB163_12 Depth=1
                                        ;     Parent Loop BB163_15 Depth=2
                                        ;       Parent Loop BB163_17 Depth=3
                                        ; =>      This Inner Loop Header: Depth=4
	s_waitcnt lgkmcnt(0)
	v_add_f64 v[34:35], v[25:26], v[21:22]
	ds_cmpstore_rtn_b64 v[34:35], v33, v[34:35], v[25:26] offset:16392
	s_waitcnt lgkmcnt(0)
	v_cmp_eq_u64_e32 vcc_lo, v[34:35], v[25:26]
	v_dual_mov_b32 v25, v34 :: v_dual_mov_b32 v26, v35
	s_or_b32 s43, vcc_lo, s43
	s_delay_alu instid0(SALU_CYCLE_1)
	s_and_not1_b32 exec_lo, exec_lo, s43
	s_cbranch_execnz .LBB163_25
; %bb.26:                               ;   in Loop: Header=BB163_17 Depth=3
	s_or_b32 exec_lo, exec_lo, s43
	s_delay_alu instid0(SALU_CYCLE_1)
	s_xor_b32 s43, exec_lo, -1
.LBB163_27:                             ;   in Loop: Header=BB163_17 Depth=3
	s_or_b32 exec_lo, exec_lo, s42
	s_delay_alu instid0(SALU_CYCLE_1) | instskip(SKIP_1) | instid1(SALU_CYCLE_1)
	s_and_not1_b32 s40, s40, exec_lo
	s_and_b32 s42, s43, exec_lo
	s_or_b32 s40, s40, s42
.LBB163_28:                             ;   in Loop: Header=BB163_17 Depth=3
	s_or_b32 exec_lo, exec_lo, s41
	s_delay_alu instid0(SALU_CYCLE_1)
	s_and_b32 s40, s40, exec_lo
                                        ; implicit-def: $vgpr33
.LBB163_29:                             ;   in Loop: Header=BB163_17 Depth=3
	s_and_not1_saveexec_b32 s39, s39
	s_cbranch_execz .LBB163_16
; %bb.30:                               ;   in Loop: Header=BB163_17 Depth=3
	v_lshlrev_b32_e32 v25, 3, v32
	s_mov_b32 s41, 0
	s_delay_alu instid0(VALU_DEP_1)
	v_add_nc_u32_e32 v33, v33, v25
	ds_load_b64 v[25:26], v33 offset:16384
.LBB163_31:                             ;   Parent Loop BB163_12 Depth=1
                                        ;     Parent Loop BB163_15 Depth=2
                                        ;       Parent Loop BB163_17 Depth=3
                                        ; =>      This Inner Loop Header: Depth=4
	s_waitcnt lgkmcnt(0)
	v_add_f64 v[34:35], v[25:26], v[19:20]
	ds_cmpstore_rtn_b64 v[34:35], v33, v[34:35], v[25:26] offset:16384
	s_waitcnt lgkmcnt(0)
	v_cmp_eq_u64_e32 vcc_lo, v[34:35], v[25:26]
	v_dual_mov_b32 v25, v34 :: v_dual_mov_b32 v26, v35
	s_or_b32 s41, vcc_lo, s41
	s_delay_alu instid0(SALU_CYCLE_1)
	s_and_not1_b32 exec_lo, exec_lo, s41
	s_cbranch_execnz .LBB163_31
; %bb.32:                               ;   in Loop: Header=BB163_17 Depth=3
	s_or_b32 exec_lo, exec_lo, s41
	ds_load_b64 v[25:26], v33 offset:16392
	s_mov_b32 s41, 0
.LBB163_33:                             ;   Parent Loop BB163_12 Depth=1
                                        ;     Parent Loop BB163_15 Depth=2
                                        ;       Parent Loop BB163_17 Depth=3
                                        ; =>      This Inner Loop Header: Depth=4
	s_waitcnt lgkmcnt(0)
	v_add_f64 v[34:35], v[25:26], v[21:22]
	ds_cmpstore_rtn_b64 v[34:35], v33, v[34:35], v[25:26] offset:16392
	s_waitcnt lgkmcnt(0)
	v_cmp_eq_u64_e32 vcc_lo, v[34:35], v[25:26]
	v_dual_mov_b32 v25, v34 :: v_dual_mov_b32 v26, v35
	s_or_b32 s41, vcc_lo, s41
	s_delay_alu instid0(SALU_CYCLE_1)
	s_and_not1_b32 exec_lo, exec_lo, s41
	s_cbranch_execnz .LBB163_33
; %bb.34:                               ;   in Loop: Header=BB163_17 Depth=3
	s_or_b32 exec_lo, exec_lo, s41
	s_delay_alu instid0(SALU_CYCLE_1)
	s_and_not1_b32 s40, s40, exec_lo
	s_branch .LBB163_16
.LBB163_35:
	s_or_b32 exec_lo, exec_lo, s2
.LBB163_36:
	s_delay_alu instid0(SALU_CYCLE_1)
	s_and_not1_b32 vcc_lo, exec_lo, s3
	s_cbranch_vccnz .LBB163_61
; %bb.37:
	s_waitcnt lgkmcnt(0)
	s_lshl_b64 s[0:1], s[36:37], 3
	v_sub_co_u32 v5, s4, v0, s23
	s_add_u32 s0, s12, s0
	s_addc_u32 s1, s13, s1
	v_sub_co_ci_u32_e64 v6, null, 0, 0, s4
	s_load_b128 s[0:3], s[0:1], 0x0
	s_waitcnt lgkmcnt(0)
	v_add_co_u32 v5, vcc_lo, s0, v5
	s_delay_alu instid0(VALU_DEP_2)
	v_add_co_ci_u32_e32 v6, vcc_lo, s1, v6, vcc_lo
	s_sub_u32 s0, s2, s23
	s_subb_u32 s1, s3, 0
	s_mov_b32 s2, 0
	s_mov_b32 s3, exec_lo
	v_cmpx_gt_i64_e64 s[0:1], v[5:6]
	s_cbranch_execz .LBB163_60
; %bb.38:
	s_mov_b32 s4, s23
	s_branch .LBB163_40
.LBB163_39:                             ;   in Loop: Header=BB163_40 Depth=1
	s_or_b32 exec_lo, exec_lo, s5
	v_add_co_u32 v5, vcc_lo, 0x400, v5
	v_add_co_ci_u32_e32 v6, vcc_lo, 0, v6, vcc_lo
	s_delay_alu instid0(VALU_DEP_1) | instskip(SKIP_1) | instid1(SALU_CYCLE_1)
	v_cmp_le_i64_e32 vcc_lo, s[0:1], v[5:6]
	s_or_b32 s2, vcc_lo, s2
	s_and_not1_b32 exec_lo, exec_lo, s2
	s_cbranch_execz .LBB163_60
.LBB163_40:                             ; =>This Loop Header: Depth=1
                                        ;     Child Loop BB163_42 Depth 2
                                        ;       Child Loop BB163_48 Depth 3
                                        ;       Child Loop BB163_50 Depth 3
	;; [unrolled: 1-line block ×4, first 2 shown]
	v_lshlrev_b64 v[7:8], 4, v[5:6]
	s_mov_b32 s5, 0
	s_delay_alu instid0(VALU_DEP_1) | instskip(NEXT) | instid1(VALU_DEP_2)
	v_add_co_u32 v7, vcc_lo, s16, v7
	v_add_co_ci_u32_e32 v8, vcc_lo, s17, v8, vcc_lo
	global_load_b128 v[9:12], v[7:8], off
	v_lshlrev_b64 v[7:8], 3, v[5:6]
	s_delay_alu instid0(VALU_DEP_1) | instskip(NEXT) | instid1(VALU_DEP_2)
	v_add_co_u32 v7, vcc_lo, s14, v7
	v_add_co_ci_u32_e32 v8, vcc_lo, s15, v8, vcc_lo
	global_load_b64 v[13:14], v[7:8], off
	s_waitcnt vmcnt(1)
	v_mul_f64 v[7:8], v[11:12], -v[1:2]
	v_mul_f64 v[11:12], v[3:4], v[11:12]
	s_delay_alu instid0(VALU_DEP_2) | instskip(NEXT) | instid1(VALU_DEP_2)
	v_fma_f64 v[7:8], v[3:4], v[9:10], v[7:8]
	v_fma_f64 v[9:10], v[1:2], v[9:10], v[11:12]
	s_waitcnt vmcnt(0)
	v_sub_co_u32 v11, vcc_lo, v13, s4
	v_subrev_co_ci_u32_e32 v12, vcc_lo, 0, v14, vcc_lo
	s_delay_alu instid0(VALU_DEP_2) | instskip(NEXT) | instid1(VALU_DEP_1)
	v_mul_lo_u32 v13, 0x89, v11
	v_and_b32_e32 v15, 0x7ff, v13
	s_branch .LBB163_42
.LBB163_41:                             ;   in Loop: Header=BB163_42 Depth=2
	s_or_b32 exec_lo, exec_lo, s6
	s_xor_b32 s6, s7, -1
	s_delay_alu instid0(SALU_CYCLE_1) | instskip(NEXT) | instid1(SALU_CYCLE_1)
	s_and_b32 s6, exec_lo, s6
	s_or_b32 s5, s6, s5
	s_delay_alu instid0(SALU_CYCLE_1)
	s_and_not1_b32 exec_lo, exec_lo, s5
	s_cbranch_execz .LBB163_39
.LBB163_42:                             ;   Parent Loop BB163_40 Depth=1
                                        ; =>  This Loop Header: Depth=2
                                        ;       Child Loop BB163_48 Depth 3
                                        ;       Child Loop BB163_50 Depth 3
	;; [unrolled: 1-line block ×4, first 2 shown]
	s_delay_alu instid0(VALU_DEP_1)
	v_lshl_add_u32 v16, v15, 3, 0
	s_mov_b32 s6, exec_lo
                                        ; implicit-def: $sgpr7
	ds_load_b64 v[13:14], v16
	s_waitcnt lgkmcnt(0)
	v_cmpx_ne_u64_e64 v[13:14], v[11:12]
	s_xor_b32 s6, exec_lo, s6
	s_cbranch_execz .LBB163_54
; %bb.43:                               ;   in Loop: Header=BB163_42 Depth=2
	s_mov_b32 s8, exec_lo
                                        ; implicit-def: $sgpr7
	v_cmpx_ne_u64_e64 s[34:35], v[13:14]
	s_xor_b32 s8, exec_lo, s8
; %bb.44:                               ;   in Loop: Header=BB163_42 Depth=2
	v_add_nc_u32_e32 v13, 1, v15
	s_mov_b32 s7, -1
                                        ; implicit-def: $vgpr16
	s_delay_alu instid0(VALU_DEP_1)
	v_and_b32_e32 v15, 0x7ff, v13
; %bb.45:                               ;   in Loop: Header=BB163_42 Depth=2
	s_and_not1_saveexec_b32 s8, s8
	s_cbranch_execz .LBB163_53
; %bb.46:                               ;   in Loop: Header=BB163_42 Depth=2
	v_dual_mov_b32 v13, s34 :: v_dual_mov_b32 v14, s35
	s_mov_b32 s10, -1
	s_mov_b32 s9, exec_lo
	ds_cmpstore_rtn_b64 v[13:14], v16, v[11:12], v[13:14]
	s_waitcnt lgkmcnt(0)
	v_cmpx_eq_u64_e64 s[34:35], v[13:14]
	s_cbranch_execz .LBB163_52
; %bb.47:                               ;   in Loop: Header=BB163_42 Depth=2
	v_lshlrev_b32_e32 v13, 3, v15
	s_mov_b32 s10, 0
	s_delay_alu instid0(VALU_DEP_1)
	v_add_nc_u32_e32 v16, v16, v13
	ds_load_b64 v[13:14], v16 offset:16384
.LBB163_48:                             ;   Parent Loop BB163_40 Depth=1
                                        ;     Parent Loop BB163_42 Depth=2
                                        ; =>    This Inner Loop Header: Depth=3
	s_waitcnt lgkmcnt(0)
	v_add_f64 v[17:18], v[13:14], v[7:8]
	ds_cmpstore_rtn_b64 v[17:18], v16, v[17:18], v[13:14] offset:16384
	s_waitcnt lgkmcnt(0)
	v_cmp_eq_u64_e32 vcc_lo, v[17:18], v[13:14]
	v_dual_mov_b32 v13, v17 :: v_dual_mov_b32 v14, v18
	s_or_b32 s10, vcc_lo, s10
	s_delay_alu instid0(SALU_CYCLE_1)
	s_and_not1_b32 exec_lo, exec_lo, s10
	s_cbranch_execnz .LBB163_48
; %bb.49:                               ;   in Loop: Header=BB163_42 Depth=2
	s_or_b32 exec_lo, exec_lo, s10
	ds_load_b64 v[13:14], v16 offset:16392
	s_mov_b32 s10, 0
.LBB163_50:                             ;   Parent Loop BB163_40 Depth=1
                                        ;     Parent Loop BB163_42 Depth=2
                                        ; =>    This Inner Loop Header: Depth=3
	s_waitcnt lgkmcnt(0)
	v_add_f64 v[17:18], v[13:14], v[9:10]
	ds_cmpstore_rtn_b64 v[17:18], v16, v[17:18], v[13:14] offset:16392
	s_waitcnt lgkmcnt(0)
	v_cmp_eq_u64_e32 vcc_lo, v[17:18], v[13:14]
	v_dual_mov_b32 v13, v17 :: v_dual_mov_b32 v14, v18
	s_or_b32 s10, vcc_lo, s10
	s_delay_alu instid0(SALU_CYCLE_1)
	s_and_not1_b32 exec_lo, exec_lo, s10
	s_cbranch_execnz .LBB163_50
; %bb.51:                               ;   in Loop: Header=BB163_42 Depth=2
	s_or_b32 exec_lo, exec_lo, s10
	s_delay_alu instid0(SALU_CYCLE_1)
	s_xor_b32 s10, exec_lo, -1
.LBB163_52:                             ;   in Loop: Header=BB163_42 Depth=2
	s_or_b32 exec_lo, exec_lo, s9
	s_delay_alu instid0(SALU_CYCLE_1) | instskip(SKIP_1) | instid1(SALU_CYCLE_1)
	s_and_not1_b32 s7, s7, exec_lo
	s_and_b32 s9, s10, exec_lo
	s_or_b32 s7, s7, s9
.LBB163_53:                             ;   in Loop: Header=BB163_42 Depth=2
	s_or_b32 exec_lo, exec_lo, s8
	s_delay_alu instid0(SALU_CYCLE_1)
	s_and_b32 s7, s7, exec_lo
                                        ; implicit-def: $vgpr16
.LBB163_54:                             ;   in Loop: Header=BB163_42 Depth=2
	s_and_not1_saveexec_b32 s6, s6
	s_cbranch_execz .LBB163_41
; %bb.55:                               ;   in Loop: Header=BB163_42 Depth=2
	v_lshlrev_b32_e32 v13, 3, v15
	s_mov_b32 s8, 0
	s_delay_alu instid0(VALU_DEP_1)
	v_add_nc_u32_e32 v16, v16, v13
	ds_load_b64 v[13:14], v16 offset:16384
.LBB163_56:                             ;   Parent Loop BB163_40 Depth=1
                                        ;     Parent Loop BB163_42 Depth=2
                                        ; =>    This Inner Loop Header: Depth=3
	s_waitcnt lgkmcnt(0)
	v_add_f64 v[17:18], v[13:14], v[7:8]
	ds_cmpstore_rtn_b64 v[17:18], v16, v[17:18], v[13:14] offset:16384
	s_waitcnt lgkmcnt(0)
	v_cmp_eq_u64_e32 vcc_lo, v[17:18], v[13:14]
	v_dual_mov_b32 v13, v17 :: v_dual_mov_b32 v14, v18
	s_or_b32 s8, vcc_lo, s8
	s_delay_alu instid0(SALU_CYCLE_1)
	s_and_not1_b32 exec_lo, exec_lo, s8
	s_cbranch_execnz .LBB163_56
; %bb.57:                               ;   in Loop: Header=BB163_42 Depth=2
	s_or_b32 exec_lo, exec_lo, s8
	ds_load_b64 v[13:14], v16 offset:16392
	s_mov_b32 s8, 0
.LBB163_58:                             ;   Parent Loop BB163_40 Depth=1
                                        ;     Parent Loop BB163_42 Depth=2
                                        ; =>    This Inner Loop Header: Depth=3
	s_waitcnt lgkmcnt(0)
	v_add_f64 v[17:18], v[13:14], v[9:10]
	ds_cmpstore_rtn_b64 v[17:18], v16, v[17:18], v[13:14] offset:16392
	s_waitcnt lgkmcnt(0)
	v_cmp_eq_u64_e32 vcc_lo, v[17:18], v[13:14]
	v_dual_mov_b32 v13, v17 :: v_dual_mov_b32 v14, v18
	s_or_b32 s8, vcc_lo, s8
	s_delay_alu instid0(SALU_CYCLE_1)
	s_and_not1_b32 exec_lo, exec_lo, s8
	s_cbranch_execnz .LBB163_58
; %bb.59:                               ;   in Loop: Header=BB163_42 Depth=2
	s_or_b32 exec_lo, exec_lo, s8
	s_delay_alu instid0(SALU_CYCLE_1)
	s_and_not1_b32 s7, s7, exec_lo
	s_branch .LBB163_41
.LBB163_60:
	s_or_b32 exec_lo, exec_lo, s3
.LBB163_61:
	v_mbcnt_lo_u32_b32 v1, -1, 0
	v_lshrrev_b32_e32 v2, 3, v0
	v_cmp_eq_u32_e32 vcc_lo, 0x3ff, v0
	v_cmp_lt_u32_e64 s0, 63, v0
	v_cmp_lt_u32_e64 s1, 0x7f, v0
	v_xor_b32_e32 v1, 63, v1
	v_and_b32_e32 v3, 0x78, v2
	v_cmp_lt_u32_e64 s2, 0xbf, v0
	v_cmp_lt_u32_e64 s3, 0xff, v0
	;; [unrolled: 1-line block ×3, first 2 shown]
	v_lshrrev_b64 v[1:2], v1, -1
	v_add_nc_u32_e32 v10, 0, v3
	v_dual_mov_b32 v2, 0 :: v_dual_mov_b32 v5, 0
	v_cmp_lt_u32_e64 s5, 0x17f, v0
	v_cmp_lt_u32_e64 s6, 0x1bf, v0
	v_cmp_lt_u32_e64 s7, 0x1ff, v0
	v_cmp_lt_u32_e64 s8, 0x23f, v0
	v_cmp_lt_u32_e64 s9, 0x27f, v0
	v_cmp_lt_u32_e64 s10, 0x2bf, v0
	v_cmp_lt_u32_e64 s11, 0x2ff, v0
	v_cmp_lt_u32_e64 s12, 0x33f, v0
	v_cmp_lt_u32_e64 s13, 0x37f, v0
	v_cmp_lt_u32_e64 s14, 0x3bf, v0
	v_mov_b32_e32 v3, 0
	s_mov_b32 s16, 0
	s_waitcnt lgkmcnt(0)
	s_barrier
	buffer_gl0_inv
	s_branch .LBB163_63
.LBB163_62:                             ;   in Loop: Header=BB163_63 Depth=1
	s_or_b32 exec_lo, exec_lo, s15
	s_waitcnt lgkmcnt(0)
	s_barrier
	buffer_gl0_inv
	ds_load_b64 v[6:7], v5 offset:49272
	v_add_co_u32 v27, s15, 0x400, v27
	s_delay_alu instid0(VALU_DEP_1) | instskip(SKIP_4) | instid1(VALU_DEP_1)
	s_xor_b32 s17, s15, -1
	v_add_nc_u32_e32 v29, 0x4000, v29
	v_add_nc_u32_e32 v28, 0x2000, v28
	s_waitcnt lgkmcnt(0)
	v_add_co_u32 v2, s15, v6, v2
	v_add_co_ci_u32_e64 v3, s15, v7, v3, s15
	s_and_b32 s15, exec_lo, s17
	s_delay_alu instid0(SALU_CYCLE_1) | instskip(NEXT) | instid1(SALU_CYCLE_1)
	s_or_b32 s16, s15, s16
	s_and_not1_b32 exec_lo, exec_lo, s16
	s_cbranch_execz .LBB163_97
.LBB163_63:                             ; =>This Inner Loop Header: Depth=1
	ds_load_b64 v[6:7], v28
	ds_load_2addr_b64 v[11:14], v29 offset1:1
	s_waitcnt lgkmcnt(1)
	v_cmp_gt_i64_e64 s15, s[34:35], v[6:7]
	s_waitcnt lgkmcnt(0)
	scratch_store_b128 off, v[11:14], off
	s_waitcnt_vscnt null, 0x0
	s_barrier
	buffer_gl0_inv
	v_and_b32_e32 v8, s15, v1
	s_bcnt1_i32_b32 s17, s15
	s_delay_alu instid0(SALU_CYCLE_1) | instskip(NEXT) | instid1(VALU_DEP_2)
	v_mov_b32_e32 v4, s17
	v_bcnt_u32_b32 v8, v8, 0
	ds_store_b64 v10, v[4:5] offset:49152
	s_waitcnt lgkmcnt(0)
	s_barrier
	buffer_gl0_inv
	s_and_saveexec_b32 s17, s0
	s_cbranch_execnz .LBB163_80
; %bb.64:                               ;   in Loop: Header=BB163_63 Depth=1
	s_or_b32 exec_lo, exec_lo, s17
	s_and_saveexec_b32 s17, s1
	s_cbranch_execnz .LBB163_81
.LBB163_65:                             ;   in Loop: Header=BB163_63 Depth=1
	s_or_b32 exec_lo, exec_lo, s17
	s_and_saveexec_b32 s17, s2
	s_cbranch_execnz .LBB163_82
.LBB163_66:                             ;   in Loop: Header=BB163_63 Depth=1
	s_or_b32 exec_lo, exec_lo, s17
	s_and_saveexec_b32 s17, s3
	s_cbranch_execnz .LBB163_83
.LBB163_67:                             ;   in Loop: Header=BB163_63 Depth=1
	s_or_b32 exec_lo, exec_lo, s17
	s_and_saveexec_b32 s17, s4
	s_cbranch_execnz .LBB163_84
.LBB163_68:                             ;   in Loop: Header=BB163_63 Depth=1
	s_or_b32 exec_lo, exec_lo, s17
	s_and_saveexec_b32 s17, s5
	s_cbranch_execnz .LBB163_85
.LBB163_69:                             ;   in Loop: Header=BB163_63 Depth=1
	s_or_b32 exec_lo, exec_lo, s17
	s_and_saveexec_b32 s17, s6
	s_cbranch_execnz .LBB163_86
.LBB163_70:                             ;   in Loop: Header=BB163_63 Depth=1
	s_or_b32 exec_lo, exec_lo, s17
	s_and_saveexec_b32 s17, s7
	s_cbranch_execnz .LBB163_87
.LBB163_71:                             ;   in Loop: Header=BB163_63 Depth=1
	s_or_b32 exec_lo, exec_lo, s17
	s_and_saveexec_b32 s17, s8
	s_cbranch_execnz .LBB163_88
.LBB163_72:                             ;   in Loop: Header=BB163_63 Depth=1
	s_or_b32 exec_lo, exec_lo, s17
	s_and_saveexec_b32 s17, s9
	s_cbranch_execnz .LBB163_89
.LBB163_73:                             ;   in Loop: Header=BB163_63 Depth=1
	s_or_b32 exec_lo, exec_lo, s17
	s_and_saveexec_b32 s17, s10
	s_cbranch_execnz .LBB163_90
.LBB163_74:                             ;   in Loop: Header=BB163_63 Depth=1
	s_or_b32 exec_lo, exec_lo, s17
	s_and_saveexec_b32 s17, s11
	s_cbranch_execnz .LBB163_91
.LBB163_75:                             ;   in Loop: Header=BB163_63 Depth=1
	s_or_b32 exec_lo, exec_lo, s17
	s_and_saveexec_b32 s17, s12
	s_cbranch_execnz .LBB163_92
.LBB163_76:                             ;   in Loop: Header=BB163_63 Depth=1
	s_or_b32 exec_lo, exec_lo, s17
	s_and_saveexec_b32 s17, s13
	s_cbranch_execnz .LBB163_93
.LBB163_77:                             ;   in Loop: Header=BB163_63 Depth=1
	s_or_b32 exec_lo, exec_lo, s17
	s_and_saveexec_b32 s17, s14
	s_cbranch_execnz .LBB163_94
.LBB163_78:                             ;   in Loop: Header=BB163_63 Depth=1
	s_or_b32 exec_lo, exec_lo, s17
	v_ashrrev_i32_e32 v9, 31, v8
	s_and_saveexec_b32 s17, s15
	s_cbranch_execnz .LBB163_95
.LBB163_79:                             ;   in Loop: Header=BB163_63 Depth=1
	s_or_b32 exec_lo, exec_lo, s17
	s_and_saveexec_b32 s15, vcc_lo
	s_cbranch_execz .LBB163_62
	s_branch .LBB163_96
.LBB163_80:                             ;   in Loop: Header=BB163_63 Depth=1
	ds_load_b32 v4, v5 offset:49152
	s_waitcnt lgkmcnt(0)
	v_add_nc_u32_e32 v8, v4, v8
	s_or_b32 exec_lo, exec_lo, s17
	s_and_saveexec_b32 s17, s1
	s_cbranch_execz .LBB163_65
.LBB163_81:                             ;   in Loop: Header=BB163_63 Depth=1
	ds_load_b32 v4, v5 offset:49160
	s_waitcnt lgkmcnt(0)
	v_add_nc_u32_e32 v8, v8, v4
	s_or_b32 exec_lo, exec_lo, s17
	s_and_saveexec_b32 s17, s2
	s_cbranch_execz .LBB163_66
.LBB163_82:                             ;   in Loop: Header=BB163_63 Depth=1
	ds_load_b32 v4, v5 offset:49168
	s_waitcnt lgkmcnt(0)
	v_add_nc_u32_e32 v8, v8, v4
	s_or_b32 exec_lo, exec_lo, s17
	s_and_saveexec_b32 s17, s3
	s_cbranch_execz .LBB163_67
.LBB163_83:                             ;   in Loop: Header=BB163_63 Depth=1
	ds_load_b32 v4, v5 offset:49176
	s_waitcnt lgkmcnt(0)
	v_add_nc_u32_e32 v8, v8, v4
	s_or_b32 exec_lo, exec_lo, s17
	s_and_saveexec_b32 s17, s4
	s_cbranch_execz .LBB163_68
.LBB163_84:                             ;   in Loop: Header=BB163_63 Depth=1
	ds_load_b32 v4, v5 offset:49184
	s_waitcnt lgkmcnt(0)
	v_add_nc_u32_e32 v8, v8, v4
	s_or_b32 exec_lo, exec_lo, s17
	s_and_saveexec_b32 s17, s5
	s_cbranch_execz .LBB163_69
.LBB163_85:                             ;   in Loop: Header=BB163_63 Depth=1
	ds_load_b32 v4, v5 offset:49192
	s_waitcnt lgkmcnt(0)
	v_add_nc_u32_e32 v8, v8, v4
	s_or_b32 exec_lo, exec_lo, s17
	s_and_saveexec_b32 s17, s6
	s_cbranch_execz .LBB163_70
.LBB163_86:                             ;   in Loop: Header=BB163_63 Depth=1
	ds_load_b32 v4, v5 offset:49200
	s_waitcnt lgkmcnt(0)
	v_add_nc_u32_e32 v8, v8, v4
	s_or_b32 exec_lo, exec_lo, s17
	s_and_saveexec_b32 s17, s7
	s_cbranch_execz .LBB163_71
.LBB163_87:                             ;   in Loop: Header=BB163_63 Depth=1
	ds_load_b32 v4, v5 offset:49208
	s_waitcnt lgkmcnt(0)
	v_add_nc_u32_e32 v8, v8, v4
	s_or_b32 exec_lo, exec_lo, s17
	s_and_saveexec_b32 s17, s8
	s_cbranch_execz .LBB163_72
.LBB163_88:                             ;   in Loop: Header=BB163_63 Depth=1
	ds_load_b32 v4, v5 offset:49216
	s_waitcnt lgkmcnt(0)
	v_add_nc_u32_e32 v8, v8, v4
	s_or_b32 exec_lo, exec_lo, s17
	s_and_saveexec_b32 s17, s9
	s_cbranch_execz .LBB163_73
.LBB163_89:                             ;   in Loop: Header=BB163_63 Depth=1
	ds_load_b32 v4, v5 offset:49224
	s_waitcnt lgkmcnt(0)
	v_add_nc_u32_e32 v8, v8, v4
	s_or_b32 exec_lo, exec_lo, s17
	s_and_saveexec_b32 s17, s10
	s_cbranch_execz .LBB163_74
.LBB163_90:                             ;   in Loop: Header=BB163_63 Depth=1
	ds_load_b32 v4, v5 offset:49232
	s_waitcnt lgkmcnt(0)
	v_add_nc_u32_e32 v8, v8, v4
	s_or_b32 exec_lo, exec_lo, s17
	s_and_saveexec_b32 s17, s11
	s_cbranch_execz .LBB163_75
.LBB163_91:                             ;   in Loop: Header=BB163_63 Depth=1
	ds_load_b32 v4, v5 offset:49240
	s_waitcnt lgkmcnt(0)
	v_add_nc_u32_e32 v8, v8, v4
	s_or_b32 exec_lo, exec_lo, s17
	s_and_saveexec_b32 s17, s12
	s_cbranch_execz .LBB163_76
.LBB163_92:                             ;   in Loop: Header=BB163_63 Depth=1
	ds_load_b32 v4, v5 offset:49248
	s_waitcnt lgkmcnt(0)
	v_add_nc_u32_e32 v8, v8, v4
	s_or_b32 exec_lo, exec_lo, s17
	s_and_saveexec_b32 s17, s13
	s_cbranch_execz .LBB163_77
.LBB163_93:                             ;   in Loop: Header=BB163_63 Depth=1
	ds_load_b32 v4, v5 offset:49256
	s_waitcnt lgkmcnt(0)
	v_add_nc_u32_e32 v8, v8, v4
	s_or_b32 exec_lo, exec_lo, s17
	s_and_saveexec_b32 s17, s14
	s_cbranch_execz .LBB163_78
.LBB163_94:                             ;   in Loop: Header=BB163_63 Depth=1
	ds_load_b32 v4, v5 offset:49264
	s_waitcnt lgkmcnt(0)
	v_add_nc_u32_e32 v8, v8, v4
	s_or_b32 exec_lo, exec_lo, s17
	s_delay_alu instid0(VALU_DEP_1)
	v_ashrrev_i32_e32 v9, 31, v8
	s_and_saveexec_b32 s17, s15
	s_cbranch_execz .LBB163_79
.LBB163_95:                             ;   in Loop: Header=BB163_63 Depth=1
	scratch_load_b128 v[11:14], off, off
	v_add3_u32 v4, v2, -1, v8
	s_delay_alu instid0(VALU_DEP_1) | instskip(SKIP_1) | instid1(VALU_DEP_2)
	v_lshlrev_b32_e32 v15, 4, v4
	v_lshl_add_u32 v4, v4, 3, 0
	v_add3_u32 v15, 0, v15, 0x4000
	ds_store_b64 v4, v[6:7]
	s_waitcnt vmcnt(0)
	ds_store_2addr_b64 v15, v[11:12], v[13:14] offset1:1
	s_or_b32 exec_lo, exec_lo, s17
	s_and_saveexec_b32 s15, vcc_lo
	s_cbranch_execz .LBB163_62
.LBB163_96:                             ;   in Loop: Header=BB163_63 Depth=1
	ds_store_b64 v5, v[8:9] offset:49272
	s_branch .LBB163_62
.LBB163_97:
	s_or_b32 exec_lo, exec_lo, s16
	s_lshl_b64 s[0:1], s[36:37], 3
	v_mov_b32_e32 v1, 0
	s_add_u32 s0, s18, s0
	s_addc_u32 s1, s19, s1
	s_mov_b32 s6, exec_lo
	s_load_b128 s[0:3], s[0:1], 0x0
	s_waitcnt lgkmcnt(0)
	s_sub_u32 s4, s2, s0
	s_subb_u32 s5, s3, s1
	s_delay_alu instid0(SALU_CYCLE_1)
	v_cmpx_gt_i64_e64 s[4:5], v[0:1]
	s_cbranch_execz .LBB163_107
; %bb.98:
	s_sub_u32 s8, s0, s22
	s_subb_u32 s9, s1, 0
	s_and_b32 s6, s4, 7
	s_sub_u32 s0, s0, s2
	s_subb_u32 s1, s1, s3
	s_mov_b32 s7, 0
	v_cmp_lt_u64_e64 s12, s[0:1], -7
	s_and_b32 s2, s4, -8
	s_cmp_lg_u64 s[6:7], 0
	s_mov_b32 s3, s5
	s_cselect_b32 s13, -1, 0
	s_mov_b32 s14, s7
	s_branch .LBB163_100
.LBB163_99:                             ;   in Loop: Header=BB163_100 Depth=1
	v_lshlrev_b32_e32 v7, 3, v0
	s_waitcnt lgkmcnt(0)
	v_add_co_u32 v2, vcc_lo, v2, s22
	v_lshlrev_b64 v[10:11], 3, v[4:5]
	v_add_co_ci_u32_e32 v3, vcc_lo, 0, v3, vcc_lo
	v_add3_u32 v6, v6, v7, 0x4000
	v_add_co_u32 v0, vcc_lo, 0x400, v0
	v_add_co_ci_u32_e32 v1, vcc_lo, 0, v1, vcc_lo
	ds_load_2addr_b64 v[6:9], v6 offset1:1
	v_lshlrev_b64 v[4:5], 4, v[4:5]
	v_add_co_u32 v10, vcc_lo, s24, v10
	v_add_co_ci_u32_e32 v11, vcc_lo, s25, v11, vcc_lo
	v_cmp_le_i64_e32 vcc_lo, s[4:5], v[0:1]
	s_delay_alu instid0(VALU_DEP_4) | instskip(NEXT) | instid1(VALU_DEP_1)
	v_add_co_u32 v4, s0, s26, v4
	v_add_co_ci_u32_e64 v5, s0, s27, v5, s0
	global_store_b64 v[10:11], v[2:3], off
	s_waitcnt lgkmcnt(0)
	global_store_b128 v[4:5], v[6:9], off
	s_or_b32 s14, vcc_lo, s14
	s_delay_alu instid0(SALU_CYCLE_1)
	s_and_not1_b32 exec_lo, exec_lo, s14
	s_cbranch_execz .LBB163_107
.LBB163_100:                            ; =>This Loop Header: Depth=1
                                        ;     Child Loop BB163_102 Depth 2
                                        ;     Child Loop BB163_106 Depth 2
	v_lshl_add_u32 v6, v0, 3, 0
	v_dual_mov_b32 v4, s8 :: v_dual_mov_b32 v5, s9
	s_and_not1_b32 vcc_lo, exec_lo, s12
	s_mov_b64 s[0:1], 0
	ds_load_b64 v[2:3], v6
	s_cbranch_vccnz .LBB163_104
; %bb.101:                              ;   in Loop: Header=BB163_100 Depth=1
	v_dual_mov_b32 v4, s8 :: v_dual_mov_b32 v5, s9
	s_mov_b64 s[10:11], 0
	s_mov_b32 s1, 0
.LBB163_102:                            ;   Parent Loop BB163_100 Depth=1
                                        ; =>  This Inner Loop Header: Depth=2
	s_delay_alu instid0(SALU_CYCLE_1)
	v_mov_b32_e32 v19, s1
	s_add_u32 s10, s10, 8
	s_addc_u32 s11, s11, 0
	s_add_i32 s1, s1, 64
	s_cmp_eq_u64 s[2:3], s[10:11]
	ds_load_2addr_b64 v[7:10], v19 offset1:1
	ds_load_2addr_b64 v[11:14], v19 offset0:2 offset1:3
	ds_load_2addr_b64 v[15:18], v19 offset0:4 offset1:5
	;; [unrolled: 1-line block ×3, first 2 shown]
	s_waitcnt lgkmcnt(3)
	v_cmp_gt_i64_e32 vcc_lo, v[2:3], v[7:8]
	v_cndmask_b32_e64 v7, 0, 1, vcc_lo
	v_cmp_gt_i64_e32 vcc_lo, v[2:3], v[9:10]
	v_cndmask_b32_e64 v8, 0, 1, vcc_lo
	s_waitcnt lgkmcnt(2)
	v_cmp_gt_i64_e32 vcc_lo, v[2:3], v[11:12]
	v_cndmask_b32_e64 v9, 0, 1, vcc_lo
	v_cmp_gt_i64_e32 vcc_lo, v[2:3], v[13:14]
	v_cndmask_b32_e64 v10, 0, 1, vcc_lo
	s_waitcnt lgkmcnt(1)
	v_cmp_gt_i64_e32 vcc_lo, v[2:3], v[15:16]
	v_cndmask_b32_e64 v11, 0, 1, vcc_lo
	v_add_co_u32 v4, vcc_lo, v4, v7
	v_add_co_ci_u32_e32 v5, vcc_lo, 0, v5, vcc_lo
	v_cmp_gt_i64_e32 vcc_lo, v[2:3], v[17:18]
	s_delay_alu instid0(VALU_DEP_3) | instskip(NEXT) | instid1(VALU_DEP_1)
	v_add_co_u32 v4, s0, v4, v8
	v_add_co_ci_u32_e64 v5, s0, 0, v5, s0
	v_cndmask_b32_e64 v7, 0, 1, vcc_lo
	s_delay_alu instid0(VALU_DEP_3) | instskip(NEXT) | instid1(VALU_DEP_3)
	v_add_co_u32 v4, vcc_lo, v4, v9
	v_add_co_ci_u32_e32 v5, vcc_lo, 0, v5, vcc_lo
	s_waitcnt lgkmcnt(0)
	v_cmp_gt_i64_e32 vcc_lo, v[2:3], v[19:20]
	s_delay_alu instid0(VALU_DEP_3) | instskip(NEXT) | instid1(VALU_DEP_1)
	v_add_co_u32 v4, s0, v4, v10
	v_add_co_ci_u32_e64 v5, s0, 0, v5, s0
	v_cndmask_b32_e64 v8, 0, 1, vcc_lo
	s_delay_alu instid0(VALU_DEP_3) | instskip(NEXT) | instid1(VALU_DEP_3)
	v_add_co_u32 v4, vcc_lo, v4, v11
	v_add_co_ci_u32_e32 v5, vcc_lo, 0, v5, vcc_lo
	v_cmp_gt_i64_e32 vcc_lo, v[2:3], v[21:22]
	s_delay_alu instid0(VALU_DEP_3) | instskip(NEXT) | instid1(VALU_DEP_1)
	v_add_co_u32 v4, s0, v4, v7
	v_add_co_ci_u32_e64 v5, s0, 0, v5, s0
	v_cndmask_b32_e64 v7, 0, 1, vcc_lo
	s_delay_alu instid0(VALU_DEP_3) | instskip(NEXT) | instid1(VALU_DEP_3)
	v_add_co_u32 v4, vcc_lo, v4, v8
	v_add_co_ci_u32_e32 v5, vcc_lo, 0, v5, vcc_lo
	s_delay_alu instid0(VALU_DEP_2) | instskip(NEXT) | instid1(VALU_DEP_2)
	v_add_co_u32 v4, vcc_lo, v4, v7
	v_add_co_ci_u32_e32 v5, vcc_lo, 0, v5, vcc_lo
	s_cbranch_scc0 .LBB163_102
; %bb.103:                              ;   in Loop: Header=BB163_100 Depth=1
	s_mov_b64 s[0:1], s[2:3]
.LBB163_104:                            ;   in Loop: Header=BB163_100 Depth=1
	s_and_not1_b32 vcc_lo, exec_lo, s13
	s_cbranch_vccnz .LBB163_99
; %bb.105:                              ;   in Loop: Header=BB163_100 Depth=1
	s_lshl_b32 s0, s0, 3
	s_delay_alu instid0(SALU_CYCLE_1)
	s_add_i32 s10, s0, 0
	s_mov_b64 s[0:1], s[6:7]
.LBB163_106:                            ;   Parent Loop BB163_100 Depth=1
                                        ; =>  This Inner Loop Header: Depth=2
	v_mov_b32_e32 v7, s10
	s_add_i32 s10, s10, 8
	s_add_u32 s0, s0, -1
	s_addc_u32 s1, s1, -1
	s_delay_alu instid0(SALU_CYCLE_1) | instskip(SKIP_4) | instid1(VALU_DEP_1)
	s_cmp_lg_u64 s[0:1], 0
	ds_load_b64 v[7:8], v7
	s_waitcnt lgkmcnt(0)
	v_cmp_gt_i64_e32 vcc_lo, v[2:3], v[7:8]
	v_cndmask_b32_e64 v7, 0, 1, vcc_lo
	v_add_co_u32 v4, vcc_lo, v4, v7
	v_add_co_ci_u32_e32 v5, vcc_lo, 0, v5, vcc_lo
	s_cbranch_scc1 .LBB163_106
	s_branch .LBB163_99
.LBB163_107:
	s_nop 0
	s_sendmsg sendmsg(MSG_DEALLOC_VGPRS)
	s_endpgm
	.section	.rodata,"a",@progbits
	.p2align	6, 0x0
	.amdhsa_kernel _ZN9rocsparseL26csrgemm_fill_block_per_rowILj1024ELj32ELj2048ELj137ELj64Ell21rocsparse_complex_numIdEEEvT5_PKS3_S5_NS_24const_host_device_scalarIT6_EEPKT4_S5_PKS7_SB_S5_SD_S8_SB_S5_SD_SB_PS3_PS7_21rocsparse_index_base_SG_SG_SG_bbb
		.amdhsa_group_segment_fixed_size 0
		.amdhsa_private_segment_fixed_size 40
		.amdhsa_kernarg_size 172
		.amdhsa_user_sgpr_count 15
		.amdhsa_user_sgpr_dispatch_ptr 0
		.amdhsa_user_sgpr_queue_ptr 0
		.amdhsa_user_sgpr_kernarg_segment_ptr 1
		.amdhsa_user_sgpr_dispatch_id 0
		.amdhsa_user_sgpr_private_segment_size 0
		.amdhsa_wavefront_size32 1
		.amdhsa_uses_dynamic_stack 0
		.amdhsa_enable_private_segment 1
		.amdhsa_system_sgpr_workgroup_id_x 1
		.amdhsa_system_sgpr_workgroup_id_y 0
		.amdhsa_system_sgpr_workgroup_id_z 0
		.amdhsa_system_sgpr_workgroup_info 0
		.amdhsa_system_vgpr_workitem_id 0
		.amdhsa_next_free_vgpr 36
		.amdhsa_next_free_sgpr 48
		.amdhsa_reserve_vcc 1
		.amdhsa_float_round_mode_32 0
		.amdhsa_float_round_mode_16_64 0
		.amdhsa_float_denorm_mode_32 3
		.amdhsa_float_denorm_mode_16_64 3
		.amdhsa_dx10_clamp 1
		.amdhsa_ieee_mode 1
		.amdhsa_fp16_overflow 0
		.amdhsa_workgroup_processor_mode 1
		.amdhsa_memory_ordered 1
		.amdhsa_forward_progress 0
		.amdhsa_shared_vgpr_count 0
		.amdhsa_exception_fp_ieee_invalid_op 0
		.amdhsa_exception_fp_denorm_src 0
		.amdhsa_exception_fp_ieee_div_zero 0
		.amdhsa_exception_fp_ieee_overflow 0
		.amdhsa_exception_fp_ieee_underflow 0
		.amdhsa_exception_fp_ieee_inexact 0
		.amdhsa_exception_int_div_zero 0
	.end_amdhsa_kernel
	.section	.text._ZN9rocsparseL26csrgemm_fill_block_per_rowILj1024ELj32ELj2048ELj137ELj64Ell21rocsparse_complex_numIdEEEvT5_PKS3_S5_NS_24const_host_device_scalarIT6_EEPKT4_S5_PKS7_SB_S5_SD_S8_SB_S5_SD_SB_PS3_PS7_21rocsparse_index_base_SG_SG_SG_bbb,"axG",@progbits,_ZN9rocsparseL26csrgemm_fill_block_per_rowILj1024ELj32ELj2048ELj137ELj64Ell21rocsparse_complex_numIdEEEvT5_PKS3_S5_NS_24const_host_device_scalarIT6_EEPKT4_S5_PKS7_SB_S5_SD_S8_SB_S5_SD_SB_PS3_PS7_21rocsparse_index_base_SG_SG_SG_bbb,comdat
.Lfunc_end163:
	.size	_ZN9rocsparseL26csrgemm_fill_block_per_rowILj1024ELj32ELj2048ELj137ELj64Ell21rocsparse_complex_numIdEEEvT5_PKS3_S5_NS_24const_host_device_scalarIT6_EEPKT4_S5_PKS7_SB_S5_SD_S8_SB_S5_SD_SB_PS3_PS7_21rocsparse_index_base_SG_SG_SG_bbb, .Lfunc_end163-_ZN9rocsparseL26csrgemm_fill_block_per_rowILj1024ELj32ELj2048ELj137ELj64Ell21rocsparse_complex_numIdEEEvT5_PKS3_S5_NS_24const_host_device_scalarIT6_EEPKT4_S5_PKS7_SB_S5_SD_S8_SB_S5_SD_SB_PS3_PS7_21rocsparse_index_base_SG_SG_SG_bbb
                                        ; -- End function
	.section	.AMDGPU.csdata,"",@progbits
; Kernel info:
; codeLenInByte = 4452
; NumSgprs: 50
; NumVgprs: 36
; ScratchSize: 40
; MemoryBound: 0
; FloatMode: 240
; IeeeMode: 1
; LDSByteSize: 0 bytes/workgroup (compile time only)
; SGPRBlocks: 6
; VGPRBlocks: 4
; NumSGPRsForWavesPerEU: 50
; NumVGPRsForWavesPerEU: 36
; Occupancy: 16
; WaveLimiterHint : 1
; COMPUTE_PGM_RSRC2:SCRATCH_EN: 1
; COMPUTE_PGM_RSRC2:USER_SGPR: 15
; COMPUTE_PGM_RSRC2:TRAP_HANDLER: 0
; COMPUTE_PGM_RSRC2:TGID_X_EN: 1
; COMPUTE_PGM_RSRC2:TGID_Y_EN: 0
; COMPUTE_PGM_RSRC2:TGID_Z_EN: 0
; COMPUTE_PGM_RSRC2:TIDIG_COMP_CNT: 0
	.section	.text._ZN9rocsparseL26csrgemm_fill_block_per_rowILj1024ELj64ELj4096ELj137ELj32Ell21rocsparse_complex_numIdEEEvT5_PKS3_S5_NS_24const_host_device_scalarIT6_EEPKT4_S5_PKS7_SB_S5_SD_S8_SB_S5_SD_SB_PS3_PS7_21rocsparse_index_base_SG_SG_SG_bbb,"axG",@progbits,_ZN9rocsparseL26csrgemm_fill_block_per_rowILj1024ELj64ELj4096ELj137ELj32Ell21rocsparse_complex_numIdEEEvT5_PKS3_S5_NS_24const_host_device_scalarIT6_EEPKT4_S5_PKS7_SB_S5_SD_S8_SB_S5_SD_SB_PS3_PS7_21rocsparse_index_base_SG_SG_SG_bbb,comdat
	.globl	_ZN9rocsparseL26csrgemm_fill_block_per_rowILj1024ELj64ELj4096ELj137ELj32Ell21rocsparse_complex_numIdEEEvT5_PKS3_S5_NS_24const_host_device_scalarIT6_EEPKT4_S5_PKS7_SB_S5_SD_S8_SB_S5_SD_SB_PS3_PS7_21rocsparse_index_base_SG_SG_SG_bbb ; -- Begin function _ZN9rocsparseL26csrgemm_fill_block_per_rowILj1024ELj64ELj4096ELj137ELj32Ell21rocsparse_complex_numIdEEEvT5_PKS3_S5_NS_24const_host_device_scalarIT6_EEPKT4_S5_PKS7_SB_S5_SD_S8_SB_S5_SD_SB_PS3_PS7_21rocsparse_index_base_SG_SG_SG_bbb
	.p2align	8
	.type	_ZN9rocsparseL26csrgemm_fill_block_per_rowILj1024ELj64ELj4096ELj137ELj32Ell21rocsparse_complex_numIdEEEvT5_PKS3_S5_NS_24const_host_device_scalarIT6_EEPKT4_S5_PKS7_SB_S5_SD_S8_SB_S5_SD_SB_PS3_PS7_21rocsparse_index_base_SG_SG_SG_bbb,@function
_ZN9rocsparseL26csrgemm_fill_block_per_rowILj1024ELj64ELj4096ELj137ELj32Ell21rocsparse_complex_numIdEEEvT5_PKS3_S5_NS_24const_host_device_scalarIT6_EEPKT4_S5_PKS7_SB_S5_SD_S8_SB_S5_SD_SB_PS3_PS7_21rocsparse_index_base_SG_SG_SG_bbb: ; @_ZN9rocsparseL26csrgemm_fill_block_per_rowILj1024ELj64ELj4096ELj137ELj32Ell21rocsparse_complex_numIdEEEvT5_PKS3_S5_NS_24const_host_device_scalarIT6_EEPKT4_S5_PKS7_SB_S5_SD_S8_SB_S5_SD_SB_PS3_PS7_21rocsparse_index_base_SG_SG_SG_bbb
; %bb.0:
	s_clause 0x3
	s_load_b32 s27, s[0:1], 0xa8
	s_load_b128 s[4:7], s[0:1], 0x18
	s_load_b128 s[16:19], s[0:1], 0x58
	;; [unrolled: 1-line block ×3, first 2 shown]
	v_mov_b32_e32 v1, 0
	v_mov_b32_e32 v2, 0
	s_mov_b32 s24, s15
	s_waitcnt lgkmcnt(0)
	s_bitcmp1_b32 s27, 0
	v_mov_b32_e32 v3, s4
	s_cselect_b32 s26, -1, 0
	s_bitcmp1_b32 s27, 16
	v_dual_mov_b32 v6, v2 :: v_dual_mov_b32 v5, v1
	s_cselect_b32 s2, -1, 0
	v_mov_b32_e32 v4, s5
	s_xor_b32 s25, s2, -1
	v_dual_mov_b32 v9, s16 :: v_dual_mov_b32 v10, s17
	v_cndmask_b32_e64 v7, 0, 1, s25
	s_bitcmp0_b32 s27, 0
	s_clause 0x1
	scratch_store_b64 off, v[3:4], off offset:16
	scratch_store_b64 off, v[9:10], off offset:24
	v_cmp_ne_u32_e32 vcc_lo, 1, v7
	v_dual_mov_b32 v8, v2 :: v_dual_mov_b32 v7, v1
	s_cbranch_scc1 .LBB164_3
; %bb.1:
	s_mov_b64 s[8:9], src_private_base
	s_and_b32 s3, s2, exec_lo
	s_cselect_b32 s3, s9, s5
	s_delay_alu instid0(SALU_CYCLE_1) | instskip(SKIP_2) | instid1(VALU_DEP_2)
	v_dual_mov_b32 v3, 16 :: v_dual_mov_b32 v4, s3
	v_dual_mov_b32 v8, s7 :: v_dual_mov_b32 v7, s6
	s_and_b32 vcc_lo, exec_lo, vcc_lo
	v_cndmask_b32_e64 v3, s4, v3, s2
	flat_load_b64 v[5:6], v[3:4]
	s_cbranch_vccnz .LBB164_3
; %bb.2:
	v_dual_mov_b32 v3, s4 :: v_dual_mov_b32 v4, s5
	flat_load_b64 v[7:8], v[3:4] offset:8
.LBB164_3:
	s_clause 0x4
	s_load_b128 s[48:51], s[0:1], 0x88
	s_load_b256 s[36:43], s[0:1], 0x68
	s_load_b128 s[12:15], s[0:1], 0x48
	s_load_b128 s[20:23], s[0:1], 0x8
	s_load_b256 s[4:11], s[0:1], 0x28
	s_bitcmp1_b32 s27, 8
	v_dual_mov_b32 v4, v2 :: v_dual_mov_b32 v3, v1
	s_cselect_b32 s3, -1, 0
	s_bfe_u32 s27, s27, 0x10008
	s_delay_alu instid0(SALU_CYCLE_1)
	s_cmp_eq_u32 s27, 0
	s_cbranch_scc1 .LBB164_6
; %bb.4:
	s_mov_b64 s[28:29], src_private_base
	s_and_b32 s27, s2, exec_lo
	s_cselect_b32 s27, s29, s17
	s_delay_alu instid0(SALU_CYCLE_1) | instskip(SKIP_1) | instid1(VALU_DEP_1)
	v_dual_mov_b32 v1, 24 :: v_dual_mov_b32 v2, s27
	s_and_not1_b32 vcc_lo, exec_lo, s25
	v_cndmask_b32_e64 v1, s16, v1, s2
	flat_load_b64 v[3:4], v[1:2]
	v_dual_mov_b32 v1, s18 :: v_dual_mov_b32 v2, s19
	s_cbranch_vccnz .LBB164_6
; %bb.5:
	v_dual_mov_b32 v1, s16 :: v_dual_mov_b32 v2, s17
	flat_load_b64 v[1:2], v[1:2] offset:8
.LBB164_6:
	s_load_b64 s[34:35], s[0:1], 0x0
	s_mov_b32 s0, 0
	v_or_b32_e32 v27, 0xfffffc00, v0
	s_mov_b32 s1, s0
	s_delay_alu instid0(SALU_CYCLE_1) | instskip(SKIP_3) | instid1(VALU_DEP_2)
	v_dual_mov_b32 v10, s1 :: v_dual_lshlrev_b32 v11, 4, v0
	v_lshl_add_u32 v28, v0, 3, 0
	s_mov_b32 s16, s0
	s_mov_b32 s17, s0
	v_add3_u32 v29, v11, 0, 0x8000
	v_dual_mov_b32 v11, s16 :: v_dual_mov_b32 v16, v27
	v_dual_mov_b32 v9, s0 :: v_dual_mov_b32 v12, s17
	v_mov_b32_e32 v15, v28
	s_delay_alu instid0(VALU_DEP_4)
	v_mov_b32_e32 v17, v29
	s_waitcnt lgkmcnt(0)
	v_dual_mov_b32 v13, s34 :: v_dual_mov_b32 v14, s35
.LBB164_7:                              ; =>This Inner Loop Header: Depth=1
	v_add_nc_u32_e32 v16, 0x400, v16
	ds_store_b64 v15, v[13:14]
	ds_store_2addr_b64 v17, v[9:10], v[11:12] offset1:1
	v_add_nc_u32_e32 v17, 0x4000, v17
	v_add_nc_u32_e32 v15, 0x2000, v15
	v_cmp_lt_u32_e32 vcc_lo, 0xbff, v16
	s_or_b32 s0, vcc_lo, s0
	s_delay_alu instid0(SALU_CYCLE_1)
	s_and_not1_b32 exec_lo, exec_lo, s0
	s_cbranch_execnz .LBB164_7
; %bb.8:
	s_or_b32 exec_lo, exec_lo, s0
	s_waitcnt vmcnt(0) lgkmcnt(0)
	s_waitcnt_vscnt null, 0x0
	s_barrier
	buffer_gl0_inv
	s_load_b64 s[0:1], s[20:21], 0x0
	s_mov_b32 s25, 0
	s_waitcnt lgkmcnt(0)
	s_lshl_b64 s[0:1], s[0:1], 3
	s_delay_alu instid0(SALU_CYCLE_1) | instskip(SKIP_2) | instid1(SALU_CYCLE_1)
	s_add_u32 s2, s22, s0
	s_addc_u32 s16, s23, s1
	s_lshl_b64 s[0:1], s[24:25], 3
	s_add_u32 s0, s2, s0
	s_addc_u32 s1, s16, s1
	s_and_b32 vcc_lo, exec_lo, s26
	s_load_b64 s[52:53], s[0:1], 0x0
	s_cbranch_vccz .LBB164_36
; %bb.9:
	s_waitcnt lgkmcnt(0)
	s_lshl_b64 s[0:1], s[52:53], 3
	v_lshrrev_b32_e32 v9, 6, v0
	s_add_u32 s0, s4, s0
	s_addc_u32 s1, s5, s1
	s_mov_b32 s2, exec_lo
	s_load_b128 s[16:19], s[0:1], 0x0
	v_sub_co_u32 v9, s0, v9, s44
	s_delay_alu instid0(VALU_DEP_1) | instskip(SKIP_1) | instid1(VALU_DEP_2)
	v_sub_co_ci_u32_e64 v10, null, 0, 0, s0
	s_waitcnt lgkmcnt(0)
	v_add_co_u32 v9, vcc_lo, s16, v9
	s_delay_alu instid0(VALU_DEP_2)
	v_add_co_ci_u32_e32 v10, vcc_lo, s17, v10, vcc_lo
	s_sub_u32 s0, s18, s44
	s_subb_u32 s1, s19, 0
	s_delay_alu instid0(VALU_DEP_1) | instid1(SALU_CYCLE_1)
	v_cmpx_gt_i64_e64 s[0:1], v[9:10]
	s_cbranch_execz .LBB164_35
; %bb.10:
	v_and_b32_e32 v11, 63, v0
	s_mov_b32 s5, s45
	s_delay_alu instid0(VALU_DEP_1) | instskip(NEXT) | instid1(VALU_DEP_1)
	v_sub_co_u32 v30, s4, v11, s45
	v_sub_co_ci_u32_e64 v31, null, 0, 0, s4
	s_mov_b32 s4, 0
	s_branch .LBB164_12
.LBB164_11:                             ;   in Loop: Header=BB164_12 Depth=1
	s_or_b32 exec_lo, exec_lo, s16
	v_add_co_u32 v9, vcc_lo, v9, 16
	v_add_co_ci_u32_e32 v10, vcc_lo, 0, v10, vcc_lo
	s_delay_alu instid0(VALU_DEP_1) | instskip(SKIP_1) | instid1(SALU_CYCLE_1)
	v_cmp_le_i64_e32 vcc_lo, s[0:1], v[9:10]
	s_or_b32 s4, vcc_lo, s4
	s_and_not1_b32 exec_lo, exec_lo, s4
	s_cbranch_execz .LBB164_35
.LBB164_12:                             ; =>This Loop Header: Depth=1
                                        ;     Child Loop BB164_15 Depth 2
                                        ;       Child Loop BB164_17 Depth 3
                                        ;         Child Loop BB164_23 Depth 4
                                        ;         Child Loop BB164_25 Depth 4
	;; [unrolled: 1-line block ×4, first 2 shown]
	v_lshlrev_b64 v[11:12], 3, v[9:10]
	s_mov_b32 s16, exec_lo
	s_delay_alu instid0(VALU_DEP_1) | instskip(NEXT) | instid1(VALU_DEP_2)
	v_add_co_u32 v11, vcc_lo, s6, v11
	v_add_co_ci_u32_e32 v12, vcc_lo, s7, v12, vcc_lo
	global_load_b64 v[11:12], v[11:12], off
	s_waitcnt vmcnt(0)
	v_sub_co_u32 v11, vcc_lo, v11, s44
	v_subrev_co_ci_u32_e32 v12, vcc_lo, 0, v12, vcc_lo
	s_delay_alu instid0(VALU_DEP_1) | instskip(NEXT) | instid1(VALU_DEP_1)
	v_lshlrev_b64 v[11:12], 3, v[11:12]
	v_add_co_u32 v11, vcc_lo, s10, v11
	s_delay_alu instid0(VALU_DEP_2)
	v_add_co_ci_u32_e32 v12, vcc_lo, s11, v12, vcc_lo
	global_load_b128 v[13:16], v[11:12], off
	s_waitcnt vmcnt(0)
	v_sub_co_u32 v11, vcc_lo, v15, s5
	v_subrev_co_ci_u32_e32 v12, vcc_lo, 0, v16, vcc_lo
	v_add_co_u32 v13, vcc_lo, v13, v30
	v_add_co_ci_u32_e32 v14, vcc_lo, v14, v31, vcc_lo
	s_delay_alu instid0(VALU_DEP_1)
	v_cmpx_lt_i64_e64 v[13:14], v[11:12]
	s_cbranch_execz .LBB164_11
; %bb.13:                               ;   in Loop: Header=BB164_12 Depth=1
	v_lshlrev_b64 v[15:16], 4, v[9:10]
	s_mov_b32 s17, 0
	s_delay_alu instid0(VALU_DEP_1) | instskip(NEXT) | instid1(VALU_DEP_2)
	v_add_co_u32 v15, vcc_lo, s8, v15
	v_add_co_ci_u32_e32 v16, vcc_lo, s9, v16, vcc_lo
	global_load_b128 v[17:20], v[15:16], off
	s_waitcnt vmcnt(0)
	v_mul_f64 v[15:16], v[19:20], -v[7:8]
	v_mul_f64 v[19:20], v[5:6], v[19:20]
	s_delay_alu instid0(VALU_DEP_2) | instskip(NEXT) | instid1(VALU_DEP_2)
	v_fma_f64 v[15:16], v[5:6], v[17:18], v[15:16]
	v_fma_f64 v[17:18], v[7:8], v[17:18], v[19:20]
	s_branch .LBB164_15
.LBB164_14:                             ;   in Loop: Header=BB164_15 Depth=2
	s_or_b32 exec_lo, exec_lo, s18
	v_add_co_u32 v13, vcc_lo, v13, 64
	v_add_co_ci_u32_e32 v14, vcc_lo, 0, v14, vcc_lo
	s_delay_alu instid0(VALU_DEP_1) | instskip(SKIP_1) | instid1(SALU_CYCLE_1)
	v_cmp_ge_i64_e32 vcc_lo, v[13:14], v[11:12]
	s_or_b32 s17, vcc_lo, s17
	s_and_not1_b32 exec_lo, exec_lo, s17
	s_cbranch_execz .LBB164_11
.LBB164_15:                             ;   Parent Loop BB164_12 Depth=1
                                        ; =>  This Loop Header: Depth=2
                                        ;       Child Loop BB164_17 Depth 3
                                        ;         Child Loop BB164_23 Depth 4
                                        ;         Child Loop BB164_25 Depth 4
	;; [unrolled: 1-line block ×4, first 2 shown]
	v_lshlrev_b64 v[19:20], 4, v[13:14]
	s_mov_b32 s18, 0
	s_delay_alu instid0(VALU_DEP_1) | instskip(NEXT) | instid1(VALU_DEP_2)
	v_add_co_u32 v19, vcc_lo, s14, v19
	v_add_co_ci_u32_e32 v20, vcc_lo, s15, v20, vcc_lo
	global_load_b128 v[21:24], v[19:20], off
	v_lshlrev_b64 v[19:20], 3, v[13:14]
	s_delay_alu instid0(VALU_DEP_1) | instskip(NEXT) | instid1(VALU_DEP_2)
	v_add_co_u32 v19, vcc_lo, s12, v19
	v_add_co_ci_u32_e32 v20, vcc_lo, s13, v20, vcc_lo
	global_load_b64 v[25:26], v[19:20], off
	s_waitcnt vmcnt(1)
	v_mul_f64 v[19:20], v[23:24], -v[17:18]
	v_mul_f64 v[23:24], v[15:16], v[23:24]
	s_delay_alu instid0(VALU_DEP_2) | instskip(NEXT) | instid1(VALU_DEP_2)
	v_fma_f64 v[19:20], v[15:16], v[21:22], v[19:20]
	v_fma_f64 v[21:22], v[17:18], v[21:22], v[23:24]
	s_waitcnt vmcnt(0)
	v_sub_co_u32 v23, vcc_lo, v25, s5
	v_subrev_co_ci_u32_e32 v24, vcc_lo, 0, v26, vcc_lo
	s_delay_alu instid0(VALU_DEP_2) | instskip(NEXT) | instid1(VALU_DEP_1)
	v_mul_lo_u32 v25, 0x89, v23
	v_and_b32_e32 v32, 0xfff, v25
	s_branch .LBB164_17
.LBB164_16:                             ;   in Loop: Header=BB164_17 Depth=3
	s_or_b32 exec_lo, exec_lo, s19
	s_xor_b32 s19, s20, -1
	s_delay_alu instid0(SALU_CYCLE_1) | instskip(NEXT) | instid1(SALU_CYCLE_1)
	s_and_b32 s19, exec_lo, s19
	s_or_b32 s18, s19, s18
	s_delay_alu instid0(SALU_CYCLE_1)
	s_and_not1_b32 exec_lo, exec_lo, s18
	s_cbranch_execz .LBB164_14
.LBB164_17:                             ;   Parent Loop BB164_12 Depth=1
                                        ;     Parent Loop BB164_15 Depth=2
                                        ; =>    This Loop Header: Depth=3
                                        ;         Child Loop BB164_23 Depth 4
                                        ;         Child Loop BB164_25 Depth 4
	;; [unrolled: 1-line block ×4, first 2 shown]
	s_delay_alu instid0(VALU_DEP_1)
	v_lshl_add_u32 v33, v32, 3, 0
	s_mov_b32 s19, exec_lo
                                        ; implicit-def: $sgpr20
	ds_load_b64 v[25:26], v33
	s_waitcnt lgkmcnt(0)
	v_cmpx_ne_u64_e64 v[25:26], v[23:24]
	s_xor_b32 s19, exec_lo, s19
	s_cbranch_execz .LBB164_29
; %bb.18:                               ;   in Loop: Header=BB164_17 Depth=3
	s_mov_b32 s21, exec_lo
                                        ; implicit-def: $sgpr20
	v_cmpx_ne_u64_e64 s[34:35], v[25:26]
	s_xor_b32 s21, exec_lo, s21
; %bb.19:                               ;   in Loop: Header=BB164_17 Depth=3
	v_add_nc_u32_e32 v25, 1, v32
	s_mov_b32 s20, -1
                                        ; implicit-def: $vgpr33
	s_delay_alu instid0(VALU_DEP_1)
	v_and_b32_e32 v32, 0xfff, v25
; %bb.20:                               ;   in Loop: Header=BB164_17 Depth=3
	s_and_not1_saveexec_b32 s21, s21
	s_cbranch_execz .LBB164_28
; %bb.21:                               ;   in Loop: Header=BB164_17 Depth=3
	v_dual_mov_b32 v25, s34 :: v_dual_mov_b32 v26, s35
	s_mov_b32 s23, -1
	s_mov_b32 s22, exec_lo
	ds_cmpstore_rtn_b64 v[25:26], v33, v[23:24], v[25:26]
	s_waitcnt lgkmcnt(0)
	v_cmpx_eq_u64_e64 s[34:35], v[25:26]
	s_cbranch_execz .LBB164_27
; %bb.22:                               ;   in Loop: Header=BB164_17 Depth=3
	v_lshlrev_b32_e32 v25, 3, v32
	s_mov_b32 s23, 0
	s_delay_alu instid0(VALU_DEP_1)
	v_add_nc_u32_e32 v33, v33, v25
	ds_load_b64 v[25:26], v33 offset:32768
.LBB164_23:                             ;   Parent Loop BB164_12 Depth=1
                                        ;     Parent Loop BB164_15 Depth=2
                                        ;       Parent Loop BB164_17 Depth=3
                                        ; =>      This Inner Loop Header: Depth=4
	s_waitcnt lgkmcnt(0)
	v_add_f64 v[34:35], v[25:26], v[19:20]
	ds_cmpstore_rtn_b64 v[34:35], v33, v[34:35], v[25:26] offset:32768
	s_waitcnt lgkmcnt(0)
	v_cmp_eq_u64_e32 vcc_lo, v[34:35], v[25:26]
	v_dual_mov_b32 v25, v34 :: v_dual_mov_b32 v26, v35
	s_or_b32 s23, vcc_lo, s23
	s_delay_alu instid0(SALU_CYCLE_1)
	s_and_not1_b32 exec_lo, exec_lo, s23
	s_cbranch_execnz .LBB164_23
; %bb.24:                               ;   in Loop: Header=BB164_17 Depth=3
	s_or_b32 exec_lo, exec_lo, s23
	ds_load_b64 v[25:26], v33 offset:32776
	s_mov_b32 s23, 0
.LBB164_25:                             ;   Parent Loop BB164_12 Depth=1
                                        ;     Parent Loop BB164_15 Depth=2
                                        ;       Parent Loop BB164_17 Depth=3
                                        ; =>      This Inner Loop Header: Depth=4
	s_waitcnt lgkmcnt(0)
	v_add_f64 v[34:35], v[25:26], v[21:22]
	ds_cmpstore_rtn_b64 v[34:35], v33, v[34:35], v[25:26] offset:32776
	s_waitcnt lgkmcnt(0)
	v_cmp_eq_u64_e32 vcc_lo, v[34:35], v[25:26]
	v_dual_mov_b32 v25, v34 :: v_dual_mov_b32 v26, v35
	s_or_b32 s23, vcc_lo, s23
	s_delay_alu instid0(SALU_CYCLE_1)
	s_and_not1_b32 exec_lo, exec_lo, s23
	s_cbranch_execnz .LBB164_25
; %bb.26:                               ;   in Loop: Header=BB164_17 Depth=3
	s_or_b32 exec_lo, exec_lo, s23
	s_delay_alu instid0(SALU_CYCLE_1)
	s_xor_b32 s23, exec_lo, -1
.LBB164_27:                             ;   in Loop: Header=BB164_17 Depth=3
	s_or_b32 exec_lo, exec_lo, s22
	s_delay_alu instid0(SALU_CYCLE_1) | instskip(SKIP_1) | instid1(SALU_CYCLE_1)
	s_and_not1_b32 s20, s20, exec_lo
	s_and_b32 s22, s23, exec_lo
	s_or_b32 s20, s20, s22
.LBB164_28:                             ;   in Loop: Header=BB164_17 Depth=3
	s_or_b32 exec_lo, exec_lo, s21
	s_delay_alu instid0(SALU_CYCLE_1)
	s_and_b32 s20, s20, exec_lo
                                        ; implicit-def: $vgpr33
.LBB164_29:                             ;   in Loop: Header=BB164_17 Depth=3
	s_and_not1_saveexec_b32 s19, s19
	s_cbranch_execz .LBB164_16
; %bb.30:                               ;   in Loop: Header=BB164_17 Depth=3
	v_lshlrev_b32_e32 v25, 3, v32
	s_mov_b32 s21, 0
	s_delay_alu instid0(VALU_DEP_1)
	v_add_nc_u32_e32 v33, v33, v25
	ds_load_b64 v[25:26], v33 offset:32768
.LBB164_31:                             ;   Parent Loop BB164_12 Depth=1
                                        ;     Parent Loop BB164_15 Depth=2
                                        ;       Parent Loop BB164_17 Depth=3
                                        ; =>      This Inner Loop Header: Depth=4
	s_waitcnt lgkmcnt(0)
	v_add_f64 v[34:35], v[25:26], v[19:20]
	ds_cmpstore_rtn_b64 v[34:35], v33, v[34:35], v[25:26] offset:32768
	s_waitcnt lgkmcnt(0)
	v_cmp_eq_u64_e32 vcc_lo, v[34:35], v[25:26]
	v_dual_mov_b32 v25, v34 :: v_dual_mov_b32 v26, v35
	s_or_b32 s21, vcc_lo, s21
	s_delay_alu instid0(SALU_CYCLE_1)
	s_and_not1_b32 exec_lo, exec_lo, s21
	s_cbranch_execnz .LBB164_31
; %bb.32:                               ;   in Loop: Header=BB164_17 Depth=3
	s_or_b32 exec_lo, exec_lo, s21
	ds_load_b64 v[25:26], v33 offset:32776
	s_mov_b32 s21, 0
.LBB164_33:                             ;   Parent Loop BB164_12 Depth=1
                                        ;     Parent Loop BB164_15 Depth=2
                                        ;       Parent Loop BB164_17 Depth=3
                                        ; =>      This Inner Loop Header: Depth=4
	s_waitcnt lgkmcnt(0)
	v_add_f64 v[34:35], v[25:26], v[21:22]
	ds_cmpstore_rtn_b64 v[34:35], v33, v[34:35], v[25:26] offset:32776
	s_waitcnt lgkmcnt(0)
	v_cmp_eq_u64_e32 vcc_lo, v[34:35], v[25:26]
	v_dual_mov_b32 v25, v34 :: v_dual_mov_b32 v26, v35
	s_or_b32 s21, vcc_lo, s21
	s_delay_alu instid0(SALU_CYCLE_1)
	s_and_not1_b32 exec_lo, exec_lo, s21
	s_cbranch_execnz .LBB164_33
; %bb.34:                               ;   in Loop: Header=BB164_17 Depth=3
	s_or_b32 exec_lo, exec_lo, s21
	s_delay_alu instid0(SALU_CYCLE_1)
	s_and_not1_b32 s20, s20, exec_lo
	s_branch .LBB164_16
.LBB164_35:
	s_or_b32 exec_lo, exec_lo, s2
.LBB164_36:
	s_delay_alu instid0(SALU_CYCLE_1)
	s_and_not1_b32 vcc_lo, exec_lo, s3
	s_cbranch_vccnz .LBB164_61
; %bb.37:
	s_waitcnt lgkmcnt(0)
	s_lshl_b64 s[0:1], s[52:53], 3
	v_sub_co_u32 v5, s4, v0, s47
	s_add_u32 s0, s36, s0
	s_addc_u32 s1, s37, s1
	v_sub_co_ci_u32_e64 v6, null, 0, 0, s4
	s_load_b128 s[0:3], s[0:1], 0x0
	s_waitcnt lgkmcnt(0)
	v_add_co_u32 v5, vcc_lo, s0, v5
	s_delay_alu instid0(VALU_DEP_2)
	v_add_co_ci_u32_e32 v6, vcc_lo, s1, v6, vcc_lo
	s_sub_u32 s0, s2, s47
	s_subb_u32 s1, s3, 0
	s_mov_b32 s2, 0
	s_mov_b32 s3, exec_lo
	v_cmpx_gt_i64_e64 s[0:1], v[5:6]
	s_cbranch_execz .LBB164_60
; %bb.38:
	s_mov_b32 s4, s47
	s_branch .LBB164_40
.LBB164_39:                             ;   in Loop: Header=BB164_40 Depth=1
	s_or_b32 exec_lo, exec_lo, s5
	v_add_co_u32 v5, vcc_lo, 0x400, v5
	v_add_co_ci_u32_e32 v6, vcc_lo, 0, v6, vcc_lo
	s_delay_alu instid0(VALU_DEP_1) | instskip(SKIP_1) | instid1(SALU_CYCLE_1)
	v_cmp_le_i64_e32 vcc_lo, s[0:1], v[5:6]
	s_or_b32 s2, vcc_lo, s2
	s_and_not1_b32 exec_lo, exec_lo, s2
	s_cbranch_execz .LBB164_60
.LBB164_40:                             ; =>This Loop Header: Depth=1
                                        ;     Child Loop BB164_42 Depth 2
                                        ;       Child Loop BB164_48 Depth 3
                                        ;       Child Loop BB164_50 Depth 3
	;; [unrolled: 1-line block ×4, first 2 shown]
	v_lshlrev_b64 v[7:8], 4, v[5:6]
	s_mov_b32 s5, 0
	s_delay_alu instid0(VALU_DEP_1) | instskip(NEXT) | instid1(VALU_DEP_2)
	v_add_co_u32 v7, vcc_lo, s40, v7
	v_add_co_ci_u32_e32 v8, vcc_lo, s41, v8, vcc_lo
	global_load_b128 v[9:12], v[7:8], off
	v_lshlrev_b64 v[7:8], 3, v[5:6]
	s_delay_alu instid0(VALU_DEP_1) | instskip(NEXT) | instid1(VALU_DEP_2)
	v_add_co_u32 v7, vcc_lo, s38, v7
	v_add_co_ci_u32_e32 v8, vcc_lo, s39, v8, vcc_lo
	global_load_b64 v[13:14], v[7:8], off
	s_waitcnt vmcnt(1)
	v_mul_f64 v[7:8], v[11:12], -v[1:2]
	v_mul_f64 v[11:12], v[3:4], v[11:12]
	s_delay_alu instid0(VALU_DEP_2) | instskip(NEXT) | instid1(VALU_DEP_2)
	v_fma_f64 v[7:8], v[3:4], v[9:10], v[7:8]
	v_fma_f64 v[9:10], v[1:2], v[9:10], v[11:12]
	s_waitcnt vmcnt(0)
	v_sub_co_u32 v11, vcc_lo, v13, s4
	v_subrev_co_ci_u32_e32 v12, vcc_lo, 0, v14, vcc_lo
	s_delay_alu instid0(VALU_DEP_2) | instskip(NEXT) | instid1(VALU_DEP_1)
	v_mul_lo_u32 v13, 0x89, v11
	v_and_b32_e32 v15, 0xfff, v13
	s_branch .LBB164_42
.LBB164_41:                             ;   in Loop: Header=BB164_42 Depth=2
	s_or_b32 exec_lo, exec_lo, s6
	s_xor_b32 s6, s7, -1
	s_delay_alu instid0(SALU_CYCLE_1) | instskip(NEXT) | instid1(SALU_CYCLE_1)
	s_and_b32 s6, exec_lo, s6
	s_or_b32 s5, s6, s5
	s_delay_alu instid0(SALU_CYCLE_1)
	s_and_not1_b32 exec_lo, exec_lo, s5
	s_cbranch_execz .LBB164_39
.LBB164_42:                             ;   Parent Loop BB164_40 Depth=1
                                        ; =>  This Loop Header: Depth=2
                                        ;       Child Loop BB164_48 Depth 3
                                        ;       Child Loop BB164_50 Depth 3
	;; [unrolled: 1-line block ×4, first 2 shown]
	s_delay_alu instid0(VALU_DEP_1)
	v_lshl_add_u32 v16, v15, 3, 0
	s_mov_b32 s6, exec_lo
                                        ; implicit-def: $sgpr7
	ds_load_b64 v[13:14], v16
	s_waitcnt lgkmcnt(0)
	v_cmpx_ne_u64_e64 v[13:14], v[11:12]
	s_xor_b32 s6, exec_lo, s6
	s_cbranch_execz .LBB164_54
; %bb.43:                               ;   in Loop: Header=BB164_42 Depth=2
	s_mov_b32 s8, exec_lo
                                        ; implicit-def: $sgpr7
	v_cmpx_ne_u64_e64 s[34:35], v[13:14]
	s_xor_b32 s8, exec_lo, s8
; %bb.44:                               ;   in Loop: Header=BB164_42 Depth=2
	v_add_nc_u32_e32 v13, 1, v15
	s_mov_b32 s7, -1
                                        ; implicit-def: $vgpr16
	s_delay_alu instid0(VALU_DEP_1)
	v_and_b32_e32 v15, 0xfff, v13
; %bb.45:                               ;   in Loop: Header=BB164_42 Depth=2
	s_and_not1_saveexec_b32 s8, s8
	s_cbranch_execz .LBB164_53
; %bb.46:                               ;   in Loop: Header=BB164_42 Depth=2
	v_dual_mov_b32 v13, s34 :: v_dual_mov_b32 v14, s35
	s_mov_b32 s10, -1
	s_mov_b32 s9, exec_lo
	ds_cmpstore_rtn_b64 v[13:14], v16, v[11:12], v[13:14]
	s_waitcnt lgkmcnt(0)
	v_cmpx_eq_u64_e64 s[34:35], v[13:14]
	s_cbranch_execz .LBB164_52
; %bb.47:                               ;   in Loop: Header=BB164_42 Depth=2
	v_lshlrev_b32_e32 v13, 3, v15
	s_mov_b32 s10, 0
	s_delay_alu instid0(VALU_DEP_1)
	v_add_nc_u32_e32 v16, v16, v13
	ds_load_b64 v[13:14], v16 offset:32768
.LBB164_48:                             ;   Parent Loop BB164_40 Depth=1
                                        ;     Parent Loop BB164_42 Depth=2
                                        ; =>    This Inner Loop Header: Depth=3
	s_waitcnt lgkmcnt(0)
	v_add_f64 v[17:18], v[13:14], v[7:8]
	ds_cmpstore_rtn_b64 v[17:18], v16, v[17:18], v[13:14] offset:32768
	s_waitcnt lgkmcnt(0)
	v_cmp_eq_u64_e32 vcc_lo, v[17:18], v[13:14]
	v_dual_mov_b32 v13, v17 :: v_dual_mov_b32 v14, v18
	s_or_b32 s10, vcc_lo, s10
	s_delay_alu instid0(SALU_CYCLE_1)
	s_and_not1_b32 exec_lo, exec_lo, s10
	s_cbranch_execnz .LBB164_48
; %bb.49:                               ;   in Loop: Header=BB164_42 Depth=2
	s_or_b32 exec_lo, exec_lo, s10
	ds_load_b64 v[13:14], v16 offset:32776
	s_mov_b32 s10, 0
.LBB164_50:                             ;   Parent Loop BB164_40 Depth=1
                                        ;     Parent Loop BB164_42 Depth=2
                                        ; =>    This Inner Loop Header: Depth=3
	s_waitcnt lgkmcnt(0)
	v_add_f64 v[17:18], v[13:14], v[9:10]
	ds_cmpstore_rtn_b64 v[17:18], v16, v[17:18], v[13:14] offset:32776
	s_waitcnt lgkmcnt(0)
	v_cmp_eq_u64_e32 vcc_lo, v[17:18], v[13:14]
	v_dual_mov_b32 v13, v17 :: v_dual_mov_b32 v14, v18
	s_or_b32 s10, vcc_lo, s10
	s_delay_alu instid0(SALU_CYCLE_1)
	s_and_not1_b32 exec_lo, exec_lo, s10
	s_cbranch_execnz .LBB164_50
; %bb.51:                               ;   in Loop: Header=BB164_42 Depth=2
	s_or_b32 exec_lo, exec_lo, s10
	s_delay_alu instid0(SALU_CYCLE_1)
	s_xor_b32 s10, exec_lo, -1
.LBB164_52:                             ;   in Loop: Header=BB164_42 Depth=2
	s_or_b32 exec_lo, exec_lo, s9
	s_delay_alu instid0(SALU_CYCLE_1) | instskip(SKIP_1) | instid1(SALU_CYCLE_1)
	s_and_not1_b32 s7, s7, exec_lo
	s_and_b32 s9, s10, exec_lo
	s_or_b32 s7, s7, s9
.LBB164_53:                             ;   in Loop: Header=BB164_42 Depth=2
	s_or_b32 exec_lo, exec_lo, s8
	s_delay_alu instid0(SALU_CYCLE_1)
	s_and_b32 s7, s7, exec_lo
                                        ; implicit-def: $vgpr16
.LBB164_54:                             ;   in Loop: Header=BB164_42 Depth=2
	s_and_not1_saveexec_b32 s6, s6
	s_cbranch_execz .LBB164_41
; %bb.55:                               ;   in Loop: Header=BB164_42 Depth=2
	v_lshlrev_b32_e32 v13, 3, v15
	s_mov_b32 s8, 0
	s_delay_alu instid0(VALU_DEP_1)
	v_add_nc_u32_e32 v16, v16, v13
	ds_load_b64 v[13:14], v16 offset:32768
.LBB164_56:                             ;   Parent Loop BB164_40 Depth=1
                                        ;     Parent Loop BB164_42 Depth=2
                                        ; =>    This Inner Loop Header: Depth=3
	s_waitcnt lgkmcnt(0)
	v_add_f64 v[17:18], v[13:14], v[7:8]
	ds_cmpstore_rtn_b64 v[17:18], v16, v[17:18], v[13:14] offset:32768
	s_waitcnt lgkmcnt(0)
	v_cmp_eq_u64_e32 vcc_lo, v[17:18], v[13:14]
	v_dual_mov_b32 v13, v17 :: v_dual_mov_b32 v14, v18
	s_or_b32 s8, vcc_lo, s8
	s_delay_alu instid0(SALU_CYCLE_1)
	s_and_not1_b32 exec_lo, exec_lo, s8
	s_cbranch_execnz .LBB164_56
; %bb.57:                               ;   in Loop: Header=BB164_42 Depth=2
	s_or_b32 exec_lo, exec_lo, s8
	ds_load_b64 v[13:14], v16 offset:32776
	s_mov_b32 s8, 0
.LBB164_58:                             ;   Parent Loop BB164_40 Depth=1
                                        ;     Parent Loop BB164_42 Depth=2
                                        ; =>    This Inner Loop Header: Depth=3
	s_waitcnt lgkmcnt(0)
	v_add_f64 v[17:18], v[13:14], v[9:10]
	ds_cmpstore_rtn_b64 v[17:18], v16, v[17:18], v[13:14] offset:32776
	s_waitcnt lgkmcnt(0)
	v_cmp_eq_u64_e32 vcc_lo, v[17:18], v[13:14]
	v_dual_mov_b32 v13, v17 :: v_dual_mov_b32 v14, v18
	s_or_b32 s8, vcc_lo, s8
	s_delay_alu instid0(SALU_CYCLE_1)
	s_and_not1_b32 exec_lo, exec_lo, s8
	s_cbranch_execnz .LBB164_58
; %bb.59:                               ;   in Loop: Header=BB164_42 Depth=2
	s_or_b32 exec_lo, exec_lo, s8
	s_delay_alu instid0(SALU_CYCLE_1)
	s_and_not1_b32 s7, s7, exec_lo
	s_branch .LBB164_41
.LBB164_60:
	s_or_b32 exec_lo, exec_lo, s3
.LBB164_61:
	v_mbcnt_lo_u32_b32 v1, -1, 0
	v_lshrrev_b32_e32 v2, 2, v0
	s_add_i32 s73, 0, 0x180f8
	v_cmp_eq_u32_e32 vcc_lo, 0x3ff, v0
	v_cmp_lt_u32_e64 s0, 31, v0
	v_xor_b32_e32 v1, 63, v1
	v_and_b32_e32 v3, 0xf8, v2
	v_cmp_lt_u32_e64 s1, 63, v0
	v_cmp_lt_u32_e64 s2, 0x5f, v0
	;; [unrolled: 1-line block ×3, first 2 shown]
	v_lshrrev_b64 v[1:2], v1, -1
	v_add3_u32 v10, 0, 0x18000, v3
	v_dual_mov_b32 v2, 0 :: v_dual_mov_b32 v5, 0
	v_cmp_lt_u32_e64 s4, 0x9f, v0
	v_cmp_lt_u32_e64 s5, 0xbf, v0
	;; [unrolled: 1-line block ×27, first 2 shown]
	v_mov_b32_e32 v3, 0
	v_mov_b32_e32 v11, s73
	s_mov_b32 s36, 0
	s_add_i32 s37, 0, 0x18000
	s_add_i32 s38, 0, 0x18008
	;; [unrolled: 1-line block ×31, first 2 shown]
	s_waitcnt lgkmcnt(0)
	s_barrier
	buffer_gl0_inv
	s_branch .LBB164_63
.LBB164_62:                             ;   in Loop: Header=BB164_63 Depth=1
	s_or_b32 exec_lo, exec_lo, s31
	s_waitcnt lgkmcnt(0)
	s_barrier
	buffer_gl0_inv
	ds_load_b64 v[6:7], v11
	v_add_nc_u32_e32 v27, 0x400, v27
	v_add_nc_u32_e32 v29, 0x4000, v29
	;; [unrolled: 1-line block ×3, first 2 shown]
	s_delay_alu instid0(VALU_DEP_3) | instskip(NEXT) | instid1(VALU_DEP_1)
	v_cmp_lt_u32_e64 s31, 0xbff, v27
	s_or_b32 s36, s31, s36
	s_waitcnt lgkmcnt(0)
	v_add_co_u32 v2, s33, v6, v2
	s_delay_alu instid0(VALU_DEP_1)
	v_add_co_ci_u32_e64 v3, s33, v7, v3, s33
	s_and_not1_b32 exec_lo, exec_lo, s36
	s_cbranch_execz .LBB164_129
.LBB164_63:                             ; =>This Inner Loop Header: Depth=1
	ds_load_b64 v[6:7], v28
	ds_load_2addr_b64 v[12:15], v29 offset1:1
	s_waitcnt lgkmcnt(1)
	v_cmp_gt_i64_e64 s31, s[34:35], v[6:7]
	s_waitcnt lgkmcnt(0)
	scratch_store_b128 off, v[12:15], off
	s_waitcnt_vscnt null, 0x0
	s_barrier
	buffer_gl0_inv
	v_and_b32_e32 v8, s31, v1
	s_bcnt1_i32_b32 s33, s31
	s_delay_alu instid0(SALU_CYCLE_1) | instskip(NEXT) | instid1(VALU_DEP_2)
	v_mov_b32_e32 v4, s33
	v_bcnt_u32_b32 v8, v8, 0
	ds_store_b64 v10, v[4:5]
	s_waitcnt lgkmcnt(0)
	s_barrier
	buffer_gl0_inv
	s_and_saveexec_b32 s33, s0
	s_cbranch_execnz .LBB164_96
; %bb.64:                               ;   in Loop: Header=BB164_63 Depth=1
	s_or_b32 exec_lo, exec_lo, s33
	s_and_saveexec_b32 s33, s1
	s_cbranch_execnz .LBB164_97
.LBB164_65:                             ;   in Loop: Header=BB164_63 Depth=1
	s_or_b32 exec_lo, exec_lo, s33
	s_and_saveexec_b32 s33, s2
	s_cbranch_execnz .LBB164_98
.LBB164_66:                             ;   in Loop: Header=BB164_63 Depth=1
	s_or_b32 exec_lo, exec_lo, s33
	s_and_saveexec_b32 s33, s3
	s_cbranch_execnz .LBB164_99
.LBB164_67:                             ;   in Loop: Header=BB164_63 Depth=1
	s_or_b32 exec_lo, exec_lo, s33
	s_and_saveexec_b32 s33, s4
	s_cbranch_execnz .LBB164_100
.LBB164_68:                             ;   in Loop: Header=BB164_63 Depth=1
	s_or_b32 exec_lo, exec_lo, s33
	s_and_saveexec_b32 s33, s5
	s_cbranch_execnz .LBB164_101
.LBB164_69:                             ;   in Loop: Header=BB164_63 Depth=1
	s_or_b32 exec_lo, exec_lo, s33
	s_and_saveexec_b32 s33, s6
	s_cbranch_execnz .LBB164_102
.LBB164_70:                             ;   in Loop: Header=BB164_63 Depth=1
	s_or_b32 exec_lo, exec_lo, s33
	s_and_saveexec_b32 s33, s7
	s_cbranch_execnz .LBB164_103
.LBB164_71:                             ;   in Loop: Header=BB164_63 Depth=1
	s_or_b32 exec_lo, exec_lo, s33
	s_and_saveexec_b32 s33, s8
	s_cbranch_execnz .LBB164_104
.LBB164_72:                             ;   in Loop: Header=BB164_63 Depth=1
	s_or_b32 exec_lo, exec_lo, s33
	s_and_saveexec_b32 s33, s9
	s_cbranch_execnz .LBB164_105
.LBB164_73:                             ;   in Loop: Header=BB164_63 Depth=1
	s_or_b32 exec_lo, exec_lo, s33
	s_and_saveexec_b32 s33, s10
	s_cbranch_execnz .LBB164_106
.LBB164_74:                             ;   in Loop: Header=BB164_63 Depth=1
	s_or_b32 exec_lo, exec_lo, s33
	s_and_saveexec_b32 s33, s11
	s_cbranch_execnz .LBB164_107
.LBB164_75:                             ;   in Loop: Header=BB164_63 Depth=1
	s_or_b32 exec_lo, exec_lo, s33
	s_and_saveexec_b32 s33, s12
	s_cbranch_execnz .LBB164_108
.LBB164_76:                             ;   in Loop: Header=BB164_63 Depth=1
	s_or_b32 exec_lo, exec_lo, s33
	s_and_saveexec_b32 s33, s13
	s_cbranch_execnz .LBB164_109
.LBB164_77:                             ;   in Loop: Header=BB164_63 Depth=1
	s_or_b32 exec_lo, exec_lo, s33
	s_and_saveexec_b32 s33, s14
	s_cbranch_execnz .LBB164_110
.LBB164_78:                             ;   in Loop: Header=BB164_63 Depth=1
	s_or_b32 exec_lo, exec_lo, s33
	s_and_saveexec_b32 s33, s15
	s_cbranch_execnz .LBB164_111
.LBB164_79:                             ;   in Loop: Header=BB164_63 Depth=1
	s_or_b32 exec_lo, exec_lo, s33
	s_and_saveexec_b32 s33, s16
	s_cbranch_execnz .LBB164_112
.LBB164_80:                             ;   in Loop: Header=BB164_63 Depth=1
	s_or_b32 exec_lo, exec_lo, s33
	s_and_saveexec_b32 s33, s17
	s_cbranch_execnz .LBB164_113
.LBB164_81:                             ;   in Loop: Header=BB164_63 Depth=1
	s_or_b32 exec_lo, exec_lo, s33
	s_and_saveexec_b32 s33, s18
	s_cbranch_execnz .LBB164_114
.LBB164_82:                             ;   in Loop: Header=BB164_63 Depth=1
	s_or_b32 exec_lo, exec_lo, s33
	s_and_saveexec_b32 s33, s19
	s_cbranch_execnz .LBB164_115
.LBB164_83:                             ;   in Loop: Header=BB164_63 Depth=1
	s_or_b32 exec_lo, exec_lo, s33
	s_and_saveexec_b32 s33, s20
	s_cbranch_execnz .LBB164_116
.LBB164_84:                             ;   in Loop: Header=BB164_63 Depth=1
	s_or_b32 exec_lo, exec_lo, s33
	s_and_saveexec_b32 s33, s21
	s_cbranch_execnz .LBB164_117
.LBB164_85:                             ;   in Loop: Header=BB164_63 Depth=1
	s_or_b32 exec_lo, exec_lo, s33
	s_and_saveexec_b32 s33, s22
	s_cbranch_execnz .LBB164_118
.LBB164_86:                             ;   in Loop: Header=BB164_63 Depth=1
	s_or_b32 exec_lo, exec_lo, s33
	s_and_saveexec_b32 s33, s23
	s_cbranch_execnz .LBB164_119
.LBB164_87:                             ;   in Loop: Header=BB164_63 Depth=1
	s_or_b32 exec_lo, exec_lo, s33
	s_and_saveexec_b32 s33, s24
	s_cbranch_execnz .LBB164_120
.LBB164_88:                             ;   in Loop: Header=BB164_63 Depth=1
	s_or_b32 exec_lo, exec_lo, s33
	s_and_saveexec_b32 s33, s25
	s_cbranch_execnz .LBB164_121
.LBB164_89:                             ;   in Loop: Header=BB164_63 Depth=1
	s_or_b32 exec_lo, exec_lo, s33
	s_and_saveexec_b32 s33, s26
	s_cbranch_execnz .LBB164_122
.LBB164_90:                             ;   in Loop: Header=BB164_63 Depth=1
	s_or_b32 exec_lo, exec_lo, s33
	s_and_saveexec_b32 s33, s27
	s_cbranch_execnz .LBB164_123
.LBB164_91:                             ;   in Loop: Header=BB164_63 Depth=1
	s_or_b32 exec_lo, exec_lo, s33
	s_and_saveexec_b32 s33, s28
	s_cbranch_execnz .LBB164_124
.LBB164_92:                             ;   in Loop: Header=BB164_63 Depth=1
	s_or_b32 exec_lo, exec_lo, s33
	s_and_saveexec_b32 s33, s29
	s_cbranch_execnz .LBB164_125
.LBB164_93:                             ;   in Loop: Header=BB164_63 Depth=1
	s_or_b32 exec_lo, exec_lo, s33
	s_and_saveexec_b32 s33, s30
	s_cbranch_execnz .LBB164_126
.LBB164_94:                             ;   in Loop: Header=BB164_63 Depth=1
	s_or_b32 exec_lo, exec_lo, s33
	v_ashrrev_i32_e32 v9, 31, v8
	s_and_saveexec_b32 s33, s31
	s_cbranch_execnz .LBB164_127
.LBB164_95:                             ;   in Loop: Header=BB164_63 Depth=1
	s_or_b32 exec_lo, exec_lo, s33
	s_and_saveexec_b32 s31, vcc_lo
	s_cbranch_execz .LBB164_62
	s_branch .LBB164_128
.LBB164_96:                             ;   in Loop: Header=BB164_63 Depth=1
	v_mov_b32_e32 v4, s37
	ds_load_b32 v4, v4
	s_waitcnt lgkmcnt(0)
	v_add_nc_u32_e32 v8, v4, v8
	s_or_b32 exec_lo, exec_lo, s33
	s_and_saveexec_b32 s33, s1
	s_cbranch_execz .LBB164_65
.LBB164_97:                             ;   in Loop: Header=BB164_63 Depth=1
	v_mov_b32_e32 v4, s38
	ds_load_b32 v4, v4
	s_waitcnt lgkmcnt(0)
	v_add_nc_u32_e32 v8, v8, v4
	s_or_b32 exec_lo, exec_lo, s33
	s_and_saveexec_b32 s33, s2
	s_cbranch_execz .LBB164_66
.LBB164_98:                             ;   in Loop: Header=BB164_63 Depth=1
	v_mov_b32_e32 v4, s39
	ds_load_b32 v4, v4
	s_waitcnt lgkmcnt(0)
	v_add_nc_u32_e32 v8, v8, v4
	s_or_b32 exec_lo, exec_lo, s33
	s_and_saveexec_b32 s33, s3
	s_cbranch_execz .LBB164_67
.LBB164_99:                             ;   in Loop: Header=BB164_63 Depth=1
	v_mov_b32_e32 v4, s40
	ds_load_b32 v4, v4
	s_waitcnt lgkmcnt(0)
	v_add_nc_u32_e32 v8, v8, v4
	s_or_b32 exec_lo, exec_lo, s33
	s_and_saveexec_b32 s33, s4
	s_cbranch_execz .LBB164_68
.LBB164_100:                            ;   in Loop: Header=BB164_63 Depth=1
	v_mov_b32_e32 v4, s41
	ds_load_b32 v4, v4
	s_waitcnt lgkmcnt(0)
	v_add_nc_u32_e32 v8, v8, v4
	s_or_b32 exec_lo, exec_lo, s33
	s_and_saveexec_b32 s33, s5
	s_cbranch_execz .LBB164_69
.LBB164_101:                            ;   in Loop: Header=BB164_63 Depth=1
	v_mov_b32_e32 v4, s44
	ds_load_b32 v4, v4
	s_waitcnt lgkmcnt(0)
	v_add_nc_u32_e32 v8, v8, v4
	s_or_b32 exec_lo, exec_lo, s33
	s_and_saveexec_b32 s33, s6
	s_cbranch_execz .LBB164_70
.LBB164_102:                            ;   in Loop: Header=BB164_63 Depth=1
	v_mov_b32_e32 v4, s45
	ds_load_b32 v4, v4
	s_waitcnt lgkmcnt(0)
	v_add_nc_u32_e32 v8, v8, v4
	s_or_b32 exec_lo, exec_lo, s33
	s_and_saveexec_b32 s33, s7
	s_cbranch_execz .LBB164_71
.LBB164_103:                            ;   in Loop: Header=BB164_63 Depth=1
	v_mov_b32_e32 v4, s47
	ds_load_b32 v4, v4
	s_waitcnt lgkmcnt(0)
	v_add_nc_u32_e32 v8, v8, v4
	s_or_b32 exec_lo, exec_lo, s33
	s_and_saveexec_b32 s33, s8
	s_cbranch_execz .LBB164_72
.LBB164_104:                            ;   in Loop: Header=BB164_63 Depth=1
	v_mov_b32_e32 v4, s54
	ds_load_b32 v4, v4
	s_waitcnt lgkmcnt(0)
	v_add_nc_u32_e32 v8, v8, v4
	s_or_b32 exec_lo, exec_lo, s33
	s_and_saveexec_b32 s33, s9
	s_cbranch_execz .LBB164_73
.LBB164_105:                            ;   in Loop: Header=BB164_63 Depth=1
	v_mov_b32_e32 v4, s55
	ds_load_b32 v4, v4
	s_waitcnt lgkmcnt(0)
	v_add_nc_u32_e32 v8, v8, v4
	s_or_b32 exec_lo, exec_lo, s33
	s_and_saveexec_b32 s33, s10
	s_cbranch_execz .LBB164_74
.LBB164_106:                            ;   in Loop: Header=BB164_63 Depth=1
	v_mov_b32_e32 v4, s56
	ds_load_b32 v4, v4
	s_waitcnt lgkmcnt(0)
	v_add_nc_u32_e32 v8, v8, v4
	s_or_b32 exec_lo, exec_lo, s33
	s_and_saveexec_b32 s33, s11
	s_cbranch_execz .LBB164_75
.LBB164_107:                            ;   in Loop: Header=BB164_63 Depth=1
	v_mov_b32_e32 v4, s57
	ds_load_b32 v4, v4
	s_waitcnt lgkmcnt(0)
	v_add_nc_u32_e32 v8, v8, v4
	s_or_b32 exec_lo, exec_lo, s33
	s_and_saveexec_b32 s33, s12
	s_cbranch_execz .LBB164_76
.LBB164_108:                            ;   in Loop: Header=BB164_63 Depth=1
	v_mov_b32_e32 v4, s58
	ds_load_b32 v4, v4
	s_waitcnt lgkmcnt(0)
	v_add_nc_u32_e32 v8, v8, v4
	s_or_b32 exec_lo, exec_lo, s33
	s_and_saveexec_b32 s33, s13
	s_cbranch_execz .LBB164_77
.LBB164_109:                            ;   in Loop: Header=BB164_63 Depth=1
	v_mov_b32_e32 v4, s59
	ds_load_b32 v4, v4
	s_waitcnt lgkmcnt(0)
	v_add_nc_u32_e32 v8, v8, v4
	s_or_b32 exec_lo, exec_lo, s33
	s_and_saveexec_b32 s33, s14
	s_cbranch_execz .LBB164_78
.LBB164_110:                            ;   in Loop: Header=BB164_63 Depth=1
	v_mov_b32_e32 v4, s60
	ds_load_b32 v4, v4
	s_waitcnt lgkmcnt(0)
	v_add_nc_u32_e32 v8, v8, v4
	s_or_b32 exec_lo, exec_lo, s33
	s_and_saveexec_b32 s33, s15
	s_cbranch_execz .LBB164_79
.LBB164_111:                            ;   in Loop: Header=BB164_63 Depth=1
	v_mov_b32_e32 v4, s61
	ds_load_b32 v4, v4
	s_waitcnt lgkmcnt(0)
	v_add_nc_u32_e32 v8, v8, v4
	s_or_b32 exec_lo, exec_lo, s33
	s_and_saveexec_b32 s33, s16
	s_cbranch_execz .LBB164_80
.LBB164_112:                            ;   in Loop: Header=BB164_63 Depth=1
	v_mov_b32_e32 v4, s62
	ds_load_b32 v4, v4
	s_waitcnt lgkmcnt(0)
	v_add_nc_u32_e32 v8, v8, v4
	s_or_b32 exec_lo, exec_lo, s33
	s_and_saveexec_b32 s33, s17
	s_cbranch_execz .LBB164_81
.LBB164_113:                            ;   in Loop: Header=BB164_63 Depth=1
	v_mov_b32_e32 v4, s63
	ds_load_b32 v4, v4
	s_waitcnt lgkmcnt(0)
	v_add_nc_u32_e32 v8, v8, v4
	s_or_b32 exec_lo, exec_lo, s33
	s_and_saveexec_b32 s33, s18
	s_cbranch_execz .LBB164_82
.LBB164_114:                            ;   in Loop: Header=BB164_63 Depth=1
	v_mov_b32_e32 v4, s64
	ds_load_b32 v4, v4
	s_waitcnt lgkmcnt(0)
	v_add_nc_u32_e32 v8, v8, v4
	s_or_b32 exec_lo, exec_lo, s33
	s_and_saveexec_b32 s33, s19
	s_cbranch_execz .LBB164_83
.LBB164_115:                            ;   in Loop: Header=BB164_63 Depth=1
	v_mov_b32_e32 v4, s65
	ds_load_b32 v4, v4
	s_waitcnt lgkmcnt(0)
	v_add_nc_u32_e32 v8, v8, v4
	s_or_b32 exec_lo, exec_lo, s33
	s_and_saveexec_b32 s33, s20
	s_cbranch_execz .LBB164_84
.LBB164_116:                            ;   in Loop: Header=BB164_63 Depth=1
	v_mov_b32_e32 v4, s66
	ds_load_b32 v4, v4
	s_waitcnt lgkmcnt(0)
	v_add_nc_u32_e32 v8, v8, v4
	s_or_b32 exec_lo, exec_lo, s33
	s_and_saveexec_b32 s33, s21
	s_cbranch_execz .LBB164_85
.LBB164_117:                            ;   in Loop: Header=BB164_63 Depth=1
	v_mov_b32_e32 v4, s67
	ds_load_b32 v4, v4
	s_waitcnt lgkmcnt(0)
	v_add_nc_u32_e32 v8, v8, v4
	s_or_b32 exec_lo, exec_lo, s33
	s_and_saveexec_b32 s33, s22
	s_cbranch_execz .LBB164_86
.LBB164_118:                            ;   in Loop: Header=BB164_63 Depth=1
	v_mov_b32_e32 v4, s68
	ds_load_b32 v4, v4
	s_waitcnt lgkmcnt(0)
	v_add_nc_u32_e32 v8, v8, v4
	s_or_b32 exec_lo, exec_lo, s33
	s_and_saveexec_b32 s33, s23
	s_cbranch_execz .LBB164_87
.LBB164_119:                            ;   in Loop: Header=BB164_63 Depth=1
	v_mov_b32_e32 v4, s69
	ds_load_b32 v4, v4
	s_waitcnt lgkmcnt(0)
	v_add_nc_u32_e32 v8, v8, v4
	s_or_b32 exec_lo, exec_lo, s33
	s_and_saveexec_b32 s33, s24
	s_cbranch_execz .LBB164_88
.LBB164_120:                            ;   in Loop: Header=BB164_63 Depth=1
	v_mov_b32_e32 v4, s70
	ds_load_b32 v4, v4
	s_waitcnt lgkmcnt(0)
	v_add_nc_u32_e32 v8, v8, v4
	s_or_b32 exec_lo, exec_lo, s33
	s_and_saveexec_b32 s33, s25
	s_cbranch_execz .LBB164_89
.LBB164_121:                            ;   in Loop: Header=BB164_63 Depth=1
	v_mov_b32_e32 v4, s71
	ds_load_b32 v4, v4
	s_waitcnt lgkmcnt(0)
	v_add_nc_u32_e32 v8, v8, v4
	s_or_b32 exec_lo, exec_lo, s33
	s_and_saveexec_b32 s33, s26
	s_cbranch_execz .LBB164_90
.LBB164_122:                            ;   in Loop: Header=BB164_63 Depth=1
	v_mov_b32_e32 v4, s72
	ds_load_b32 v4, v4
	s_waitcnt lgkmcnt(0)
	v_add_nc_u32_e32 v8, v8, v4
	s_or_b32 exec_lo, exec_lo, s33
	s_and_saveexec_b32 s33, s27
	s_cbranch_execz .LBB164_91
.LBB164_123:                            ;   in Loop: Header=BB164_63 Depth=1
	v_mov_b32_e32 v4, s74
	ds_load_b32 v4, v4
	s_waitcnt lgkmcnt(0)
	v_add_nc_u32_e32 v8, v8, v4
	s_or_b32 exec_lo, exec_lo, s33
	s_and_saveexec_b32 s33, s28
	s_cbranch_execz .LBB164_92
.LBB164_124:                            ;   in Loop: Header=BB164_63 Depth=1
	v_mov_b32_e32 v4, s75
	ds_load_b32 v4, v4
	s_waitcnt lgkmcnt(0)
	v_add_nc_u32_e32 v8, v8, v4
	s_or_b32 exec_lo, exec_lo, s33
	s_and_saveexec_b32 s33, s29
	s_cbranch_execz .LBB164_93
.LBB164_125:                            ;   in Loop: Header=BB164_63 Depth=1
	v_mov_b32_e32 v4, s76
	ds_load_b32 v4, v4
	s_waitcnt lgkmcnt(0)
	v_add_nc_u32_e32 v8, v8, v4
	s_or_b32 exec_lo, exec_lo, s33
	s_and_saveexec_b32 s33, s30
	s_cbranch_execz .LBB164_94
.LBB164_126:                            ;   in Loop: Header=BB164_63 Depth=1
	v_mov_b32_e32 v4, s77
	ds_load_b32 v4, v4
	s_waitcnt lgkmcnt(0)
	v_add_nc_u32_e32 v8, v8, v4
	s_or_b32 exec_lo, exec_lo, s33
	s_delay_alu instid0(VALU_DEP_1)
	v_ashrrev_i32_e32 v9, 31, v8
	s_and_saveexec_b32 s33, s31
	s_cbranch_execz .LBB164_95
.LBB164_127:                            ;   in Loop: Header=BB164_63 Depth=1
	scratch_load_b128 v[12:15], off, off
	v_add3_u32 v4, v2, -1, v8
	s_delay_alu instid0(VALU_DEP_1) | instskip(SKIP_1) | instid1(VALU_DEP_2)
	v_lshlrev_b32_e32 v16, 4, v4
	v_lshl_add_u32 v4, v4, 3, 0
	v_add3_u32 v16, 0, v16, 0x8000
	ds_store_b64 v4, v[6:7]
	s_waitcnt vmcnt(0)
	ds_store_2addr_b64 v16, v[12:13], v[14:15] offset1:1
	s_or_b32 exec_lo, exec_lo, s33
	s_and_saveexec_b32 s31, vcc_lo
	s_cbranch_execz .LBB164_62
.LBB164_128:                            ;   in Loop: Header=BB164_63 Depth=1
	v_mov_b32_e32 v4, s73
	ds_store_b64 v4, v[8:9]
	s_branch .LBB164_62
.LBB164_129:
	s_or_b32 exec_lo, exec_lo, s36
	s_lshl_b64 s[0:1], s[52:53], 3
	v_mov_b32_e32 v1, 0
	s_add_u32 s0, s42, s0
	s_addc_u32 s1, s43, s1
	s_mov_b32 s6, exec_lo
	s_load_b128 s[0:3], s[0:1], 0x0
	s_waitcnt lgkmcnt(0)
	s_sub_u32 s4, s2, s0
	s_subb_u32 s5, s3, s1
	s_delay_alu instid0(SALU_CYCLE_1)
	v_cmpx_gt_i64_e64 s[4:5], v[0:1]
	s_cbranch_execz .LBB164_139
; %bb.130:
	s_sub_u32 s8, s0, s46
	s_subb_u32 s9, s1, 0
	s_and_b32 s6, s4, 7
	s_sub_u32 s0, s0, s2
	s_subb_u32 s1, s1, s3
	s_mov_b32 s7, 0
	v_cmp_lt_u64_e64 s12, s[0:1], -7
	s_and_b32 s2, s4, -8
	s_cmp_lg_u64 s[6:7], 0
	s_mov_b32 s3, s5
	s_cselect_b32 s13, -1, 0
	s_mov_b32 s14, s7
	s_branch .LBB164_132
.LBB164_131:                            ;   in Loop: Header=BB164_132 Depth=1
	v_lshlrev_b32_e32 v7, 3, v0
	s_waitcnt lgkmcnt(0)
	v_add_co_u32 v2, vcc_lo, v2, s46
	v_lshlrev_b64 v[10:11], 3, v[4:5]
	v_add_co_ci_u32_e32 v3, vcc_lo, 0, v3, vcc_lo
	v_add3_u32 v6, v6, v7, 0x8000
	v_add_co_u32 v0, vcc_lo, 0x400, v0
	v_add_co_ci_u32_e32 v1, vcc_lo, 0, v1, vcc_lo
	ds_load_2addr_b64 v[6:9], v6 offset1:1
	v_lshlrev_b64 v[4:5], 4, v[4:5]
	v_add_co_u32 v10, vcc_lo, s48, v10
	v_add_co_ci_u32_e32 v11, vcc_lo, s49, v11, vcc_lo
	v_cmp_le_i64_e32 vcc_lo, s[4:5], v[0:1]
	s_delay_alu instid0(VALU_DEP_4) | instskip(NEXT) | instid1(VALU_DEP_1)
	v_add_co_u32 v4, s0, s50, v4
	v_add_co_ci_u32_e64 v5, s0, s51, v5, s0
	global_store_b64 v[10:11], v[2:3], off
	s_waitcnt lgkmcnt(0)
	global_store_b128 v[4:5], v[6:9], off
	s_or_b32 s14, vcc_lo, s14
	s_delay_alu instid0(SALU_CYCLE_1)
	s_and_not1_b32 exec_lo, exec_lo, s14
	s_cbranch_execz .LBB164_139
.LBB164_132:                            ; =>This Loop Header: Depth=1
                                        ;     Child Loop BB164_134 Depth 2
                                        ;     Child Loop BB164_138 Depth 2
	v_lshl_add_u32 v6, v0, 3, 0
	v_dual_mov_b32 v4, s8 :: v_dual_mov_b32 v5, s9
	s_and_not1_b32 vcc_lo, exec_lo, s12
	s_mov_b64 s[0:1], 0
	ds_load_b64 v[2:3], v6
	s_cbranch_vccnz .LBB164_136
; %bb.133:                              ;   in Loop: Header=BB164_132 Depth=1
	v_dual_mov_b32 v4, s8 :: v_dual_mov_b32 v5, s9
	s_mov_b64 s[10:11], 0
	s_mov_b32 s1, 0
.LBB164_134:                            ;   Parent Loop BB164_132 Depth=1
                                        ; =>  This Inner Loop Header: Depth=2
	s_delay_alu instid0(SALU_CYCLE_1)
	v_mov_b32_e32 v19, s1
	s_add_u32 s10, s10, 8
	s_addc_u32 s11, s11, 0
	s_add_i32 s1, s1, 64
	s_cmp_eq_u64 s[2:3], s[10:11]
	ds_load_2addr_b64 v[7:10], v19 offset1:1
	ds_load_2addr_b64 v[11:14], v19 offset0:2 offset1:3
	ds_load_2addr_b64 v[15:18], v19 offset0:4 offset1:5
	;; [unrolled: 1-line block ×3, first 2 shown]
	s_waitcnt lgkmcnt(3)
	v_cmp_gt_i64_e32 vcc_lo, v[2:3], v[7:8]
	v_cndmask_b32_e64 v7, 0, 1, vcc_lo
	v_cmp_gt_i64_e32 vcc_lo, v[2:3], v[9:10]
	v_cndmask_b32_e64 v8, 0, 1, vcc_lo
	s_waitcnt lgkmcnt(2)
	v_cmp_gt_i64_e32 vcc_lo, v[2:3], v[11:12]
	v_cndmask_b32_e64 v9, 0, 1, vcc_lo
	v_cmp_gt_i64_e32 vcc_lo, v[2:3], v[13:14]
	v_cndmask_b32_e64 v10, 0, 1, vcc_lo
	s_waitcnt lgkmcnt(1)
	v_cmp_gt_i64_e32 vcc_lo, v[2:3], v[15:16]
	v_cndmask_b32_e64 v11, 0, 1, vcc_lo
	v_add_co_u32 v4, vcc_lo, v4, v7
	v_add_co_ci_u32_e32 v5, vcc_lo, 0, v5, vcc_lo
	v_cmp_gt_i64_e32 vcc_lo, v[2:3], v[17:18]
	s_delay_alu instid0(VALU_DEP_3) | instskip(NEXT) | instid1(VALU_DEP_1)
	v_add_co_u32 v4, s0, v4, v8
	v_add_co_ci_u32_e64 v5, s0, 0, v5, s0
	v_cndmask_b32_e64 v7, 0, 1, vcc_lo
	s_delay_alu instid0(VALU_DEP_3) | instskip(NEXT) | instid1(VALU_DEP_3)
	v_add_co_u32 v4, vcc_lo, v4, v9
	v_add_co_ci_u32_e32 v5, vcc_lo, 0, v5, vcc_lo
	s_waitcnt lgkmcnt(0)
	v_cmp_gt_i64_e32 vcc_lo, v[2:3], v[19:20]
	s_delay_alu instid0(VALU_DEP_3) | instskip(NEXT) | instid1(VALU_DEP_1)
	v_add_co_u32 v4, s0, v4, v10
	v_add_co_ci_u32_e64 v5, s0, 0, v5, s0
	v_cndmask_b32_e64 v8, 0, 1, vcc_lo
	s_delay_alu instid0(VALU_DEP_3) | instskip(NEXT) | instid1(VALU_DEP_3)
	v_add_co_u32 v4, vcc_lo, v4, v11
	v_add_co_ci_u32_e32 v5, vcc_lo, 0, v5, vcc_lo
	v_cmp_gt_i64_e32 vcc_lo, v[2:3], v[21:22]
	s_delay_alu instid0(VALU_DEP_3) | instskip(NEXT) | instid1(VALU_DEP_1)
	v_add_co_u32 v4, s0, v4, v7
	v_add_co_ci_u32_e64 v5, s0, 0, v5, s0
	v_cndmask_b32_e64 v7, 0, 1, vcc_lo
	s_delay_alu instid0(VALU_DEP_3) | instskip(NEXT) | instid1(VALU_DEP_3)
	v_add_co_u32 v4, vcc_lo, v4, v8
	v_add_co_ci_u32_e32 v5, vcc_lo, 0, v5, vcc_lo
	s_delay_alu instid0(VALU_DEP_2) | instskip(NEXT) | instid1(VALU_DEP_2)
	v_add_co_u32 v4, vcc_lo, v4, v7
	v_add_co_ci_u32_e32 v5, vcc_lo, 0, v5, vcc_lo
	s_cbranch_scc0 .LBB164_134
; %bb.135:                              ;   in Loop: Header=BB164_132 Depth=1
	s_mov_b64 s[0:1], s[2:3]
.LBB164_136:                            ;   in Loop: Header=BB164_132 Depth=1
	s_and_not1_b32 vcc_lo, exec_lo, s13
	s_cbranch_vccnz .LBB164_131
; %bb.137:                              ;   in Loop: Header=BB164_132 Depth=1
	s_lshl_b32 s0, s0, 3
	s_delay_alu instid0(SALU_CYCLE_1)
	s_add_i32 s10, s0, 0
	s_mov_b64 s[0:1], s[6:7]
.LBB164_138:                            ;   Parent Loop BB164_132 Depth=1
                                        ; =>  This Inner Loop Header: Depth=2
	v_mov_b32_e32 v7, s10
	s_add_i32 s10, s10, 8
	s_add_u32 s0, s0, -1
	s_addc_u32 s1, s1, -1
	s_delay_alu instid0(SALU_CYCLE_1) | instskip(SKIP_4) | instid1(VALU_DEP_1)
	s_cmp_lg_u64 s[0:1], 0
	ds_load_b64 v[7:8], v7
	s_waitcnt lgkmcnt(0)
	v_cmp_gt_i64_e32 vcc_lo, v[2:3], v[7:8]
	v_cndmask_b32_e64 v7, 0, 1, vcc_lo
	v_add_co_u32 v4, vcc_lo, v4, v7
	v_add_co_ci_u32_e32 v5, vcc_lo, 0, v5, vcc_lo
	s_cbranch_scc1 .LBB164_138
	s_branch .LBB164_131
.LBB164_139:
	s_nop 0
	s_sendmsg sendmsg(MSG_DEALLOC_VGPRS)
	s_endpgm
	.section	.rodata,"a",@progbits
	.p2align	6, 0x0
	.amdhsa_kernel _ZN9rocsparseL26csrgemm_fill_block_per_rowILj1024ELj64ELj4096ELj137ELj32Ell21rocsparse_complex_numIdEEEvT5_PKS3_S5_NS_24const_host_device_scalarIT6_EEPKT4_S5_PKS7_SB_S5_SD_S8_SB_S5_SD_SB_PS3_PS7_21rocsparse_index_base_SG_SG_SG_bbb
		.amdhsa_group_segment_fixed_size 0
		.amdhsa_private_segment_fixed_size 40
		.amdhsa_kernarg_size 172
		.amdhsa_user_sgpr_count 15
		.amdhsa_user_sgpr_dispatch_ptr 0
		.amdhsa_user_sgpr_queue_ptr 0
		.amdhsa_user_sgpr_kernarg_segment_ptr 1
		.amdhsa_user_sgpr_dispatch_id 0
		.amdhsa_user_sgpr_private_segment_size 0
		.amdhsa_wavefront_size32 1
		.amdhsa_uses_dynamic_stack 0
		.amdhsa_enable_private_segment 1
		.amdhsa_system_sgpr_workgroup_id_x 1
		.amdhsa_system_sgpr_workgroup_id_y 0
		.amdhsa_system_sgpr_workgroup_id_z 0
		.amdhsa_system_sgpr_workgroup_info 0
		.amdhsa_system_vgpr_workitem_id 0
		.amdhsa_next_free_vgpr 36
		.amdhsa_next_free_sgpr 78
		.amdhsa_reserve_vcc 1
		.amdhsa_float_round_mode_32 0
		.amdhsa_float_round_mode_16_64 0
		.amdhsa_float_denorm_mode_32 3
		.amdhsa_float_denorm_mode_16_64 3
		.amdhsa_dx10_clamp 1
		.amdhsa_ieee_mode 1
		.amdhsa_fp16_overflow 0
		.amdhsa_workgroup_processor_mode 1
		.amdhsa_memory_ordered 1
		.amdhsa_forward_progress 0
		.amdhsa_shared_vgpr_count 0
		.amdhsa_exception_fp_ieee_invalid_op 0
		.amdhsa_exception_fp_denorm_src 0
		.amdhsa_exception_fp_ieee_div_zero 0
		.amdhsa_exception_fp_ieee_overflow 0
		.amdhsa_exception_fp_ieee_underflow 0
		.amdhsa_exception_fp_ieee_inexact 0
		.amdhsa_exception_int_div_zero 0
	.end_amdhsa_kernel
	.section	.text._ZN9rocsparseL26csrgemm_fill_block_per_rowILj1024ELj64ELj4096ELj137ELj32Ell21rocsparse_complex_numIdEEEvT5_PKS3_S5_NS_24const_host_device_scalarIT6_EEPKT4_S5_PKS7_SB_S5_SD_S8_SB_S5_SD_SB_PS3_PS7_21rocsparse_index_base_SG_SG_SG_bbb,"axG",@progbits,_ZN9rocsparseL26csrgemm_fill_block_per_rowILj1024ELj64ELj4096ELj137ELj32Ell21rocsparse_complex_numIdEEEvT5_PKS3_S5_NS_24const_host_device_scalarIT6_EEPKT4_S5_PKS7_SB_S5_SD_S8_SB_S5_SD_SB_PS3_PS7_21rocsparse_index_base_SG_SG_SG_bbb,comdat
.Lfunc_end164:
	.size	_ZN9rocsparseL26csrgemm_fill_block_per_rowILj1024ELj64ELj4096ELj137ELj32Ell21rocsparse_complex_numIdEEEvT5_PKS3_S5_NS_24const_host_device_scalarIT6_EEPKT4_S5_PKS7_SB_S5_SD_S8_SB_S5_SD_SB_PS3_PS7_21rocsparse_index_base_SG_SG_SG_bbb, .Lfunc_end164-_ZN9rocsparseL26csrgemm_fill_block_per_rowILj1024ELj64ELj4096ELj137ELj32Ell21rocsparse_complex_numIdEEEvT5_PKS3_S5_NS_24const_host_device_scalarIT6_EEPKT4_S5_PKS7_SB_S5_SD_S8_SB_S5_SD_SB_PS3_PS7_21rocsparse_index_base_SG_SG_SG_bbb
                                        ; -- End function
	.section	.AMDGPU.csdata,"",@progbits
; Kernel info:
; codeLenInByte = 5668
; NumSgprs: 80
; NumVgprs: 36
; ScratchSize: 40
; MemoryBound: 0
; FloatMode: 240
; IeeeMode: 1
; LDSByteSize: 0 bytes/workgroup (compile time only)
; SGPRBlocks: 9
; VGPRBlocks: 4
; NumSGPRsForWavesPerEU: 80
; NumVGPRsForWavesPerEU: 36
; Occupancy: 16
; WaveLimiterHint : 1
; COMPUTE_PGM_RSRC2:SCRATCH_EN: 1
; COMPUTE_PGM_RSRC2:USER_SGPR: 15
; COMPUTE_PGM_RSRC2:TRAP_HANDLER: 0
; COMPUTE_PGM_RSRC2:TGID_X_EN: 1
; COMPUTE_PGM_RSRC2:TGID_Y_EN: 0
; COMPUTE_PGM_RSRC2:TGID_Z_EN: 0
; COMPUTE_PGM_RSRC2:TIDIG_COMP_CNT: 0
	.section	.text._ZN9rocsparseL26csrgemm_fill_block_per_rowILj1024ELj64ELj4096ELj137ELj64Ell21rocsparse_complex_numIdEEEvT5_PKS3_S5_NS_24const_host_device_scalarIT6_EEPKT4_S5_PKS7_SB_S5_SD_S8_SB_S5_SD_SB_PS3_PS7_21rocsparse_index_base_SG_SG_SG_bbb,"axG",@progbits,_ZN9rocsparseL26csrgemm_fill_block_per_rowILj1024ELj64ELj4096ELj137ELj64Ell21rocsparse_complex_numIdEEEvT5_PKS3_S5_NS_24const_host_device_scalarIT6_EEPKT4_S5_PKS7_SB_S5_SD_S8_SB_S5_SD_SB_PS3_PS7_21rocsparse_index_base_SG_SG_SG_bbb,comdat
	.globl	_ZN9rocsparseL26csrgemm_fill_block_per_rowILj1024ELj64ELj4096ELj137ELj64Ell21rocsparse_complex_numIdEEEvT5_PKS3_S5_NS_24const_host_device_scalarIT6_EEPKT4_S5_PKS7_SB_S5_SD_S8_SB_S5_SD_SB_PS3_PS7_21rocsparse_index_base_SG_SG_SG_bbb ; -- Begin function _ZN9rocsparseL26csrgemm_fill_block_per_rowILj1024ELj64ELj4096ELj137ELj64Ell21rocsparse_complex_numIdEEEvT5_PKS3_S5_NS_24const_host_device_scalarIT6_EEPKT4_S5_PKS7_SB_S5_SD_S8_SB_S5_SD_SB_PS3_PS7_21rocsparse_index_base_SG_SG_SG_bbb
	.p2align	8
	.type	_ZN9rocsparseL26csrgemm_fill_block_per_rowILj1024ELj64ELj4096ELj137ELj64Ell21rocsparse_complex_numIdEEEvT5_PKS3_S5_NS_24const_host_device_scalarIT6_EEPKT4_S5_PKS7_SB_S5_SD_S8_SB_S5_SD_SB_PS3_PS7_21rocsparse_index_base_SG_SG_SG_bbb,@function
_ZN9rocsparseL26csrgemm_fill_block_per_rowILj1024ELj64ELj4096ELj137ELj64Ell21rocsparse_complex_numIdEEEvT5_PKS3_S5_NS_24const_host_device_scalarIT6_EEPKT4_S5_PKS7_SB_S5_SD_S8_SB_S5_SD_SB_PS3_PS7_21rocsparse_index_base_SG_SG_SG_bbb: ; @_ZN9rocsparseL26csrgemm_fill_block_per_rowILj1024ELj64ELj4096ELj137ELj64Ell21rocsparse_complex_numIdEEEvT5_PKS3_S5_NS_24const_host_device_scalarIT6_EEPKT4_S5_PKS7_SB_S5_SD_S8_SB_S5_SD_SB_PS3_PS7_21rocsparse_index_base_SG_SG_SG_bbb
; %bb.0:
	s_clause 0x3
	s_load_b32 s35, s[0:1], 0xa8
	s_load_b128 s[4:7], s[0:1], 0x18
	s_load_b128 s[36:39], s[0:1], 0x58
	;; [unrolled: 1-line block ×3, first 2 shown]
	v_mov_b32_e32 v1, 0
	v_mov_b32_e32 v2, 0
	s_mov_b32 s44, s15
	s_waitcnt lgkmcnt(0)
	s_bitcmp1_b32 s35, 0
	v_mov_b32_e32 v3, s4
	s_cselect_b32 s33, -1, 0
	s_bitcmp1_b32 s35, 16
	v_dual_mov_b32 v6, v2 :: v_dual_mov_b32 v5, v1
	s_cselect_b32 s2, -1, 0
	v_mov_b32_e32 v4, s5
	s_xor_b32 s34, s2, -1
	v_dual_mov_b32 v9, s36 :: v_dual_mov_b32 v10, s37
	v_cndmask_b32_e64 v7, 0, 1, s34
	s_bitcmp0_b32 s35, 0
	s_clause 0x1
	scratch_store_b64 off, v[3:4], off offset:16
	scratch_store_b64 off, v[9:10], off offset:24
	v_cmp_ne_u32_e32 vcc_lo, 1, v7
	v_dual_mov_b32 v8, v2 :: v_dual_mov_b32 v7, v1
	s_cbranch_scc1 .LBB165_3
; %bb.1:
	s_mov_b64 s[8:9], src_private_base
	s_and_b32 s3, s2, exec_lo
	s_cselect_b32 s3, s9, s5
	s_delay_alu instid0(SALU_CYCLE_1) | instskip(SKIP_2) | instid1(VALU_DEP_2)
	v_dual_mov_b32 v3, 16 :: v_dual_mov_b32 v4, s3
	v_dual_mov_b32 v8, s7 :: v_dual_mov_b32 v7, s6
	s_and_b32 vcc_lo, exec_lo, vcc_lo
	v_cndmask_b32_e64 v3, s4, v3, s2
	flat_load_b64 v[5:6], v[3:4]
	s_cbranch_vccnz .LBB165_3
; %bb.2:
	v_dual_mov_b32 v3, s4 :: v_dual_mov_b32 v4, s5
	flat_load_b64 v[7:8], v[3:4] offset:8
.LBB165_3:
	s_clause 0x4
	s_load_b128 s[24:27], s[0:1], 0x88
	s_load_b256 s[12:19], s[0:1], 0x68
	s_load_b128 s[28:31], s[0:1], 0x48
	s_load_b128 s[40:43], s[0:1], 0x8
	s_load_b256 s[4:11], s[0:1], 0x28
	s_bitcmp1_b32 s35, 8
	v_dual_mov_b32 v4, v2 :: v_dual_mov_b32 v3, v1
	s_cselect_b32 s3, -1, 0
	s_bfe_u32 s35, s35, 0x10008
	s_delay_alu instid0(SALU_CYCLE_1)
	s_cmp_eq_u32 s35, 0
	s_cbranch_scc1 .LBB165_6
; %bb.4:
	s_mov_b64 s[46:47], src_private_base
	s_and_b32 s35, s2, exec_lo
	s_cselect_b32 s35, s47, s37
	s_delay_alu instid0(SALU_CYCLE_1) | instskip(SKIP_1) | instid1(VALU_DEP_1)
	v_dual_mov_b32 v1, 24 :: v_dual_mov_b32 v2, s35
	s_and_not1_b32 vcc_lo, exec_lo, s34
	v_cndmask_b32_e64 v1, s36, v1, s2
	flat_load_b64 v[3:4], v[1:2]
	v_dual_mov_b32 v1, s38 :: v_dual_mov_b32 v2, s39
	s_cbranch_vccnz .LBB165_6
; %bb.5:
	v_dual_mov_b32 v1, s36 :: v_dual_mov_b32 v2, s37
	flat_load_b64 v[1:2], v[1:2] offset:8
.LBB165_6:
	s_load_b64 s[34:35], s[0:1], 0x0
	s_mov_b32 s0, 0
	v_or_b32_e32 v27, 0xfffffc00, v0
	s_mov_b32 s1, s0
	s_delay_alu instid0(SALU_CYCLE_1) | instskip(SKIP_3) | instid1(VALU_DEP_2)
	v_dual_mov_b32 v10, s1 :: v_dual_lshlrev_b32 v11, 4, v0
	v_lshl_add_u32 v28, v0, 3, 0
	s_mov_b32 s36, s0
	s_mov_b32 s37, s0
	v_add3_u32 v29, v11, 0, 0x8000
	v_dual_mov_b32 v11, s36 :: v_dual_mov_b32 v16, v27
	v_dual_mov_b32 v9, s0 :: v_dual_mov_b32 v12, s37
	v_mov_b32_e32 v15, v28
	s_delay_alu instid0(VALU_DEP_4)
	v_mov_b32_e32 v17, v29
	s_waitcnt lgkmcnt(0)
	v_dual_mov_b32 v13, s34 :: v_dual_mov_b32 v14, s35
.LBB165_7:                              ; =>This Inner Loop Header: Depth=1
	v_add_nc_u32_e32 v16, 0x400, v16
	ds_store_b64 v15, v[13:14]
	ds_store_2addr_b64 v17, v[9:10], v[11:12] offset1:1
	v_add_nc_u32_e32 v17, 0x4000, v17
	v_add_nc_u32_e32 v15, 0x2000, v15
	v_cmp_lt_u32_e32 vcc_lo, 0xbff, v16
	s_or_b32 s0, vcc_lo, s0
	s_delay_alu instid0(SALU_CYCLE_1)
	s_and_not1_b32 exec_lo, exec_lo, s0
	s_cbranch_execnz .LBB165_7
; %bb.8:
	s_or_b32 exec_lo, exec_lo, s0
	s_waitcnt vmcnt(0) lgkmcnt(0)
	s_waitcnt_vscnt null, 0x0
	s_barrier
	buffer_gl0_inv
	s_load_b64 s[0:1], s[40:41], 0x0
	s_mov_b32 s45, 0
	v_lshrrev_b32_e32 v30, 6, v0
	s_waitcnt lgkmcnt(0)
	s_lshl_b64 s[0:1], s[0:1], 3
	s_delay_alu instid0(SALU_CYCLE_1) | instskip(SKIP_2) | instid1(SALU_CYCLE_1)
	s_add_u32 s2, s42, s0
	s_addc_u32 s36, s43, s1
	s_lshl_b64 s[0:1], s[44:45], 3
	s_add_u32 s0, s2, s0
	s_addc_u32 s1, s36, s1
	s_and_b32 vcc_lo, exec_lo, s33
	s_load_b64 s[36:37], s[0:1], 0x0
	s_cbranch_vccz .LBB165_36
; %bb.9:
	s_waitcnt lgkmcnt(0)
	s_lshl_b64 s[0:1], s[36:37], 3
	s_mov_b32 s2, exec_lo
	s_add_u32 s0, s4, s0
	s_addc_u32 s1, s5, s1
	s_load_b128 s[40:43], s[0:1], 0x0
	v_sub_co_u32 v9, s0, v30, s20
	s_delay_alu instid0(VALU_DEP_1) | instskip(SKIP_1) | instid1(VALU_DEP_2)
	v_sub_co_ci_u32_e64 v10, null, 0, 0, s0
	s_waitcnt lgkmcnt(0)
	v_add_co_u32 v9, vcc_lo, s40, v9
	s_delay_alu instid0(VALU_DEP_2)
	v_add_co_ci_u32_e32 v10, vcc_lo, s41, v10, vcc_lo
	s_sub_u32 s0, s42, s20
	s_subb_u32 s1, s43, 0
	s_delay_alu instid0(VALU_DEP_1) | instid1(SALU_CYCLE_1)
	v_cmpx_gt_i64_e64 s[0:1], v[9:10]
	s_cbranch_execz .LBB165_35
; %bb.10:
	v_and_b32_e32 v11, 63, v0
	s_mov_b32 s5, s21
	s_delay_alu instid0(VALU_DEP_1) | instskip(NEXT) | instid1(VALU_DEP_1)
	v_sub_co_u32 v31, s4, v11, s21
	v_sub_co_ci_u32_e64 v32, null, 0, 0, s4
	s_mov_b32 s4, 0
	s_branch .LBB165_12
.LBB165_11:                             ;   in Loop: Header=BB165_12 Depth=1
	s_or_b32 exec_lo, exec_lo, s21
	v_add_co_u32 v9, vcc_lo, v9, 16
	v_add_co_ci_u32_e32 v10, vcc_lo, 0, v10, vcc_lo
	s_delay_alu instid0(VALU_DEP_1) | instskip(SKIP_1) | instid1(SALU_CYCLE_1)
	v_cmp_le_i64_e32 vcc_lo, s[0:1], v[9:10]
	s_or_b32 s4, vcc_lo, s4
	s_and_not1_b32 exec_lo, exec_lo, s4
	s_cbranch_execz .LBB165_35
.LBB165_12:                             ; =>This Loop Header: Depth=1
                                        ;     Child Loop BB165_15 Depth 2
                                        ;       Child Loop BB165_17 Depth 3
                                        ;         Child Loop BB165_23 Depth 4
                                        ;         Child Loop BB165_25 Depth 4
                                        ;         Child Loop BB165_31 Depth 4
                                        ;         Child Loop BB165_33 Depth 4
	v_lshlrev_b64 v[11:12], 3, v[9:10]
	s_mov_b32 s21, exec_lo
	s_delay_alu instid0(VALU_DEP_1) | instskip(NEXT) | instid1(VALU_DEP_2)
	v_add_co_u32 v11, vcc_lo, s6, v11
	v_add_co_ci_u32_e32 v12, vcc_lo, s7, v12, vcc_lo
	global_load_b64 v[11:12], v[11:12], off
	s_waitcnt vmcnt(0)
	v_sub_co_u32 v11, vcc_lo, v11, s20
	v_subrev_co_ci_u32_e32 v12, vcc_lo, 0, v12, vcc_lo
	s_delay_alu instid0(VALU_DEP_1) | instskip(NEXT) | instid1(VALU_DEP_1)
	v_lshlrev_b64 v[11:12], 3, v[11:12]
	v_add_co_u32 v11, vcc_lo, s10, v11
	s_delay_alu instid0(VALU_DEP_2)
	v_add_co_ci_u32_e32 v12, vcc_lo, s11, v12, vcc_lo
	global_load_b128 v[13:16], v[11:12], off
	s_waitcnt vmcnt(0)
	v_sub_co_u32 v11, vcc_lo, v15, s5
	v_subrev_co_ci_u32_e32 v12, vcc_lo, 0, v16, vcc_lo
	v_add_co_u32 v13, vcc_lo, v13, v31
	v_add_co_ci_u32_e32 v14, vcc_lo, v14, v32, vcc_lo
	s_delay_alu instid0(VALU_DEP_1)
	v_cmpx_lt_i64_e64 v[13:14], v[11:12]
	s_cbranch_execz .LBB165_11
; %bb.13:                               ;   in Loop: Header=BB165_12 Depth=1
	v_lshlrev_b64 v[15:16], 4, v[9:10]
	s_mov_b32 s33, 0
	s_delay_alu instid0(VALU_DEP_1) | instskip(NEXT) | instid1(VALU_DEP_2)
	v_add_co_u32 v15, vcc_lo, s8, v15
	v_add_co_ci_u32_e32 v16, vcc_lo, s9, v16, vcc_lo
	global_load_b128 v[17:20], v[15:16], off
	s_waitcnt vmcnt(0)
	v_mul_f64 v[15:16], v[19:20], -v[7:8]
	v_mul_f64 v[19:20], v[5:6], v[19:20]
	s_delay_alu instid0(VALU_DEP_2) | instskip(NEXT) | instid1(VALU_DEP_2)
	v_fma_f64 v[15:16], v[5:6], v[17:18], v[15:16]
	v_fma_f64 v[17:18], v[7:8], v[17:18], v[19:20]
	s_branch .LBB165_15
.LBB165_14:                             ;   in Loop: Header=BB165_15 Depth=2
	s_or_b32 exec_lo, exec_lo, s38
	v_add_co_u32 v13, vcc_lo, v13, 64
	v_add_co_ci_u32_e32 v14, vcc_lo, 0, v14, vcc_lo
	s_delay_alu instid0(VALU_DEP_1) | instskip(SKIP_1) | instid1(SALU_CYCLE_1)
	v_cmp_ge_i64_e32 vcc_lo, v[13:14], v[11:12]
	s_or_b32 s33, vcc_lo, s33
	s_and_not1_b32 exec_lo, exec_lo, s33
	s_cbranch_execz .LBB165_11
.LBB165_15:                             ;   Parent Loop BB165_12 Depth=1
                                        ; =>  This Loop Header: Depth=2
                                        ;       Child Loop BB165_17 Depth 3
                                        ;         Child Loop BB165_23 Depth 4
                                        ;         Child Loop BB165_25 Depth 4
	;; [unrolled: 1-line block ×4, first 2 shown]
	v_lshlrev_b64 v[19:20], 4, v[13:14]
	s_mov_b32 s38, 0
	s_delay_alu instid0(VALU_DEP_1) | instskip(NEXT) | instid1(VALU_DEP_2)
	v_add_co_u32 v19, vcc_lo, s30, v19
	v_add_co_ci_u32_e32 v20, vcc_lo, s31, v20, vcc_lo
	global_load_b128 v[21:24], v[19:20], off
	v_lshlrev_b64 v[19:20], 3, v[13:14]
	s_delay_alu instid0(VALU_DEP_1) | instskip(NEXT) | instid1(VALU_DEP_2)
	v_add_co_u32 v19, vcc_lo, s28, v19
	v_add_co_ci_u32_e32 v20, vcc_lo, s29, v20, vcc_lo
	global_load_b64 v[25:26], v[19:20], off
	s_waitcnt vmcnt(1)
	v_mul_f64 v[19:20], v[23:24], -v[17:18]
	v_mul_f64 v[23:24], v[15:16], v[23:24]
	s_delay_alu instid0(VALU_DEP_2) | instskip(NEXT) | instid1(VALU_DEP_2)
	v_fma_f64 v[19:20], v[15:16], v[21:22], v[19:20]
	v_fma_f64 v[21:22], v[17:18], v[21:22], v[23:24]
	s_waitcnt vmcnt(0)
	v_sub_co_u32 v23, vcc_lo, v25, s5
	v_subrev_co_ci_u32_e32 v24, vcc_lo, 0, v26, vcc_lo
	s_delay_alu instid0(VALU_DEP_2) | instskip(NEXT) | instid1(VALU_DEP_1)
	v_mul_lo_u32 v25, 0x89, v23
	v_and_b32_e32 v33, 0xfff, v25
	s_branch .LBB165_17
.LBB165_16:                             ;   in Loop: Header=BB165_17 Depth=3
	s_or_b32 exec_lo, exec_lo, s39
	s_xor_b32 s39, s40, -1
	s_delay_alu instid0(SALU_CYCLE_1) | instskip(NEXT) | instid1(SALU_CYCLE_1)
	s_and_b32 s39, exec_lo, s39
	s_or_b32 s38, s39, s38
	s_delay_alu instid0(SALU_CYCLE_1)
	s_and_not1_b32 exec_lo, exec_lo, s38
	s_cbranch_execz .LBB165_14
.LBB165_17:                             ;   Parent Loop BB165_12 Depth=1
                                        ;     Parent Loop BB165_15 Depth=2
                                        ; =>    This Loop Header: Depth=3
                                        ;         Child Loop BB165_23 Depth 4
                                        ;         Child Loop BB165_25 Depth 4
	;; [unrolled: 1-line block ×4, first 2 shown]
	s_delay_alu instid0(VALU_DEP_1)
	v_lshl_add_u32 v34, v33, 3, 0
	s_mov_b32 s39, exec_lo
                                        ; implicit-def: $sgpr40
	ds_load_b64 v[25:26], v34
	s_waitcnt lgkmcnt(0)
	v_cmpx_ne_u64_e64 v[25:26], v[23:24]
	s_xor_b32 s39, exec_lo, s39
	s_cbranch_execz .LBB165_29
; %bb.18:                               ;   in Loop: Header=BB165_17 Depth=3
	s_mov_b32 s41, exec_lo
                                        ; implicit-def: $sgpr40
	v_cmpx_ne_u64_e64 s[34:35], v[25:26]
	s_xor_b32 s41, exec_lo, s41
; %bb.19:                               ;   in Loop: Header=BB165_17 Depth=3
	v_add_nc_u32_e32 v25, 1, v33
	s_mov_b32 s40, -1
                                        ; implicit-def: $vgpr34
	s_delay_alu instid0(VALU_DEP_1)
	v_and_b32_e32 v33, 0xfff, v25
; %bb.20:                               ;   in Loop: Header=BB165_17 Depth=3
	s_and_not1_saveexec_b32 s41, s41
	s_cbranch_execz .LBB165_28
; %bb.21:                               ;   in Loop: Header=BB165_17 Depth=3
	v_dual_mov_b32 v25, s34 :: v_dual_mov_b32 v26, s35
	s_mov_b32 s43, -1
	s_mov_b32 s42, exec_lo
	ds_cmpstore_rtn_b64 v[25:26], v34, v[23:24], v[25:26]
	s_waitcnt lgkmcnt(0)
	v_cmpx_eq_u64_e64 s[34:35], v[25:26]
	s_cbranch_execz .LBB165_27
; %bb.22:                               ;   in Loop: Header=BB165_17 Depth=3
	v_lshlrev_b32_e32 v25, 3, v33
	s_mov_b32 s43, 0
	s_delay_alu instid0(VALU_DEP_1)
	v_add_nc_u32_e32 v34, v34, v25
	ds_load_b64 v[25:26], v34 offset:32768
.LBB165_23:                             ;   Parent Loop BB165_12 Depth=1
                                        ;     Parent Loop BB165_15 Depth=2
                                        ;       Parent Loop BB165_17 Depth=3
                                        ; =>      This Inner Loop Header: Depth=4
	s_waitcnt lgkmcnt(0)
	v_add_f64 v[35:36], v[25:26], v[19:20]
	ds_cmpstore_rtn_b64 v[35:36], v34, v[35:36], v[25:26] offset:32768
	s_waitcnt lgkmcnt(0)
	v_cmp_eq_u64_e32 vcc_lo, v[35:36], v[25:26]
	v_dual_mov_b32 v25, v35 :: v_dual_mov_b32 v26, v36
	s_or_b32 s43, vcc_lo, s43
	s_delay_alu instid0(SALU_CYCLE_1)
	s_and_not1_b32 exec_lo, exec_lo, s43
	s_cbranch_execnz .LBB165_23
; %bb.24:                               ;   in Loop: Header=BB165_17 Depth=3
	s_or_b32 exec_lo, exec_lo, s43
	ds_load_b64 v[25:26], v34 offset:32776
	s_mov_b32 s43, 0
.LBB165_25:                             ;   Parent Loop BB165_12 Depth=1
                                        ;     Parent Loop BB165_15 Depth=2
                                        ;       Parent Loop BB165_17 Depth=3
                                        ; =>      This Inner Loop Header: Depth=4
	s_waitcnt lgkmcnt(0)
	v_add_f64 v[35:36], v[25:26], v[21:22]
	ds_cmpstore_rtn_b64 v[35:36], v34, v[35:36], v[25:26] offset:32776
	s_waitcnt lgkmcnt(0)
	v_cmp_eq_u64_e32 vcc_lo, v[35:36], v[25:26]
	v_dual_mov_b32 v25, v35 :: v_dual_mov_b32 v26, v36
	s_or_b32 s43, vcc_lo, s43
	s_delay_alu instid0(SALU_CYCLE_1)
	s_and_not1_b32 exec_lo, exec_lo, s43
	s_cbranch_execnz .LBB165_25
; %bb.26:                               ;   in Loop: Header=BB165_17 Depth=3
	s_or_b32 exec_lo, exec_lo, s43
	s_delay_alu instid0(SALU_CYCLE_1)
	s_xor_b32 s43, exec_lo, -1
.LBB165_27:                             ;   in Loop: Header=BB165_17 Depth=3
	s_or_b32 exec_lo, exec_lo, s42
	s_delay_alu instid0(SALU_CYCLE_1) | instskip(SKIP_1) | instid1(SALU_CYCLE_1)
	s_and_not1_b32 s40, s40, exec_lo
	s_and_b32 s42, s43, exec_lo
	s_or_b32 s40, s40, s42
.LBB165_28:                             ;   in Loop: Header=BB165_17 Depth=3
	s_or_b32 exec_lo, exec_lo, s41
	s_delay_alu instid0(SALU_CYCLE_1)
	s_and_b32 s40, s40, exec_lo
                                        ; implicit-def: $vgpr34
.LBB165_29:                             ;   in Loop: Header=BB165_17 Depth=3
	s_and_not1_saveexec_b32 s39, s39
	s_cbranch_execz .LBB165_16
; %bb.30:                               ;   in Loop: Header=BB165_17 Depth=3
	v_lshlrev_b32_e32 v25, 3, v33
	s_mov_b32 s41, 0
	s_delay_alu instid0(VALU_DEP_1)
	v_add_nc_u32_e32 v34, v34, v25
	ds_load_b64 v[25:26], v34 offset:32768
.LBB165_31:                             ;   Parent Loop BB165_12 Depth=1
                                        ;     Parent Loop BB165_15 Depth=2
                                        ;       Parent Loop BB165_17 Depth=3
                                        ; =>      This Inner Loop Header: Depth=4
	s_waitcnt lgkmcnt(0)
	v_add_f64 v[35:36], v[25:26], v[19:20]
	ds_cmpstore_rtn_b64 v[35:36], v34, v[35:36], v[25:26] offset:32768
	s_waitcnt lgkmcnt(0)
	v_cmp_eq_u64_e32 vcc_lo, v[35:36], v[25:26]
	v_dual_mov_b32 v25, v35 :: v_dual_mov_b32 v26, v36
	s_or_b32 s41, vcc_lo, s41
	s_delay_alu instid0(SALU_CYCLE_1)
	s_and_not1_b32 exec_lo, exec_lo, s41
	s_cbranch_execnz .LBB165_31
; %bb.32:                               ;   in Loop: Header=BB165_17 Depth=3
	s_or_b32 exec_lo, exec_lo, s41
	ds_load_b64 v[25:26], v34 offset:32776
	s_mov_b32 s41, 0
.LBB165_33:                             ;   Parent Loop BB165_12 Depth=1
                                        ;     Parent Loop BB165_15 Depth=2
                                        ;       Parent Loop BB165_17 Depth=3
                                        ; =>      This Inner Loop Header: Depth=4
	s_waitcnt lgkmcnt(0)
	v_add_f64 v[35:36], v[25:26], v[21:22]
	ds_cmpstore_rtn_b64 v[35:36], v34, v[35:36], v[25:26] offset:32776
	s_waitcnt lgkmcnt(0)
	v_cmp_eq_u64_e32 vcc_lo, v[35:36], v[25:26]
	v_dual_mov_b32 v25, v35 :: v_dual_mov_b32 v26, v36
	s_or_b32 s41, vcc_lo, s41
	s_delay_alu instid0(SALU_CYCLE_1)
	s_and_not1_b32 exec_lo, exec_lo, s41
	s_cbranch_execnz .LBB165_33
; %bb.34:                               ;   in Loop: Header=BB165_17 Depth=3
	s_or_b32 exec_lo, exec_lo, s41
	s_delay_alu instid0(SALU_CYCLE_1)
	s_and_not1_b32 s40, s40, exec_lo
	s_branch .LBB165_16
.LBB165_35:
	s_or_b32 exec_lo, exec_lo, s2
.LBB165_36:
	s_delay_alu instid0(SALU_CYCLE_1)
	s_and_not1_b32 vcc_lo, exec_lo, s3
	s_cbranch_vccnz .LBB165_61
; %bb.37:
	s_waitcnt lgkmcnt(0)
	s_lshl_b64 s[0:1], s[36:37], 3
	v_sub_co_u32 v5, s4, v0, s23
	s_add_u32 s0, s12, s0
	s_addc_u32 s1, s13, s1
	v_sub_co_ci_u32_e64 v6, null, 0, 0, s4
	s_load_b128 s[0:3], s[0:1], 0x0
	s_waitcnt lgkmcnt(0)
	v_add_co_u32 v5, vcc_lo, s0, v5
	s_delay_alu instid0(VALU_DEP_2)
	v_add_co_ci_u32_e32 v6, vcc_lo, s1, v6, vcc_lo
	s_sub_u32 s0, s2, s23
	s_subb_u32 s1, s3, 0
	s_mov_b32 s2, 0
	s_mov_b32 s3, exec_lo
	v_cmpx_gt_i64_e64 s[0:1], v[5:6]
	s_cbranch_execz .LBB165_60
; %bb.38:
	s_mov_b32 s4, s23
	s_branch .LBB165_40
.LBB165_39:                             ;   in Loop: Header=BB165_40 Depth=1
	s_or_b32 exec_lo, exec_lo, s5
	v_add_co_u32 v5, vcc_lo, 0x400, v5
	v_add_co_ci_u32_e32 v6, vcc_lo, 0, v6, vcc_lo
	s_delay_alu instid0(VALU_DEP_1) | instskip(SKIP_1) | instid1(SALU_CYCLE_1)
	v_cmp_le_i64_e32 vcc_lo, s[0:1], v[5:6]
	s_or_b32 s2, vcc_lo, s2
	s_and_not1_b32 exec_lo, exec_lo, s2
	s_cbranch_execz .LBB165_60
.LBB165_40:                             ; =>This Loop Header: Depth=1
                                        ;     Child Loop BB165_42 Depth 2
                                        ;       Child Loop BB165_48 Depth 3
                                        ;       Child Loop BB165_50 Depth 3
	;; [unrolled: 1-line block ×4, first 2 shown]
	v_lshlrev_b64 v[7:8], 4, v[5:6]
	s_mov_b32 s5, 0
	s_delay_alu instid0(VALU_DEP_1) | instskip(NEXT) | instid1(VALU_DEP_2)
	v_add_co_u32 v7, vcc_lo, s16, v7
	v_add_co_ci_u32_e32 v8, vcc_lo, s17, v8, vcc_lo
	global_load_b128 v[9:12], v[7:8], off
	v_lshlrev_b64 v[7:8], 3, v[5:6]
	s_delay_alu instid0(VALU_DEP_1) | instskip(NEXT) | instid1(VALU_DEP_2)
	v_add_co_u32 v7, vcc_lo, s14, v7
	v_add_co_ci_u32_e32 v8, vcc_lo, s15, v8, vcc_lo
	global_load_b64 v[13:14], v[7:8], off
	s_waitcnt vmcnt(1)
	v_mul_f64 v[7:8], v[11:12], -v[1:2]
	v_mul_f64 v[11:12], v[3:4], v[11:12]
	s_delay_alu instid0(VALU_DEP_2) | instskip(NEXT) | instid1(VALU_DEP_2)
	v_fma_f64 v[7:8], v[3:4], v[9:10], v[7:8]
	v_fma_f64 v[9:10], v[1:2], v[9:10], v[11:12]
	s_waitcnt vmcnt(0)
	v_sub_co_u32 v11, vcc_lo, v13, s4
	v_subrev_co_ci_u32_e32 v12, vcc_lo, 0, v14, vcc_lo
	s_delay_alu instid0(VALU_DEP_2) | instskip(NEXT) | instid1(VALU_DEP_1)
	v_mul_lo_u32 v13, 0x89, v11
	v_and_b32_e32 v15, 0xfff, v13
	s_branch .LBB165_42
.LBB165_41:                             ;   in Loop: Header=BB165_42 Depth=2
	s_or_b32 exec_lo, exec_lo, s6
	s_xor_b32 s6, s7, -1
	s_delay_alu instid0(SALU_CYCLE_1) | instskip(NEXT) | instid1(SALU_CYCLE_1)
	s_and_b32 s6, exec_lo, s6
	s_or_b32 s5, s6, s5
	s_delay_alu instid0(SALU_CYCLE_1)
	s_and_not1_b32 exec_lo, exec_lo, s5
	s_cbranch_execz .LBB165_39
.LBB165_42:                             ;   Parent Loop BB165_40 Depth=1
                                        ; =>  This Loop Header: Depth=2
                                        ;       Child Loop BB165_48 Depth 3
                                        ;       Child Loop BB165_50 Depth 3
	;; [unrolled: 1-line block ×4, first 2 shown]
	s_delay_alu instid0(VALU_DEP_1)
	v_lshl_add_u32 v16, v15, 3, 0
	s_mov_b32 s6, exec_lo
                                        ; implicit-def: $sgpr7
	ds_load_b64 v[13:14], v16
	s_waitcnt lgkmcnt(0)
	v_cmpx_ne_u64_e64 v[13:14], v[11:12]
	s_xor_b32 s6, exec_lo, s6
	s_cbranch_execz .LBB165_54
; %bb.43:                               ;   in Loop: Header=BB165_42 Depth=2
	s_mov_b32 s8, exec_lo
                                        ; implicit-def: $sgpr7
	v_cmpx_ne_u64_e64 s[34:35], v[13:14]
	s_xor_b32 s8, exec_lo, s8
; %bb.44:                               ;   in Loop: Header=BB165_42 Depth=2
	v_add_nc_u32_e32 v13, 1, v15
	s_mov_b32 s7, -1
                                        ; implicit-def: $vgpr16
	s_delay_alu instid0(VALU_DEP_1)
	v_and_b32_e32 v15, 0xfff, v13
; %bb.45:                               ;   in Loop: Header=BB165_42 Depth=2
	s_and_not1_saveexec_b32 s8, s8
	s_cbranch_execz .LBB165_53
; %bb.46:                               ;   in Loop: Header=BB165_42 Depth=2
	v_dual_mov_b32 v13, s34 :: v_dual_mov_b32 v14, s35
	s_mov_b32 s10, -1
	s_mov_b32 s9, exec_lo
	ds_cmpstore_rtn_b64 v[13:14], v16, v[11:12], v[13:14]
	s_waitcnt lgkmcnt(0)
	v_cmpx_eq_u64_e64 s[34:35], v[13:14]
	s_cbranch_execz .LBB165_52
; %bb.47:                               ;   in Loop: Header=BB165_42 Depth=2
	v_lshlrev_b32_e32 v13, 3, v15
	s_mov_b32 s10, 0
	s_delay_alu instid0(VALU_DEP_1)
	v_add_nc_u32_e32 v16, v16, v13
	ds_load_b64 v[13:14], v16 offset:32768
.LBB165_48:                             ;   Parent Loop BB165_40 Depth=1
                                        ;     Parent Loop BB165_42 Depth=2
                                        ; =>    This Inner Loop Header: Depth=3
	s_waitcnt lgkmcnt(0)
	v_add_f64 v[17:18], v[13:14], v[7:8]
	ds_cmpstore_rtn_b64 v[17:18], v16, v[17:18], v[13:14] offset:32768
	s_waitcnt lgkmcnt(0)
	v_cmp_eq_u64_e32 vcc_lo, v[17:18], v[13:14]
	v_dual_mov_b32 v13, v17 :: v_dual_mov_b32 v14, v18
	s_or_b32 s10, vcc_lo, s10
	s_delay_alu instid0(SALU_CYCLE_1)
	s_and_not1_b32 exec_lo, exec_lo, s10
	s_cbranch_execnz .LBB165_48
; %bb.49:                               ;   in Loop: Header=BB165_42 Depth=2
	s_or_b32 exec_lo, exec_lo, s10
	ds_load_b64 v[13:14], v16 offset:32776
	s_mov_b32 s10, 0
.LBB165_50:                             ;   Parent Loop BB165_40 Depth=1
                                        ;     Parent Loop BB165_42 Depth=2
                                        ; =>    This Inner Loop Header: Depth=3
	s_waitcnt lgkmcnt(0)
	v_add_f64 v[17:18], v[13:14], v[9:10]
	ds_cmpstore_rtn_b64 v[17:18], v16, v[17:18], v[13:14] offset:32776
	s_waitcnt lgkmcnt(0)
	v_cmp_eq_u64_e32 vcc_lo, v[17:18], v[13:14]
	v_dual_mov_b32 v13, v17 :: v_dual_mov_b32 v14, v18
	s_or_b32 s10, vcc_lo, s10
	s_delay_alu instid0(SALU_CYCLE_1)
	s_and_not1_b32 exec_lo, exec_lo, s10
	s_cbranch_execnz .LBB165_50
; %bb.51:                               ;   in Loop: Header=BB165_42 Depth=2
	s_or_b32 exec_lo, exec_lo, s10
	s_delay_alu instid0(SALU_CYCLE_1)
	s_xor_b32 s10, exec_lo, -1
.LBB165_52:                             ;   in Loop: Header=BB165_42 Depth=2
	s_or_b32 exec_lo, exec_lo, s9
	s_delay_alu instid0(SALU_CYCLE_1) | instskip(SKIP_1) | instid1(SALU_CYCLE_1)
	s_and_not1_b32 s7, s7, exec_lo
	s_and_b32 s9, s10, exec_lo
	s_or_b32 s7, s7, s9
.LBB165_53:                             ;   in Loop: Header=BB165_42 Depth=2
	s_or_b32 exec_lo, exec_lo, s8
	s_delay_alu instid0(SALU_CYCLE_1)
	s_and_b32 s7, s7, exec_lo
                                        ; implicit-def: $vgpr16
.LBB165_54:                             ;   in Loop: Header=BB165_42 Depth=2
	s_and_not1_saveexec_b32 s6, s6
	s_cbranch_execz .LBB165_41
; %bb.55:                               ;   in Loop: Header=BB165_42 Depth=2
	v_lshlrev_b32_e32 v13, 3, v15
	s_mov_b32 s8, 0
	s_delay_alu instid0(VALU_DEP_1)
	v_add_nc_u32_e32 v16, v16, v13
	ds_load_b64 v[13:14], v16 offset:32768
.LBB165_56:                             ;   Parent Loop BB165_40 Depth=1
                                        ;     Parent Loop BB165_42 Depth=2
                                        ; =>    This Inner Loop Header: Depth=3
	s_waitcnt lgkmcnt(0)
	v_add_f64 v[17:18], v[13:14], v[7:8]
	ds_cmpstore_rtn_b64 v[17:18], v16, v[17:18], v[13:14] offset:32768
	s_waitcnt lgkmcnt(0)
	v_cmp_eq_u64_e32 vcc_lo, v[17:18], v[13:14]
	v_dual_mov_b32 v13, v17 :: v_dual_mov_b32 v14, v18
	s_or_b32 s8, vcc_lo, s8
	s_delay_alu instid0(SALU_CYCLE_1)
	s_and_not1_b32 exec_lo, exec_lo, s8
	s_cbranch_execnz .LBB165_56
; %bb.57:                               ;   in Loop: Header=BB165_42 Depth=2
	s_or_b32 exec_lo, exec_lo, s8
	ds_load_b64 v[13:14], v16 offset:32776
	s_mov_b32 s8, 0
.LBB165_58:                             ;   Parent Loop BB165_40 Depth=1
                                        ;     Parent Loop BB165_42 Depth=2
                                        ; =>    This Inner Loop Header: Depth=3
	s_waitcnt lgkmcnt(0)
	v_add_f64 v[17:18], v[13:14], v[9:10]
	ds_cmpstore_rtn_b64 v[17:18], v16, v[17:18], v[13:14] offset:32776
	s_waitcnt lgkmcnt(0)
	v_cmp_eq_u64_e32 vcc_lo, v[17:18], v[13:14]
	v_dual_mov_b32 v13, v17 :: v_dual_mov_b32 v14, v18
	s_or_b32 s8, vcc_lo, s8
	s_delay_alu instid0(SALU_CYCLE_1)
	s_and_not1_b32 exec_lo, exec_lo, s8
	s_cbranch_execnz .LBB165_58
; %bb.59:                               ;   in Loop: Header=BB165_42 Depth=2
	s_or_b32 exec_lo, exec_lo, s8
	s_delay_alu instid0(SALU_CYCLE_1)
	s_and_not1_b32 s7, s7, exec_lo
	s_branch .LBB165_41
.LBB165_60:
	s_or_b32 exec_lo, exec_lo, s3
.LBB165_61:
	v_mbcnt_lo_u32_b32 v1, -1, 0
	v_dual_mov_b32 v5, 0 :: v_dual_lshlrev_b32 v2, 3, v30
	s_add_i32 s41, 0, 0x18078
	v_cmp_eq_u32_e32 vcc_lo, 0x3ff, v0
	s_delay_alu instid0(VALU_DEP_3) | instskip(NEXT) | instid1(VALU_DEP_3)
	v_xor_b32_e32 v1, 63, v1
	v_add3_u32 v10, 0, 0x18000, v2
	v_cmp_lt_u32_e64 s0, 63, v0
	v_cmp_lt_u32_e64 s1, 0x7f, v0
	;; [unrolled: 1-line block ×3, first 2 shown]
	v_lshrrev_b64 v[1:2], v1, -1
	v_dual_mov_b32 v2, 0 :: v_dual_mov_b32 v11, s41
	v_cmp_lt_u32_e64 s3, 0xff, v0
	v_cmp_lt_u32_e64 s4, 0x13f, v0
	;; [unrolled: 1-line block ×12, first 2 shown]
	v_mov_b32_e32 v3, 0
	s_mov_b32 s17, 0
	s_add_i32 s20, 0, 0x18000
	s_add_i32 s21, 0, 0x18008
	;; [unrolled: 1-line block ×15, first 2 shown]
	s_waitcnt lgkmcnt(0)
	s_barrier
	buffer_gl0_inv
	s_branch .LBB165_63
.LBB165_62:                             ;   in Loop: Header=BB165_63 Depth=1
	s_or_b32 exec_lo, exec_lo, s15
	s_waitcnt lgkmcnt(0)
	s_barrier
	buffer_gl0_inv
	ds_load_b64 v[6:7], v11
	v_add_nc_u32_e32 v27, 0x400, v27
	v_add_nc_u32_e32 v29, 0x4000, v29
	;; [unrolled: 1-line block ×3, first 2 shown]
	s_delay_alu instid0(VALU_DEP_3) | instskip(NEXT) | instid1(VALU_DEP_1)
	v_cmp_lt_u32_e64 s15, 0xbff, v27
	s_or_b32 s17, s15, s17
	s_waitcnt lgkmcnt(0)
	v_add_co_u32 v2, s16, v6, v2
	s_delay_alu instid0(VALU_DEP_1)
	v_add_co_ci_u32_e64 v3, s16, v7, v3, s16
	s_and_not1_b32 exec_lo, exec_lo, s17
	s_cbranch_execz .LBB165_97
.LBB165_63:                             ; =>This Inner Loop Header: Depth=1
	ds_load_b64 v[6:7], v28
	ds_load_2addr_b64 v[12:15], v29 offset1:1
	s_waitcnt lgkmcnt(1)
	v_cmp_gt_i64_e64 s15, s[34:35], v[6:7]
	s_waitcnt lgkmcnt(0)
	scratch_store_b128 off, v[12:15], off
	s_waitcnt_vscnt null, 0x0
	s_barrier
	buffer_gl0_inv
	v_and_b32_e32 v8, s15, v1
	s_bcnt1_i32_b32 s16, s15
	s_delay_alu instid0(SALU_CYCLE_1) | instskip(NEXT) | instid1(VALU_DEP_2)
	v_mov_b32_e32 v4, s16
	v_bcnt_u32_b32 v8, v8, 0
	ds_store_b64 v10, v[4:5]
	s_waitcnt lgkmcnt(0)
	s_barrier
	buffer_gl0_inv
	s_and_saveexec_b32 s16, s0
	s_cbranch_execnz .LBB165_80
; %bb.64:                               ;   in Loop: Header=BB165_63 Depth=1
	s_or_b32 exec_lo, exec_lo, s16
	s_and_saveexec_b32 s16, s1
	s_cbranch_execnz .LBB165_81
.LBB165_65:                             ;   in Loop: Header=BB165_63 Depth=1
	s_or_b32 exec_lo, exec_lo, s16
	s_and_saveexec_b32 s16, s2
	s_cbranch_execnz .LBB165_82
.LBB165_66:                             ;   in Loop: Header=BB165_63 Depth=1
	s_or_b32 exec_lo, exec_lo, s16
	s_and_saveexec_b32 s16, s3
	s_cbranch_execnz .LBB165_83
.LBB165_67:                             ;   in Loop: Header=BB165_63 Depth=1
	s_or_b32 exec_lo, exec_lo, s16
	s_and_saveexec_b32 s16, s4
	s_cbranch_execnz .LBB165_84
.LBB165_68:                             ;   in Loop: Header=BB165_63 Depth=1
	s_or_b32 exec_lo, exec_lo, s16
	s_and_saveexec_b32 s16, s5
	s_cbranch_execnz .LBB165_85
.LBB165_69:                             ;   in Loop: Header=BB165_63 Depth=1
	s_or_b32 exec_lo, exec_lo, s16
	s_and_saveexec_b32 s16, s6
	s_cbranch_execnz .LBB165_86
.LBB165_70:                             ;   in Loop: Header=BB165_63 Depth=1
	s_or_b32 exec_lo, exec_lo, s16
	s_and_saveexec_b32 s16, s7
	s_cbranch_execnz .LBB165_87
.LBB165_71:                             ;   in Loop: Header=BB165_63 Depth=1
	s_or_b32 exec_lo, exec_lo, s16
	s_and_saveexec_b32 s16, s8
	s_cbranch_execnz .LBB165_88
.LBB165_72:                             ;   in Loop: Header=BB165_63 Depth=1
	s_or_b32 exec_lo, exec_lo, s16
	s_and_saveexec_b32 s16, s9
	s_cbranch_execnz .LBB165_89
.LBB165_73:                             ;   in Loop: Header=BB165_63 Depth=1
	s_or_b32 exec_lo, exec_lo, s16
	s_and_saveexec_b32 s16, s10
	s_cbranch_execnz .LBB165_90
.LBB165_74:                             ;   in Loop: Header=BB165_63 Depth=1
	s_or_b32 exec_lo, exec_lo, s16
	s_and_saveexec_b32 s16, s11
	s_cbranch_execnz .LBB165_91
.LBB165_75:                             ;   in Loop: Header=BB165_63 Depth=1
	s_or_b32 exec_lo, exec_lo, s16
	s_and_saveexec_b32 s16, s12
	s_cbranch_execnz .LBB165_92
.LBB165_76:                             ;   in Loop: Header=BB165_63 Depth=1
	s_or_b32 exec_lo, exec_lo, s16
	s_and_saveexec_b32 s16, s13
	s_cbranch_execnz .LBB165_93
.LBB165_77:                             ;   in Loop: Header=BB165_63 Depth=1
	s_or_b32 exec_lo, exec_lo, s16
	s_and_saveexec_b32 s16, s14
	s_cbranch_execnz .LBB165_94
.LBB165_78:                             ;   in Loop: Header=BB165_63 Depth=1
	s_or_b32 exec_lo, exec_lo, s16
	v_ashrrev_i32_e32 v9, 31, v8
	s_and_saveexec_b32 s16, s15
	s_cbranch_execnz .LBB165_95
.LBB165_79:                             ;   in Loop: Header=BB165_63 Depth=1
	s_or_b32 exec_lo, exec_lo, s16
	s_and_saveexec_b32 s15, vcc_lo
	s_cbranch_execz .LBB165_62
	s_branch .LBB165_96
.LBB165_80:                             ;   in Loop: Header=BB165_63 Depth=1
	v_mov_b32_e32 v4, s20
	ds_load_b32 v4, v4
	s_waitcnt lgkmcnt(0)
	v_add_nc_u32_e32 v8, v4, v8
	s_or_b32 exec_lo, exec_lo, s16
	s_and_saveexec_b32 s16, s1
	s_cbranch_execz .LBB165_65
.LBB165_81:                             ;   in Loop: Header=BB165_63 Depth=1
	v_mov_b32_e32 v4, s21
	ds_load_b32 v4, v4
	s_waitcnt lgkmcnt(0)
	v_add_nc_u32_e32 v8, v8, v4
	s_or_b32 exec_lo, exec_lo, s16
	s_and_saveexec_b32 s16, s2
	s_cbranch_execz .LBB165_66
.LBB165_82:                             ;   in Loop: Header=BB165_63 Depth=1
	v_mov_b32_e32 v4, s23
	ds_load_b32 v4, v4
	s_waitcnt lgkmcnt(0)
	v_add_nc_u32_e32 v8, v8, v4
	s_or_b32 exec_lo, exec_lo, s16
	s_and_saveexec_b32 s16, s3
	s_cbranch_execz .LBB165_67
.LBB165_83:                             ;   in Loop: Header=BB165_63 Depth=1
	v_mov_b32_e32 v4, s28
	ds_load_b32 v4, v4
	s_waitcnt lgkmcnt(0)
	v_add_nc_u32_e32 v8, v8, v4
	s_or_b32 exec_lo, exec_lo, s16
	s_and_saveexec_b32 s16, s4
	s_cbranch_execz .LBB165_68
.LBB165_84:                             ;   in Loop: Header=BB165_63 Depth=1
	v_mov_b32_e32 v4, s29
	ds_load_b32 v4, v4
	s_waitcnt lgkmcnt(0)
	v_add_nc_u32_e32 v8, v8, v4
	s_or_b32 exec_lo, exec_lo, s16
	s_and_saveexec_b32 s16, s5
	s_cbranch_execz .LBB165_69
.LBB165_85:                             ;   in Loop: Header=BB165_63 Depth=1
	v_mov_b32_e32 v4, s30
	ds_load_b32 v4, v4
	s_waitcnt lgkmcnt(0)
	v_add_nc_u32_e32 v8, v8, v4
	s_or_b32 exec_lo, exec_lo, s16
	s_and_saveexec_b32 s16, s6
	s_cbranch_execz .LBB165_70
.LBB165_86:                             ;   in Loop: Header=BB165_63 Depth=1
	v_mov_b32_e32 v4, s31
	ds_load_b32 v4, v4
	s_waitcnt lgkmcnt(0)
	v_add_nc_u32_e32 v8, v8, v4
	s_or_b32 exec_lo, exec_lo, s16
	s_and_saveexec_b32 s16, s7
	s_cbranch_execz .LBB165_71
.LBB165_87:                             ;   in Loop: Header=BB165_63 Depth=1
	v_mov_b32_e32 v4, s33
	ds_load_b32 v4, v4
	s_waitcnt lgkmcnt(0)
	v_add_nc_u32_e32 v8, v8, v4
	s_or_b32 exec_lo, exec_lo, s16
	s_and_saveexec_b32 s16, s8
	s_cbranch_execz .LBB165_72
.LBB165_88:                             ;   in Loop: Header=BB165_63 Depth=1
	v_mov_b32_e32 v4, s38
	ds_load_b32 v4, v4
	s_waitcnt lgkmcnt(0)
	v_add_nc_u32_e32 v8, v8, v4
	s_or_b32 exec_lo, exec_lo, s16
	s_and_saveexec_b32 s16, s9
	s_cbranch_execz .LBB165_73
.LBB165_89:                             ;   in Loop: Header=BB165_63 Depth=1
	v_mov_b32_e32 v4, s39
	ds_load_b32 v4, v4
	s_waitcnt lgkmcnt(0)
	v_add_nc_u32_e32 v8, v8, v4
	s_or_b32 exec_lo, exec_lo, s16
	s_and_saveexec_b32 s16, s10
	s_cbranch_execz .LBB165_74
.LBB165_90:                             ;   in Loop: Header=BB165_63 Depth=1
	v_mov_b32_e32 v4, s40
	ds_load_b32 v4, v4
	s_waitcnt lgkmcnt(0)
	v_add_nc_u32_e32 v8, v8, v4
	s_or_b32 exec_lo, exec_lo, s16
	s_and_saveexec_b32 s16, s11
	s_cbranch_execz .LBB165_75
.LBB165_91:                             ;   in Loop: Header=BB165_63 Depth=1
	v_mov_b32_e32 v4, s42
	ds_load_b32 v4, v4
	s_waitcnt lgkmcnt(0)
	v_add_nc_u32_e32 v8, v8, v4
	s_or_b32 exec_lo, exec_lo, s16
	s_and_saveexec_b32 s16, s12
	s_cbranch_execz .LBB165_76
.LBB165_92:                             ;   in Loop: Header=BB165_63 Depth=1
	v_mov_b32_e32 v4, s43
	ds_load_b32 v4, v4
	s_waitcnt lgkmcnt(0)
	v_add_nc_u32_e32 v8, v8, v4
	s_or_b32 exec_lo, exec_lo, s16
	s_and_saveexec_b32 s16, s13
	s_cbranch_execz .LBB165_77
.LBB165_93:                             ;   in Loop: Header=BB165_63 Depth=1
	v_mov_b32_e32 v4, s44
	ds_load_b32 v4, v4
	s_waitcnt lgkmcnt(0)
	v_add_nc_u32_e32 v8, v8, v4
	s_or_b32 exec_lo, exec_lo, s16
	s_and_saveexec_b32 s16, s14
	s_cbranch_execz .LBB165_78
.LBB165_94:                             ;   in Loop: Header=BB165_63 Depth=1
	v_mov_b32_e32 v4, s45
	ds_load_b32 v4, v4
	s_waitcnt lgkmcnt(0)
	v_add_nc_u32_e32 v8, v8, v4
	s_or_b32 exec_lo, exec_lo, s16
	s_delay_alu instid0(VALU_DEP_1)
	v_ashrrev_i32_e32 v9, 31, v8
	s_and_saveexec_b32 s16, s15
	s_cbranch_execz .LBB165_79
.LBB165_95:                             ;   in Loop: Header=BB165_63 Depth=1
	scratch_load_b128 v[12:15], off, off
	v_add3_u32 v4, v2, -1, v8
	s_delay_alu instid0(VALU_DEP_1) | instskip(SKIP_1) | instid1(VALU_DEP_2)
	v_lshlrev_b32_e32 v16, 4, v4
	v_lshl_add_u32 v4, v4, 3, 0
	v_add3_u32 v16, 0, v16, 0x8000
	ds_store_b64 v4, v[6:7]
	s_waitcnt vmcnt(0)
	ds_store_2addr_b64 v16, v[12:13], v[14:15] offset1:1
	s_or_b32 exec_lo, exec_lo, s16
	s_and_saveexec_b32 s15, vcc_lo
	s_cbranch_execz .LBB165_62
.LBB165_96:                             ;   in Loop: Header=BB165_63 Depth=1
	v_mov_b32_e32 v4, s41
	ds_store_b64 v4, v[8:9]
	s_branch .LBB165_62
.LBB165_97:
	s_or_b32 exec_lo, exec_lo, s17
	s_lshl_b64 s[0:1], s[36:37], 3
	v_mov_b32_e32 v1, 0
	s_add_u32 s0, s18, s0
	s_addc_u32 s1, s19, s1
	s_mov_b32 s6, exec_lo
	s_load_b128 s[0:3], s[0:1], 0x0
	s_waitcnt lgkmcnt(0)
	s_sub_u32 s4, s2, s0
	s_subb_u32 s5, s3, s1
	s_delay_alu instid0(SALU_CYCLE_1)
	v_cmpx_gt_i64_e64 s[4:5], v[0:1]
	s_cbranch_execz .LBB165_107
; %bb.98:
	s_sub_u32 s8, s0, s22
	s_subb_u32 s9, s1, 0
	s_and_b32 s6, s4, 7
	s_sub_u32 s0, s0, s2
	s_subb_u32 s1, s1, s3
	s_mov_b32 s7, 0
	v_cmp_lt_u64_e64 s12, s[0:1], -7
	s_and_b32 s2, s4, -8
	s_cmp_lg_u64 s[6:7], 0
	s_mov_b32 s3, s5
	s_cselect_b32 s13, -1, 0
	s_mov_b32 s14, s7
	s_branch .LBB165_100
.LBB165_99:                             ;   in Loop: Header=BB165_100 Depth=1
	v_lshlrev_b32_e32 v7, 3, v0
	s_waitcnt lgkmcnt(0)
	v_add_co_u32 v2, vcc_lo, v2, s22
	v_lshlrev_b64 v[10:11], 3, v[4:5]
	v_add_co_ci_u32_e32 v3, vcc_lo, 0, v3, vcc_lo
	v_add3_u32 v6, v6, v7, 0x8000
	v_add_co_u32 v0, vcc_lo, 0x400, v0
	v_add_co_ci_u32_e32 v1, vcc_lo, 0, v1, vcc_lo
	ds_load_2addr_b64 v[6:9], v6 offset1:1
	v_lshlrev_b64 v[4:5], 4, v[4:5]
	v_add_co_u32 v10, vcc_lo, s24, v10
	v_add_co_ci_u32_e32 v11, vcc_lo, s25, v11, vcc_lo
	v_cmp_le_i64_e32 vcc_lo, s[4:5], v[0:1]
	s_delay_alu instid0(VALU_DEP_4) | instskip(NEXT) | instid1(VALU_DEP_1)
	v_add_co_u32 v4, s0, s26, v4
	v_add_co_ci_u32_e64 v5, s0, s27, v5, s0
	global_store_b64 v[10:11], v[2:3], off
	s_waitcnt lgkmcnt(0)
	global_store_b128 v[4:5], v[6:9], off
	s_or_b32 s14, vcc_lo, s14
	s_delay_alu instid0(SALU_CYCLE_1)
	s_and_not1_b32 exec_lo, exec_lo, s14
	s_cbranch_execz .LBB165_107
.LBB165_100:                            ; =>This Loop Header: Depth=1
                                        ;     Child Loop BB165_102 Depth 2
                                        ;     Child Loop BB165_106 Depth 2
	v_lshl_add_u32 v6, v0, 3, 0
	v_dual_mov_b32 v4, s8 :: v_dual_mov_b32 v5, s9
	s_and_not1_b32 vcc_lo, exec_lo, s12
	s_mov_b64 s[0:1], 0
	ds_load_b64 v[2:3], v6
	s_cbranch_vccnz .LBB165_104
; %bb.101:                              ;   in Loop: Header=BB165_100 Depth=1
	v_dual_mov_b32 v4, s8 :: v_dual_mov_b32 v5, s9
	s_mov_b64 s[10:11], 0
	s_mov_b32 s1, 0
.LBB165_102:                            ;   Parent Loop BB165_100 Depth=1
                                        ; =>  This Inner Loop Header: Depth=2
	s_delay_alu instid0(SALU_CYCLE_1)
	v_mov_b32_e32 v19, s1
	s_add_u32 s10, s10, 8
	s_addc_u32 s11, s11, 0
	s_add_i32 s1, s1, 64
	s_cmp_eq_u64 s[2:3], s[10:11]
	ds_load_2addr_b64 v[7:10], v19 offset1:1
	ds_load_2addr_b64 v[11:14], v19 offset0:2 offset1:3
	ds_load_2addr_b64 v[15:18], v19 offset0:4 offset1:5
	;; [unrolled: 1-line block ×3, first 2 shown]
	s_waitcnt lgkmcnt(3)
	v_cmp_gt_i64_e32 vcc_lo, v[2:3], v[7:8]
	v_cndmask_b32_e64 v7, 0, 1, vcc_lo
	v_cmp_gt_i64_e32 vcc_lo, v[2:3], v[9:10]
	v_cndmask_b32_e64 v8, 0, 1, vcc_lo
	s_waitcnt lgkmcnt(2)
	v_cmp_gt_i64_e32 vcc_lo, v[2:3], v[11:12]
	v_cndmask_b32_e64 v9, 0, 1, vcc_lo
	v_cmp_gt_i64_e32 vcc_lo, v[2:3], v[13:14]
	v_cndmask_b32_e64 v10, 0, 1, vcc_lo
	s_waitcnt lgkmcnt(1)
	v_cmp_gt_i64_e32 vcc_lo, v[2:3], v[15:16]
	v_cndmask_b32_e64 v11, 0, 1, vcc_lo
	v_add_co_u32 v4, vcc_lo, v4, v7
	v_add_co_ci_u32_e32 v5, vcc_lo, 0, v5, vcc_lo
	v_cmp_gt_i64_e32 vcc_lo, v[2:3], v[17:18]
	s_delay_alu instid0(VALU_DEP_3) | instskip(NEXT) | instid1(VALU_DEP_1)
	v_add_co_u32 v4, s0, v4, v8
	v_add_co_ci_u32_e64 v5, s0, 0, v5, s0
	v_cndmask_b32_e64 v7, 0, 1, vcc_lo
	s_delay_alu instid0(VALU_DEP_3) | instskip(NEXT) | instid1(VALU_DEP_3)
	v_add_co_u32 v4, vcc_lo, v4, v9
	v_add_co_ci_u32_e32 v5, vcc_lo, 0, v5, vcc_lo
	s_waitcnt lgkmcnt(0)
	v_cmp_gt_i64_e32 vcc_lo, v[2:3], v[19:20]
	s_delay_alu instid0(VALU_DEP_3) | instskip(NEXT) | instid1(VALU_DEP_1)
	v_add_co_u32 v4, s0, v4, v10
	v_add_co_ci_u32_e64 v5, s0, 0, v5, s0
	v_cndmask_b32_e64 v8, 0, 1, vcc_lo
	s_delay_alu instid0(VALU_DEP_3) | instskip(NEXT) | instid1(VALU_DEP_3)
	v_add_co_u32 v4, vcc_lo, v4, v11
	v_add_co_ci_u32_e32 v5, vcc_lo, 0, v5, vcc_lo
	v_cmp_gt_i64_e32 vcc_lo, v[2:3], v[21:22]
	s_delay_alu instid0(VALU_DEP_3) | instskip(NEXT) | instid1(VALU_DEP_1)
	v_add_co_u32 v4, s0, v4, v7
	v_add_co_ci_u32_e64 v5, s0, 0, v5, s0
	v_cndmask_b32_e64 v7, 0, 1, vcc_lo
	s_delay_alu instid0(VALU_DEP_3) | instskip(NEXT) | instid1(VALU_DEP_3)
	v_add_co_u32 v4, vcc_lo, v4, v8
	v_add_co_ci_u32_e32 v5, vcc_lo, 0, v5, vcc_lo
	s_delay_alu instid0(VALU_DEP_2) | instskip(NEXT) | instid1(VALU_DEP_2)
	v_add_co_u32 v4, vcc_lo, v4, v7
	v_add_co_ci_u32_e32 v5, vcc_lo, 0, v5, vcc_lo
	s_cbranch_scc0 .LBB165_102
; %bb.103:                              ;   in Loop: Header=BB165_100 Depth=1
	s_mov_b64 s[0:1], s[2:3]
.LBB165_104:                            ;   in Loop: Header=BB165_100 Depth=1
	s_and_not1_b32 vcc_lo, exec_lo, s13
	s_cbranch_vccnz .LBB165_99
; %bb.105:                              ;   in Loop: Header=BB165_100 Depth=1
	s_lshl_b32 s0, s0, 3
	s_delay_alu instid0(SALU_CYCLE_1)
	s_add_i32 s10, s0, 0
	s_mov_b64 s[0:1], s[6:7]
.LBB165_106:                            ;   Parent Loop BB165_100 Depth=1
                                        ; =>  This Inner Loop Header: Depth=2
	v_mov_b32_e32 v7, s10
	s_add_i32 s10, s10, 8
	s_add_u32 s0, s0, -1
	s_addc_u32 s1, s1, -1
	s_delay_alu instid0(SALU_CYCLE_1) | instskip(SKIP_4) | instid1(VALU_DEP_1)
	s_cmp_lg_u64 s[0:1], 0
	ds_load_b64 v[7:8], v7
	s_waitcnt lgkmcnt(0)
	v_cmp_gt_i64_e32 vcc_lo, v[2:3], v[7:8]
	v_cndmask_b32_e64 v7, 0, 1, vcc_lo
	v_add_co_u32 v4, vcc_lo, v4, v7
	v_add_co_ci_u32_e32 v5, vcc_lo, 0, v5, vcc_lo
	s_cbranch_scc1 .LBB165_106
	s_branch .LBB165_99
.LBB165_107:
	s_nop 0
	s_sendmsg sendmsg(MSG_DEALLOC_VGPRS)
	s_endpgm
	.section	.rodata,"a",@progbits
	.p2align	6, 0x0
	.amdhsa_kernel _ZN9rocsparseL26csrgemm_fill_block_per_rowILj1024ELj64ELj4096ELj137ELj64Ell21rocsparse_complex_numIdEEEvT5_PKS3_S5_NS_24const_host_device_scalarIT6_EEPKT4_S5_PKS7_SB_S5_SD_S8_SB_S5_SD_SB_PS3_PS7_21rocsparse_index_base_SG_SG_SG_bbb
		.amdhsa_group_segment_fixed_size 0
		.amdhsa_private_segment_fixed_size 40
		.amdhsa_kernarg_size 172
		.amdhsa_user_sgpr_count 15
		.amdhsa_user_sgpr_dispatch_ptr 0
		.amdhsa_user_sgpr_queue_ptr 0
		.amdhsa_user_sgpr_kernarg_segment_ptr 1
		.amdhsa_user_sgpr_dispatch_id 0
		.amdhsa_user_sgpr_private_segment_size 0
		.amdhsa_wavefront_size32 1
		.amdhsa_uses_dynamic_stack 0
		.amdhsa_enable_private_segment 1
		.amdhsa_system_sgpr_workgroup_id_x 1
		.amdhsa_system_sgpr_workgroup_id_y 0
		.amdhsa_system_sgpr_workgroup_id_z 0
		.amdhsa_system_sgpr_workgroup_info 0
		.amdhsa_system_vgpr_workitem_id 0
		.amdhsa_next_free_vgpr 37
		.amdhsa_next_free_sgpr 48
		.amdhsa_reserve_vcc 1
		.amdhsa_float_round_mode_32 0
		.amdhsa_float_round_mode_16_64 0
		.amdhsa_float_denorm_mode_32 3
		.amdhsa_float_denorm_mode_16_64 3
		.amdhsa_dx10_clamp 1
		.amdhsa_ieee_mode 1
		.amdhsa_fp16_overflow 0
		.amdhsa_workgroup_processor_mode 1
		.amdhsa_memory_ordered 1
		.amdhsa_forward_progress 0
		.amdhsa_shared_vgpr_count 0
		.amdhsa_exception_fp_ieee_invalid_op 0
		.amdhsa_exception_fp_denorm_src 0
		.amdhsa_exception_fp_ieee_div_zero 0
		.amdhsa_exception_fp_ieee_overflow 0
		.amdhsa_exception_fp_ieee_underflow 0
		.amdhsa_exception_fp_ieee_inexact 0
		.amdhsa_exception_int_div_zero 0
	.end_amdhsa_kernel
	.section	.text._ZN9rocsparseL26csrgemm_fill_block_per_rowILj1024ELj64ELj4096ELj137ELj64Ell21rocsparse_complex_numIdEEEvT5_PKS3_S5_NS_24const_host_device_scalarIT6_EEPKT4_S5_PKS7_SB_S5_SD_S8_SB_S5_SD_SB_PS3_PS7_21rocsparse_index_base_SG_SG_SG_bbb,"axG",@progbits,_ZN9rocsparseL26csrgemm_fill_block_per_rowILj1024ELj64ELj4096ELj137ELj64Ell21rocsparse_complex_numIdEEEvT5_PKS3_S5_NS_24const_host_device_scalarIT6_EEPKT4_S5_PKS7_SB_S5_SD_S8_SB_S5_SD_SB_PS3_PS7_21rocsparse_index_base_SG_SG_SG_bbb,comdat
.Lfunc_end165:
	.size	_ZN9rocsparseL26csrgemm_fill_block_per_rowILj1024ELj64ELj4096ELj137ELj64Ell21rocsparse_complex_numIdEEEvT5_PKS3_S5_NS_24const_host_device_scalarIT6_EEPKT4_S5_PKS7_SB_S5_SD_S8_SB_S5_SD_SB_PS3_PS7_21rocsparse_index_base_SG_SG_SG_bbb, .Lfunc_end165-_ZN9rocsparseL26csrgemm_fill_block_per_rowILj1024ELj64ELj4096ELj137ELj64Ell21rocsparse_complex_numIdEEEvT5_PKS3_S5_NS_24const_host_device_scalarIT6_EEPKT4_S5_PKS7_SB_S5_SD_S8_SB_S5_SD_SB_PS3_PS7_21rocsparse_index_base_SG_SG_SG_bbb
                                        ; -- End function
	.section	.AMDGPU.csdata,"",@progbits
; Kernel info:
; codeLenInByte = 4644
; NumSgprs: 50
; NumVgprs: 37
; ScratchSize: 40
; MemoryBound: 0
; FloatMode: 240
; IeeeMode: 1
; LDSByteSize: 0 bytes/workgroup (compile time only)
; SGPRBlocks: 6
; VGPRBlocks: 4
; NumSGPRsForWavesPerEU: 50
; NumVGPRsForWavesPerEU: 37
; Occupancy: 16
; WaveLimiterHint : 1
; COMPUTE_PGM_RSRC2:SCRATCH_EN: 1
; COMPUTE_PGM_RSRC2:USER_SGPR: 15
; COMPUTE_PGM_RSRC2:TRAP_HANDLER: 0
; COMPUTE_PGM_RSRC2:TGID_X_EN: 1
; COMPUTE_PGM_RSRC2:TGID_Y_EN: 0
; COMPUTE_PGM_RSRC2:TGID_Z_EN: 0
; COMPUTE_PGM_RSRC2:TIDIG_COMP_CNT: 0
	.section	.text._ZN9rocsparseL26csrgemm_fill_block_per_rowILj1024ELj64ELj8192ELj137ELj32Ell21rocsparse_complex_numIdEEEvT5_PKS3_S5_NS_24const_host_device_scalarIT6_EEPKT4_S5_PKS7_SB_S5_SD_S8_SB_S5_SD_SB_PS3_PS7_21rocsparse_index_base_SG_SG_SG_bbb,"axG",@progbits,_ZN9rocsparseL26csrgemm_fill_block_per_rowILj1024ELj64ELj8192ELj137ELj32Ell21rocsparse_complex_numIdEEEvT5_PKS3_S5_NS_24const_host_device_scalarIT6_EEPKT4_S5_PKS7_SB_S5_SD_S8_SB_S5_SD_SB_PS3_PS7_21rocsparse_index_base_SG_SG_SG_bbb,comdat
	.globl	_ZN9rocsparseL26csrgemm_fill_block_per_rowILj1024ELj64ELj8192ELj137ELj32Ell21rocsparse_complex_numIdEEEvT5_PKS3_S5_NS_24const_host_device_scalarIT6_EEPKT4_S5_PKS7_SB_S5_SD_S8_SB_S5_SD_SB_PS3_PS7_21rocsparse_index_base_SG_SG_SG_bbb ; -- Begin function _ZN9rocsparseL26csrgemm_fill_block_per_rowILj1024ELj64ELj8192ELj137ELj32Ell21rocsparse_complex_numIdEEEvT5_PKS3_S5_NS_24const_host_device_scalarIT6_EEPKT4_S5_PKS7_SB_S5_SD_S8_SB_S5_SD_SB_PS3_PS7_21rocsparse_index_base_SG_SG_SG_bbb
	.p2align	8
	.type	_ZN9rocsparseL26csrgemm_fill_block_per_rowILj1024ELj64ELj8192ELj137ELj32Ell21rocsparse_complex_numIdEEEvT5_PKS3_S5_NS_24const_host_device_scalarIT6_EEPKT4_S5_PKS7_SB_S5_SD_S8_SB_S5_SD_SB_PS3_PS7_21rocsparse_index_base_SG_SG_SG_bbb,@function
_ZN9rocsparseL26csrgemm_fill_block_per_rowILj1024ELj64ELj8192ELj137ELj32Ell21rocsparse_complex_numIdEEEvT5_PKS3_S5_NS_24const_host_device_scalarIT6_EEPKT4_S5_PKS7_SB_S5_SD_S8_SB_S5_SD_SB_PS3_PS7_21rocsparse_index_base_SG_SG_SG_bbb: ; @_ZN9rocsparseL26csrgemm_fill_block_per_rowILj1024ELj64ELj8192ELj137ELj32Ell21rocsparse_complex_numIdEEEvT5_PKS3_S5_NS_24const_host_device_scalarIT6_EEPKT4_S5_PKS7_SB_S5_SD_S8_SB_S5_SD_SB_PS3_PS7_21rocsparse_index_base_SG_SG_SG_bbb
; %bb.0:
	s_mov_b32 s16, s15
	s_clause 0x3
	s_load_b32 s19, s[0:1], 0xa8
	s_load_b256 s[4:11], s[0:1], 0x8
	s_load_b128 s[12:15], s[0:1], 0x58
	s_load_b128 s[36:39], s[0:1], 0x98
	v_mov_b32_e32 v1, 0
	v_mov_b32_e32 v2, 0
	s_waitcnt lgkmcnt(0)
	s_bitcmp1_b32 s19, 0
	v_mov_b32_e32 v3, s8
	s_cselect_b32 s3, -1, 0
	s_bitcmp1_b32 s19, 16
	v_dual_mov_b32 v6, v2 :: v_dual_mov_b32 v5, v1
	s_cselect_b32 s2, -1, 0
	v_mov_b32_e32 v4, s9
	s_xor_b32 s17, s2, -1
	v_dual_mov_b32 v9, s12 :: v_dual_mov_b32 v10, s13
	v_cndmask_b32_e64 v7, 0, 1, s17
	s_bitcmp0_b32 s19, 0
	s_clause 0x1
	scratch_store_b64 off, v[3:4], off offset:16
	scratch_store_b64 off, v[9:10], off offset:24
	v_cmp_ne_u32_e32 vcc_lo, 1, v7
	v_dual_mov_b32 v8, v2 :: v_dual_mov_b32 v7, v1
	s_cbranch_scc1 .LBB166_3
; %bb.1:
	s_mov_b64 s[20:21], src_private_base
	s_and_b32 s18, s2, exec_lo
	s_cselect_b32 s18, s21, s9
	s_delay_alu instid0(SALU_CYCLE_1) | instskip(SKIP_2) | instid1(VALU_DEP_2)
	v_dual_mov_b32 v3, 16 :: v_dual_mov_b32 v4, s18
	v_dual_mov_b32 v7, s10 :: v_dual_mov_b32 v8, s11
	s_and_b32 vcc_lo, exec_lo, vcc_lo
	v_cndmask_b32_e64 v3, s8, v3, s2
	flat_load_b64 v[5:6], v[3:4]
	s_cbranch_vccnz .LBB166_3
; %bb.2:
	v_dual_mov_b32 v3, s8 :: v_dual_mov_b32 v4, s9
	flat_load_b64 v[7:8], v[3:4] offset:8
.LBB166_3:
	s_bitcmp1_b32 s19, 8
	v_dual_mov_b32 v4, v2 :: v_dual_mov_b32 v3, v1
	s_cselect_b32 s18, -1, 0
	s_bfe_u32 s8, s19, 0x10008
	s_delay_alu instid0(SALU_CYCLE_1)
	s_cmp_eq_u32 s8, 0
	s_cbranch_scc1 .LBB166_6
; %bb.4:
	s_mov_b64 s[8:9], src_private_base
	s_and_b32 s8, s2, exec_lo
	s_cselect_b32 s8, s9, s13
	s_delay_alu instid0(SALU_CYCLE_1) | instskip(SKIP_1) | instid1(VALU_DEP_1)
	v_dual_mov_b32 v1, 24 :: v_dual_mov_b32 v2, s8
	s_and_not1_b32 vcc_lo, exec_lo, s17
	v_cndmask_b32_e64 v1, s12, v1, s2
	flat_load_b64 v[3:4], v[1:2]
	v_dual_mov_b32 v1, s14 :: v_dual_mov_b32 v2, s15
	s_cbranch_vccnz .LBB166_6
; %bb.5:
	v_dual_mov_b32 v1, s12 :: v_dual_mov_b32 v2, s13
	flat_load_b64 v[1:2], v[1:2] offset:8
.LBB166_6:
	s_load_b64 s[34:35], s[0:1], 0x0
	v_lshl_add_u32 v25, v0, 4, 0
	s_mov_b32 s8, 0
	v_lshl_add_u32 v27, v0, 3, 0
	s_mov_b32 s9, s8
	s_mov_b32 s11, s8
	v_dual_mov_b32 v10, s9 :: v_dual_add_nc_u32 v13, 0x10000, v25
	s_mov_b32 s10, s8
	v_dual_mov_b32 v9, s8 :: v_dual_mov_b32 v12, s11
	s_delay_alu instid0(VALU_DEP_2)
	v_dual_mov_b32 v11, s10 :: v_dual_add_nc_u32 v14, 0x4000, v13
	v_add_nc_u32_e32 v28, 0x8000, v13
	v_add_nc_u32_e32 v26, 0x20000, v25
	;; [unrolled: 1-line block ×3, first 2 shown]
	ds_store_2addr_b64 v13, v[9:10], v[11:12] offset1:1
	ds_store_2addr_b64 v14, v[9:10], v[11:12] offset1:1
	s_mov_b32 s17, s8
	s_waitcnt lgkmcnt(0)
	v_dual_mov_b32 v15, s34 :: v_dual_mov_b32 v16, s35
	v_mov_b32_e32 v17, s34
	v_dual_mov_b32 v13, s34 :: v_dual_mov_b32 v18, s35
	v_dual_mov_b32 v19, s34 :: v_dual_mov_b32 v14, s35
	v_dual_mov_b32 v20, s35 :: v_dual_mov_b32 v21, s34
	v_dual_mov_b32 v22, s35 :: v_dual_mov_b32 v23, s34
	v_mov_b32_e32 v24, s35
	ds_store_2addr_b64 v28, v[9:10], v[11:12] offset1:1
	ds_store_2addr_b64 v29, v[9:10], v[11:12] offset1:1
	ds_store_2addr_stride64_b64 v27, v[13:14], v[15:16] offset1:16
	ds_store_2addr_stride64_b64 v27, v[17:18], v[19:20] offset0:32 offset1:48
	ds_store_2addr_stride64_b64 v27, v[21:22], v[23:24] offset0:64 offset1:80
	v_add_nc_u32_e32 v17, 0x24000, v25
	v_add_nc_u32_e32 v18, 0x28000, v25
	;; [unrolled: 1-line block ×3, first 2 shown]
	ds_store_2addr_b64 v26, v[9:10], v[11:12] offset1:1
	ds_store_2addr_b64 v17, v[9:10], v[11:12] offset1:1
	ds_store_2addr_stride64_b64 v27, v[13:14], v[15:16] offset0:96 offset1:112
	ds_store_2addr_b64 v18, v[9:10], v[11:12] offset1:1
	ds_store_2addr_b64 v19, v[9:10], v[11:12] offset1:1
	s_waitcnt vmcnt(0) lgkmcnt(0)
	s_waitcnt_vscnt null, 0x0
	s_barrier
	buffer_gl0_inv
	s_load_b64 s[4:5], s[4:5], 0x0
	s_waitcnt lgkmcnt(0)
	s_lshl_b64 s[4:5], s[4:5], 3
	s_delay_alu instid0(SALU_CYCLE_1) | instskip(SKIP_2) | instid1(SALU_CYCLE_1)
	s_add_u32 s2, s6, s4
	s_addc_u32 s6, s7, s5
	s_lshl_b64 s[4:5], s[16:17], 3
	s_add_u32 s4, s2, s4
	s_addc_u32 s5, s6, s5
	s_and_not1_b32 vcc_lo, exec_lo, s3
	s_load_b64 s[44:45], s[4:5], 0x0
	s_cbranch_vccnz .LBB166_34
; %bb.7:
	s_load_b64 s[2:3], s[0:1], 0x28
	s_waitcnt lgkmcnt(0)
	s_lshl_b64 s[4:5], s[44:45], 3
	v_lshrrev_b32_e32 v9, 6, v0
	s_mov_b32 s14, exec_lo
	s_add_u32 s2, s2, s4
	s_addc_u32 s3, s3, s5
	s_load_b128 s[4:7], s[2:3], 0x0
	v_sub_co_u32 v9, s2, v9, s36
	s_delay_alu instid0(VALU_DEP_1) | instskip(SKIP_1) | instid1(VALU_DEP_2)
	v_sub_co_ci_u32_e64 v10, null, 0, 0, s2
	s_waitcnt lgkmcnt(0)
	v_add_co_u32 v9, vcc_lo, s4, v9
	s_delay_alu instid0(VALU_DEP_2)
	v_add_co_ci_u32_e32 v10, vcc_lo, s5, v10, vcc_lo
	s_sub_u32 s2, s6, s36
	s_subb_u32 s3, s7, 0
	s_delay_alu instid0(VALU_DEP_1) | instid1(SALU_CYCLE_1)
	v_cmpx_gt_i64_e64 s[2:3], v[9:10]
	s_cbranch_execz .LBB166_33
; %bb.8:
	s_clause 0x1
	s_load_b64 s[12:13], s[0:1], 0x50
	s_load_b256 s[4:11], s[0:1], 0x30
	v_and_b32_e32 v11, 63, v0
	s_mov_b32 s16, s37
	s_delay_alu instid0(VALU_DEP_1) | instskip(NEXT) | instid1(VALU_DEP_1)
	v_sub_co_u32 v28, s15, v11, s37
	v_sub_co_ci_u32_e64 v29, null, 0, 0, s15
	s_mov_b32 s15, 0
	s_branch .LBB166_10
.LBB166_9:                              ;   in Loop: Header=BB166_10 Depth=1
	s_or_b32 exec_lo, exec_lo, s17
	v_add_co_u32 v9, vcc_lo, v9, 16
	v_add_co_ci_u32_e32 v10, vcc_lo, 0, v10, vcc_lo
	s_delay_alu instid0(VALU_DEP_1) | instskip(SKIP_1) | instid1(SALU_CYCLE_1)
	v_cmp_le_i64_e32 vcc_lo, s[2:3], v[9:10]
	s_or_b32 s15, vcc_lo, s15
	s_and_not1_b32 exec_lo, exec_lo, s15
	s_cbranch_execz .LBB166_33
.LBB166_10:                             ; =>This Loop Header: Depth=1
                                        ;     Child Loop BB166_13 Depth 2
                                        ;       Child Loop BB166_15 Depth 3
                                        ;         Child Loop BB166_21 Depth 4
                                        ;         Child Loop BB166_23 Depth 4
	;; [unrolled: 1-line block ×4, first 2 shown]
	v_lshlrev_b64 v[11:12], 3, v[9:10]
	s_mov_b32 s17, exec_lo
	s_waitcnt lgkmcnt(0)
	s_delay_alu instid0(VALU_DEP_1) | instskip(NEXT) | instid1(VALU_DEP_2)
	v_add_co_u32 v11, vcc_lo, s4, v11
	v_add_co_ci_u32_e32 v12, vcc_lo, s5, v12, vcc_lo
	global_load_b64 v[11:12], v[11:12], off
	s_waitcnt vmcnt(0)
	v_sub_co_u32 v11, vcc_lo, v11, s36
	v_subrev_co_ci_u32_e32 v12, vcc_lo, 0, v12, vcc_lo
	s_delay_alu instid0(VALU_DEP_1) | instskip(NEXT) | instid1(VALU_DEP_1)
	v_lshlrev_b64 v[11:12], 3, v[11:12]
	v_add_co_u32 v11, vcc_lo, s8, v11
	s_delay_alu instid0(VALU_DEP_2)
	v_add_co_ci_u32_e32 v12, vcc_lo, s9, v12, vcc_lo
	global_load_b128 v[13:16], v[11:12], off
	s_waitcnt vmcnt(0)
	v_sub_co_u32 v11, vcc_lo, v15, s16
	v_subrev_co_ci_u32_e32 v12, vcc_lo, 0, v16, vcc_lo
	v_add_co_u32 v13, vcc_lo, v13, v28
	v_add_co_ci_u32_e32 v14, vcc_lo, v14, v29, vcc_lo
	s_delay_alu instid0(VALU_DEP_1)
	v_cmpx_lt_i64_e64 v[13:14], v[11:12]
	s_cbranch_execz .LBB166_9
; %bb.11:                               ;   in Loop: Header=BB166_10 Depth=1
	v_lshlrev_b64 v[15:16], 4, v[9:10]
	s_mov_b32 s19, 0
	s_delay_alu instid0(VALU_DEP_1) | instskip(NEXT) | instid1(VALU_DEP_2)
	v_add_co_u32 v15, vcc_lo, s6, v15
	v_add_co_ci_u32_e32 v16, vcc_lo, s7, v16, vcc_lo
	global_load_b128 v[17:20], v[15:16], off
	s_waitcnt vmcnt(0)
	v_mul_f64 v[15:16], v[19:20], -v[7:8]
	v_mul_f64 v[19:20], v[5:6], v[19:20]
	s_delay_alu instid0(VALU_DEP_2) | instskip(NEXT) | instid1(VALU_DEP_2)
	v_fma_f64 v[15:16], v[5:6], v[17:18], v[15:16]
	v_fma_f64 v[17:18], v[7:8], v[17:18], v[19:20]
	s_branch .LBB166_13
.LBB166_12:                             ;   in Loop: Header=BB166_13 Depth=2
	s_or_b32 exec_lo, exec_lo, s20
	v_add_co_u32 v13, vcc_lo, v13, 64
	v_add_co_ci_u32_e32 v14, vcc_lo, 0, v14, vcc_lo
	s_delay_alu instid0(VALU_DEP_1) | instskip(SKIP_1) | instid1(SALU_CYCLE_1)
	v_cmp_ge_i64_e32 vcc_lo, v[13:14], v[11:12]
	s_or_b32 s19, vcc_lo, s19
	s_and_not1_b32 exec_lo, exec_lo, s19
	s_cbranch_execz .LBB166_9
.LBB166_13:                             ;   Parent Loop BB166_10 Depth=1
                                        ; =>  This Loop Header: Depth=2
                                        ;       Child Loop BB166_15 Depth 3
                                        ;         Child Loop BB166_21 Depth 4
                                        ;         Child Loop BB166_23 Depth 4
	;; [unrolled: 1-line block ×4, first 2 shown]
	v_lshlrev_b64 v[19:20], 4, v[13:14]
	s_mov_b32 s20, 0
	s_delay_alu instid0(VALU_DEP_1) | instskip(NEXT) | instid1(VALU_DEP_2)
	v_add_co_u32 v19, vcc_lo, s12, v19
	v_add_co_ci_u32_e32 v20, vcc_lo, s13, v20, vcc_lo
	global_load_b128 v[21:24], v[19:20], off
	v_lshlrev_b64 v[19:20], 3, v[13:14]
	s_delay_alu instid0(VALU_DEP_1) | instskip(NEXT) | instid1(VALU_DEP_2)
	v_add_co_u32 v19, vcc_lo, s10, v19
	v_add_co_ci_u32_e32 v20, vcc_lo, s11, v20, vcc_lo
	global_load_b64 v[25:26], v[19:20], off
	s_waitcnt vmcnt(1)
	v_mul_f64 v[19:20], v[23:24], -v[17:18]
	v_mul_f64 v[23:24], v[15:16], v[23:24]
	s_delay_alu instid0(VALU_DEP_2) | instskip(NEXT) | instid1(VALU_DEP_2)
	v_fma_f64 v[19:20], v[15:16], v[21:22], v[19:20]
	v_fma_f64 v[21:22], v[17:18], v[21:22], v[23:24]
	s_waitcnt vmcnt(0)
	v_sub_co_u32 v23, vcc_lo, v25, s16
	v_subrev_co_ci_u32_e32 v24, vcc_lo, 0, v26, vcc_lo
	s_delay_alu instid0(VALU_DEP_2) | instskip(NEXT) | instid1(VALU_DEP_1)
	v_mul_lo_u32 v25, 0x89, v23
	v_and_b32_e32 v30, 0x1fff, v25
	s_branch .LBB166_15
.LBB166_14:                             ;   in Loop: Header=BB166_15 Depth=3
	s_or_b32 exec_lo, exec_lo, s21
	s_xor_b32 s21, s22, -1
	s_delay_alu instid0(SALU_CYCLE_1) | instskip(NEXT) | instid1(SALU_CYCLE_1)
	s_and_b32 s21, exec_lo, s21
	s_or_b32 s20, s21, s20
	s_delay_alu instid0(SALU_CYCLE_1)
	s_and_not1_b32 exec_lo, exec_lo, s20
	s_cbranch_execz .LBB166_12
.LBB166_15:                             ;   Parent Loop BB166_10 Depth=1
                                        ;     Parent Loop BB166_13 Depth=2
                                        ; =>    This Loop Header: Depth=3
                                        ;         Child Loop BB166_21 Depth 4
                                        ;         Child Loop BB166_23 Depth 4
	;; [unrolled: 1-line block ×4, first 2 shown]
	s_delay_alu instid0(VALU_DEP_1)
	v_lshl_add_u32 v31, v30, 3, 0
	s_mov_b32 s21, exec_lo
                                        ; implicit-def: $sgpr22
	ds_load_b64 v[25:26], v31
	s_waitcnt lgkmcnt(0)
	v_cmpx_ne_u64_e64 v[25:26], v[23:24]
	s_xor_b32 s21, exec_lo, s21
	s_cbranch_execz .LBB166_27
; %bb.16:                               ;   in Loop: Header=BB166_15 Depth=3
	s_mov_b32 s23, exec_lo
                                        ; implicit-def: $sgpr22
	v_cmpx_ne_u64_e64 s[34:35], v[25:26]
	s_xor_b32 s23, exec_lo, s23
; %bb.17:                               ;   in Loop: Header=BB166_15 Depth=3
	v_add_nc_u32_e32 v25, 1, v30
	s_mov_b32 s22, -1
                                        ; implicit-def: $vgpr31
	s_delay_alu instid0(VALU_DEP_1)
	v_and_b32_e32 v30, 0x1fff, v25
; %bb.18:                               ;   in Loop: Header=BB166_15 Depth=3
	s_and_not1_saveexec_b32 s23, s23
	s_cbranch_execz .LBB166_26
; %bb.19:                               ;   in Loop: Header=BB166_15 Depth=3
	v_dual_mov_b32 v25, s34 :: v_dual_mov_b32 v26, s35
	s_mov_b32 s25, -1
	s_mov_b32 s24, exec_lo
	ds_cmpstore_rtn_b64 v[25:26], v31, v[23:24], v[25:26]
	s_waitcnt lgkmcnt(0)
	v_cmpx_eq_u64_e64 s[34:35], v[25:26]
	s_cbranch_execz .LBB166_25
; %bb.20:                               ;   in Loop: Header=BB166_15 Depth=3
	v_lshlrev_b32_e32 v25, 4, v30
	s_mov_b32 s25, 0
	s_delay_alu instid0(VALU_DEP_1)
	v_add3_u32 v31, 0, v25, 0x10000
	ds_load_b64 v[25:26], v31
.LBB166_21:                             ;   Parent Loop BB166_10 Depth=1
                                        ;     Parent Loop BB166_13 Depth=2
                                        ;       Parent Loop BB166_15 Depth=3
                                        ; =>      This Inner Loop Header: Depth=4
	s_waitcnt lgkmcnt(0)
	v_add_f64 v[32:33], v[25:26], v[19:20]
	ds_cmpstore_rtn_b64 v[32:33], v31, v[32:33], v[25:26]
	s_waitcnt lgkmcnt(0)
	v_cmp_eq_u64_e32 vcc_lo, v[32:33], v[25:26]
	v_dual_mov_b32 v25, v32 :: v_dual_mov_b32 v26, v33
	s_or_b32 s25, vcc_lo, s25
	s_delay_alu instid0(SALU_CYCLE_1)
	s_and_not1_b32 exec_lo, exec_lo, s25
	s_cbranch_execnz .LBB166_21
; %bb.22:                               ;   in Loop: Header=BB166_15 Depth=3
	s_or_b32 exec_lo, exec_lo, s25
	ds_load_b64 v[25:26], v31 offset:8
	s_mov_b32 s25, 0
.LBB166_23:                             ;   Parent Loop BB166_10 Depth=1
                                        ;     Parent Loop BB166_13 Depth=2
                                        ;       Parent Loop BB166_15 Depth=3
                                        ; =>      This Inner Loop Header: Depth=4
	s_waitcnt lgkmcnt(0)
	v_add_f64 v[32:33], v[25:26], v[21:22]
	ds_cmpstore_rtn_b64 v[32:33], v31, v[32:33], v[25:26] offset:8
	s_waitcnt lgkmcnt(0)
	v_cmp_eq_u64_e32 vcc_lo, v[32:33], v[25:26]
	v_dual_mov_b32 v25, v32 :: v_dual_mov_b32 v26, v33
	s_or_b32 s25, vcc_lo, s25
	s_delay_alu instid0(SALU_CYCLE_1)
	s_and_not1_b32 exec_lo, exec_lo, s25
	s_cbranch_execnz .LBB166_23
; %bb.24:                               ;   in Loop: Header=BB166_15 Depth=3
	s_or_b32 exec_lo, exec_lo, s25
	s_delay_alu instid0(SALU_CYCLE_1)
	s_xor_b32 s25, exec_lo, -1
.LBB166_25:                             ;   in Loop: Header=BB166_15 Depth=3
	s_or_b32 exec_lo, exec_lo, s24
	s_delay_alu instid0(SALU_CYCLE_1) | instskip(SKIP_1) | instid1(SALU_CYCLE_1)
	s_and_not1_b32 s22, s22, exec_lo
	s_and_b32 s24, s25, exec_lo
	s_or_b32 s22, s22, s24
.LBB166_26:                             ;   in Loop: Header=BB166_15 Depth=3
	s_or_b32 exec_lo, exec_lo, s23
	s_delay_alu instid0(SALU_CYCLE_1)
	s_and_b32 s22, s22, exec_lo
.LBB166_27:                             ;   in Loop: Header=BB166_15 Depth=3
	s_and_not1_saveexec_b32 s21, s21
	s_cbranch_execz .LBB166_14
; %bb.28:                               ;   in Loop: Header=BB166_15 Depth=3
	v_lshlrev_b32_e32 v25, 4, v30
	s_mov_b32 s23, 0
	s_delay_alu instid0(VALU_DEP_1)
	v_add3_u32 v31, 0, v25, 0x10000
	ds_load_b64 v[25:26], v31
.LBB166_29:                             ;   Parent Loop BB166_10 Depth=1
                                        ;     Parent Loop BB166_13 Depth=2
                                        ;       Parent Loop BB166_15 Depth=3
                                        ; =>      This Inner Loop Header: Depth=4
	s_waitcnt lgkmcnt(0)
	v_add_f64 v[32:33], v[25:26], v[19:20]
	ds_cmpstore_rtn_b64 v[32:33], v31, v[32:33], v[25:26]
	s_waitcnt lgkmcnt(0)
	v_cmp_eq_u64_e32 vcc_lo, v[32:33], v[25:26]
	v_dual_mov_b32 v25, v32 :: v_dual_mov_b32 v26, v33
	s_or_b32 s23, vcc_lo, s23
	s_delay_alu instid0(SALU_CYCLE_1)
	s_and_not1_b32 exec_lo, exec_lo, s23
	s_cbranch_execnz .LBB166_29
; %bb.30:                               ;   in Loop: Header=BB166_15 Depth=3
	s_or_b32 exec_lo, exec_lo, s23
	ds_load_b64 v[25:26], v31 offset:8
	s_mov_b32 s23, 0
.LBB166_31:                             ;   Parent Loop BB166_10 Depth=1
                                        ;     Parent Loop BB166_13 Depth=2
                                        ;       Parent Loop BB166_15 Depth=3
                                        ; =>      This Inner Loop Header: Depth=4
	s_waitcnt lgkmcnt(0)
	v_add_f64 v[32:33], v[25:26], v[21:22]
	ds_cmpstore_rtn_b64 v[32:33], v31, v[32:33], v[25:26] offset:8
	s_waitcnt lgkmcnt(0)
	v_cmp_eq_u64_e32 vcc_lo, v[32:33], v[25:26]
	v_dual_mov_b32 v25, v32 :: v_dual_mov_b32 v26, v33
	s_or_b32 s23, vcc_lo, s23
	s_delay_alu instid0(SALU_CYCLE_1)
	s_and_not1_b32 exec_lo, exec_lo, s23
	s_cbranch_execnz .LBB166_31
; %bb.32:                               ;   in Loop: Header=BB166_15 Depth=3
	s_or_b32 exec_lo, exec_lo, s23
	s_delay_alu instid0(SALU_CYCLE_1)
	s_and_not1_b32 s22, s22, exec_lo
	s_branch .LBB166_14
.LBB166_33:
	s_or_b32 exec_lo, exec_lo, s14
.LBB166_34:
	s_clause 0x1
	s_load_b64 s[36:37], s[0:1], 0x90
	s_load_b128 s[40:43], s[0:1], 0x80
	s_and_not1_b32 vcc_lo, exec_lo, s18
	s_cbranch_vccnz .LBB166_59
; %bb.35:
	s_load_b64 s[2:3], s[0:1], 0x68
	s_waitcnt lgkmcnt(0)
	s_lshl_b64 s[4:5], s[44:45], 3
	s_delay_alu instid0(SALU_CYCLE_1) | instskip(SKIP_3) | instid1(VALU_DEP_1)
	s_add_u32 s2, s2, s4
	s_addc_u32 s3, s3, s5
	s_load_b128 s[4:7], s[2:3], 0x0
	v_sub_co_u32 v5, s2, v0, s39
	v_sub_co_ci_u32_e64 v6, null, 0, 0, s2
	s_waitcnt lgkmcnt(0)
	s_delay_alu instid0(VALU_DEP_2) | instskip(NEXT) | instid1(VALU_DEP_2)
	v_add_co_u32 v5, vcc_lo, s4, v5
	v_add_co_ci_u32_e32 v6, vcc_lo, s5, v6, vcc_lo
	s_sub_u32 s4, s6, s39
	s_subb_u32 s5, s7, 0
	s_mov_b32 s6, 0
	s_mov_b32 s7, exec_lo
	v_cmpx_gt_i64_e64 s[4:5], v[5:6]
	s_cbranch_execz .LBB166_58
; %bb.36:
	s_load_b128 s[0:3], s[0:1], 0x70
	s_mov_b32 s8, s39
	s_branch .LBB166_38
.LBB166_37:                             ;   in Loop: Header=BB166_38 Depth=1
	s_or_b32 exec_lo, exec_lo, s9
	v_add_co_u32 v5, vcc_lo, 0x400, v5
	v_add_co_ci_u32_e32 v6, vcc_lo, 0, v6, vcc_lo
	s_delay_alu instid0(VALU_DEP_1) | instskip(SKIP_1) | instid1(SALU_CYCLE_1)
	v_cmp_le_i64_e32 vcc_lo, s[4:5], v[5:6]
	s_or_b32 s6, vcc_lo, s6
	s_and_not1_b32 exec_lo, exec_lo, s6
	s_cbranch_execz .LBB166_58
.LBB166_38:                             ; =>This Loop Header: Depth=1
                                        ;     Child Loop BB166_40 Depth 2
                                        ;       Child Loop BB166_46 Depth 3
                                        ;       Child Loop BB166_48 Depth 3
                                        ;       Child Loop BB166_54 Depth 3
                                        ;       Child Loop BB166_56 Depth 3
	v_lshlrev_b64 v[7:8], 4, v[5:6]
	s_mov_b32 s9, 0
	s_waitcnt lgkmcnt(0)
	s_delay_alu instid0(VALU_DEP_1) | instskip(NEXT) | instid1(VALU_DEP_2)
	v_add_co_u32 v7, vcc_lo, s2, v7
	v_add_co_ci_u32_e32 v8, vcc_lo, s3, v8, vcc_lo
	global_load_b128 v[9:12], v[7:8], off
	v_lshlrev_b64 v[7:8], 3, v[5:6]
	s_delay_alu instid0(VALU_DEP_1) | instskip(NEXT) | instid1(VALU_DEP_2)
	v_add_co_u32 v7, vcc_lo, s0, v7
	v_add_co_ci_u32_e32 v8, vcc_lo, s1, v8, vcc_lo
	global_load_b64 v[13:14], v[7:8], off
	s_waitcnt vmcnt(1)
	v_mul_f64 v[7:8], v[11:12], -v[1:2]
	v_mul_f64 v[11:12], v[3:4], v[11:12]
	s_delay_alu instid0(VALU_DEP_2) | instskip(NEXT) | instid1(VALU_DEP_2)
	v_fma_f64 v[7:8], v[3:4], v[9:10], v[7:8]
	v_fma_f64 v[9:10], v[1:2], v[9:10], v[11:12]
	s_waitcnt vmcnt(0)
	v_sub_co_u32 v11, vcc_lo, v13, s8
	v_subrev_co_ci_u32_e32 v12, vcc_lo, 0, v14, vcc_lo
	s_delay_alu instid0(VALU_DEP_2) | instskip(NEXT) | instid1(VALU_DEP_1)
	v_mul_lo_u32 v13, 0x89, v11
	v_and_b32_e32 v15, 0x1fff, v13
	s_branch .LBB166_40
.LBB166_39:                             ;   in Loop: Header=BB166_40 Depth=2
	s_or_b32 exec_lo, exec_lo, s10
	s_xor_b32 s10, s11, -1
	s_delay_alu instid0(SALU_CYCLE_1) | instskip(NEXT) | instid1(SALU_CYCLE_1)
	s_and_b32 s10, exec_lo, s10
	s_or_b32 s9, s10, s9
	s_delay_alu instid0(SALU_CYCLE_1)
	s_and_not1_b32 exec_lo, exec_lo, s9
	s_cbranch_execz .LBB166_37
.LBB166_40:                             ;   Parent Loop BB166_38 Depth=1
                                        ; =>  This Loop Header: Depth=2
                                        ;       Child Loop BB166_46 Depth 3
                                        ;       Child Loop BB166_48 Depth 3
	;; [unrolled: 1-line block ×4, first 2 shown]
	s_delay_alu instid0(VALU_DEP_1)
	v_lshl_add_u32 v16, v15, 3, 0
	s_mov_b32 s10, exec_lo
                                        ; implicit-def: $sgpr11
	ds_load_b64 v[13:14], v16
	s_waitcnt lgkmcnt(0)
	v_cmpx_ne_u64_e64 v[13:14], v[11:12]
	s_xor_b32 s10, exec_lo, s10
	s_cbranch_execz .LBB166_52
; %bb.41:                               ;   in Loop: Header=BB166_40 Depth=2
	s_mov_b32 s12, exec_lo
                                        ; implicit-def: $sgpr11
	v_cmpx_ne_u64_e64 s[34:35], v[13:14]
	s_xor_b32 s12, exec_lo, s12
; %bb.42:                               ;   in Loop: Header=BB166_40 Depth=2
	v_add_nc_u32_e32 v13, 1, v15
	s_mov_b32 s11, -1
                                        ; implicit-def: $vgpr16
	s_delay_alu instid0(VALU_DEP_1)
	v_and_b32_e32 v15, 0x1fff, v13
; %bb.43:                               ;   in Loop: Header=BB166_40 Depth=2
	s_and_not1_saveexec_b32 s12, s12
	s_cbranch_execz .LBB166_51
; %bb.44:                               ;   in Loop: Header=BB166_40 Depth=2
	v_dual_mov_b32 v13, s34 :: v_dual_mov_b32 v14, s35
	s_mov_b32 s14, -1
	s_mov_b32 s13, exec_lo
	ds_cmpstore_rtn_b64 v[13:14], v16, v[11:12], v[13:14]
	s_waitcnt lgkmcnt(0)
	v_cmpx_eq_u64_e64 s[34:35], v[13:14]
	s_cbranch_execz .LBB166_50
; %bb.45:                               ;   in Loop: Header=BB166_40 Depth=2
	v_lshlrev_b32_e32 v13, 4, v15
	s_mov_b32 s14, 0
	s_delay_alu instid0(VALU_DEP_1)
	v_add3_u32 v16, 0, v13, 0x10000
	ds_load_b64 v[13:14], v16
.LBB166_46:                             ;   Parent Loop BB166_38 Depth=1
                                        ;     Parent Loop BB166_40 Depth=2
                                        ; =>    This Inner Loop Header: Depth=3
	s_waitcnt lgkmcnt(0)
	v_add_f64 v[17:18], v[13:14], v[7:8]
	ds_cmpstore_rtn_b64 v[17:18], v16, v[17:18], v[13:14]
	s_waitcnt lgkmcnt(0)
	v_cmp_eq_u64_e32 vcc_lo, v[17:18], v[13:14]
	v_dual_mov_b32 v13, v17 :: v_dual_mov_b32 v14, v18
	s_or_b32 s14, vcc_lo, s14
	s_delay_alu instid0(SALU_CYCLE_1)
	s_and_not1_b32 exec_lo, exec_lo, s14
	s_cbranch_execnz .LBB166_46
; %bb.47:                               ;   in Loop: Header=BB166_40 Depth=2
	s_or_b32 exec_lo, exec_lo, s14
	ds_load_b64 v[13:14], v16 offset:8
	s_mov_b32 s14, 0
.LBB166_48:                             ;   Parent Loop BB166_38 Depth=1
                                        ;     Parent Loop BB166_40 Depth=2
                                        ; =>    This Inner Loop Header: Depth=3
	s_waitcnt lgkmcnt(0)
	v_add_f64 v[17:18], v[13:14], v[9:10]
	ds_cmpstore_rtn_b64 v[17:18], v16, v[17:18], v[13:14] offset:8
	s_waitcnt lgkmcnt(0)
	v_cmp_eq_u64_e32 vcc_lo, v[17:18], v[13:14]
	v_dual_mov_b32 v13, v17 :: v_dual_mov_b32 v14, v18
	s_or_b32 s14, vcc_lo, s14
	s_delay_alu instid0(SALU_CYCLE_1)
	s_and_not1_b32 exec_lo, exec_lo, s14
	s_cbranch_execnz .LBB166_48
; %bb.49:                               ;   in Loop: Header=BB166_40 Depth=2
	s_or_b32 exec_lo, exec_lo, s14
	s_delay_alu instid0(SALU_CYCLE_1)
	s_xor_b32 s14, exec_lo, -1
.LBB166_50:                             ;   in Loop: Header=BB166_40 Depth=2
	s_or_b32 exec_lo, exec_lo, s13
	s_delay_alu instid0(SALU_CYCLE_1) | instskip(SKIP_1) | instid1(SALU_CYCLE_1)
	s_and_not1_b32 s11, s11, exec_lo
	s_and_b32 s13, s14, exec_lo
	s_or_b32 s11, s11, s13
.LBB166_51:                             ;   in Loop: Header=BB166_40 Depth=2
	s_or_b32 exec_lo, exec_lo, s12
	s_delay_alu instid0(SALU_CYCLE_1)
	s_and_b32 s11, s11, exec_lo
.LBB166_52:                             ;   in Loop: Header=BB166_40 Depth=2
	s_and_not1_saveexec_b32 s10, s10
	s_cbranch_execz .LBB166_39
; %bb.53:                               ;   in Loop: Header=BB166_40 Depth=2
	v_lshlrev_b32_e32 v13, 4, v15
	s_mov_b32 s12, 0
	s_delay_alu instid0(VALU_DEP_1)
	v_add3_u32 v16, 0, v13, 0x10000
	ds_load_b64 v[13:14], v16
.LBB166_54:                             ;   Parent Loop BB166_38 Depth=1
                                        ;     Parent Loop BB166_40 Depth=2
                                        ; =>    This Inner Loop Header: Depth=3
	s_waitcnt lgkmcnt(0)
	v_add_f64 v[17:18], v[13:14], v[7:8]
	ds_cmpstore_rtn_b64 v[17:18], v16, v[17:18], v[13:14]
	s_waitcnt lgkmcnt(0)
	v_cmp_eq_u64_e32 vcc_lo, v[17:18], v[13:14]
	v_dual_mov_b32 v13, v17 :: v_dual_mov_b32 v14, v18
	s_or_b32 s12, vcc_lo, s12
	s_delay_alu instid0(SALU_CYCLE_1)
	s_and_not1_b32 exec_lo, exec_lo, s12
	s_cbranch_execnz .LBB166_54
; %bb.55:                               ;   in Loop: Header=BB166_40 Depth=2
	s_or_b32 exec_lo, exec_lo, s12
	ds_load_b64 v[13:14], v16 offset:8
	s_mov_b32 s12, 0
.LBB166_56:                             ;   Parent Loop BB166_38 Depth=1
                                        ;     Parent Loop BB166_40 Depth=2
                                        ; =>    This Inner Loop Header: Depth=3
	s_waitcnt lgkmcnt(0)
	v_add_f64 v[17:18], v[13:14], v[9:10]
	ds_cmpstore_rtn_b64 v[17:18], v16, v[17:18], v[13:14] offset:8
	s_waitcnt lgkmcnt(0)
	v_cmp_eq_u64_e32 vcc_lo, v[17:18], v[13:14]
	v_dual_mov_b32 v13, v17 :: v_dual_mov_b32 v14, v18
	s_or_b32 s12, vcc_lo, s12
	s_delay_alu instid0(SALU_CYCLE_1)
	s_and_not1_b32 exec_lo, exec_lo, s12
	s_cbranch_execnz .LBB166_56
; %bb.57:                               ;   in Loop: Header=BB166_40 Depth=2
	s_or_b32 exec_lo, exec_lo, s12
	s_delay_alu instid0(SALU_CYCLE_1)
	s_and_not1_b32 s11, s11, exec_lo
	s_branch .LBB166_39
.LBB166_58:
	s_or_b32 exec_lo, exec_lo, s7
.LBB166_59:
	v_mbcnt_lo_u32_b32 v1, -1, 0
	v_lshrrev_b32_e32 v2, 2, v0
	s_add_i32 s73, 0, 0x300f8
	v_cmp_eq_u32_e32 vcc_lo, 0x3ff, v0
	v_cmp_lt_u32_e64 s0, 31, v0
	v_xor_b32_e32 v1, 63, v1
	v_and_b32_e32 v3, 0xf8, v2
	v_cmp_lt_u32_e64 s1, 63, v0
	v_cmp_lt_u32_e64 s2, 0x5f, v0
	v_cmp_lt_u32_e64 s3, 0x7f, v0
	v_lshrrev_b64 v[1:2], v1, -1
	v_dual_mov_b32 v5, 0 :: v_dual_lshlrev_b32 v2, 4, v0
	v_add3_u32 v10, 0, 0x30000, v3
	v_cmp_lt_u32_e64 s4, 0x9f, v0
	v_cmp_lt_u32_e64 s5, 0xbf, v0
	s_delay_alu instid0(VALU_DEP_4)
	v_add3_u32 v12, v2, 0, 0x10000
	v_dual_mov_b32 v2, 0 :: v_dual_mov_b32 v13, s73
	v_cmp_lt_u32_e64 s6, 0xdf, v0
	v_cmp_lt_u32_e64 s7, 0xff, v0
	;; [unrolled: 1-line block ×25, first 2 shown]
	v_or_b32_e32 v11, 0xfffffc00, v0
	v_mov_b32_e32 v3, 0
	s_mov_b32 s39, 0
	s_add_i32 s46, 0, 0x30000
	s_add_i32 s47, 0, 0x30008
	;; [unrolled: 1-line block ×31, first 2 shown]
	s_waitcnt lgkmcnt(0)
	s_barrier
	buffer_gl0_inv
	s_branch .LBB166_61
.LBB166_60:                             ;   in Loop: Header=BB166_61 Depth=1
	s_or_b32 exec_lo, exec_lo, s31
	s_waitcnt lgkmcnt(0)
	s_barrier
	buffer_gl0_inv
	ds_load_b64 v[6:7], v13
	v_add_nc_u32_e32 v11, 0x400, v11
	v_add_nc_u32_e32 v12, 0x4000, v12
	v_add_nc_u32_e32 v27, 0x2000, v27
	s_delay_alu instid0(VALU_DEP_3) | instskip(NEXT) | instid1(VALU_DEP_1)
	v_cmp_lt_u32_e64 s31, 0x1bff, v11
	s_or_b32 s39, s31, s39
	s_waitcnt lgkmcnt(0)
	v_add_co_u32 v2, s33, v6, v2
	s_delay_alu instid0(VALU_DEP_1)
	v_add_co_ci_u32_e64 v3, s33, v7, v3, s33
	s_and_not1_b32 exec_lo, exec_lo, s39
	s_cbranch_execz .LBB166_127
.LBB166_61:                             ; =>This Inner Loop Header: Depth=1
	ds_load_b64 v[6:7], v27
	ds_load_2addr_b64 v[14:17], v12 offset1:1
	s_waitcnt lgkmcnt(1)
	v_cmp_gt_i64_e64 s31, s[34:35], v[6:7]
	s_waitcnt lgkmcnt(0)
	scratch_store_b128 off, v[14:17], off
	s_waitcnt_vscnt null, 0x0
	s_barrier
	buffer_gl0_inv
	v_and_b32_e32 v8, s31, v1
	s_bcnt1_i32_b32 s33, s31
	s_delay_alu instid0(SALU_CYCLE_1) | instskip(NEXT) | instid1(VALU_DEP_2)
	v_mov_b32_e32 v4, s33
	v_bcnt_u32_b32 v8, v8, 0
	ds_store_b64 v10, v[4:5]
	s_waitcnt lgkmcnt(0)
	s_barrier
	buffer_gl0_inv
	s_and_saveexec_b32 s33, s0
	s_cbranch_execnz .LBB166_94
; %bb.62:                               ;   in Loop: Header=BB166_61 Depth=1
	s_or_b32 exec_lo, exec_lo, s33
	s_and_saveexec_b32 s33, s1
	s_cbranch_execnz .LBB166_95
.LBB166_63:                             ;   in Loop: Header=BB166_61 Depth=1
	s_or_b32 exec_lo, exec_lo, s33
	s_and_saveexec_b32 s33, s2
	s_cbranch_execnz .LBB166_96
.LBB166_64:                             ;   in Loop: Header=BB166_61 Depth=1
	s_or_b32 exec_lo, exec_lo, s33
	s_and_saveexec_b32 s33, s3
	s_cbranch_execnz .LBB166_97
.LBB166_65:                             ;   in Loop: Header=BB166_61 Depth=1
	s_or_b32 exec_lo, exec_lo, s33
	s_and_saveexec_b32 s33, s4
	s_cbranch_execnz .LBB166_98
.LBB166_66:                             ;   in Loop: Header=BB166_61 Depth=1
	s_or_b32 exec_lo, exec_lo, s33
	s_and_saveexec_b32 s33, s5
	s_cbranch_execnz .LBB166_99
.LBB166_67:                             ;   in Loop: Header=BB166_61 Depth=1
	s_or_b32 exec_lo, exec_lo, s33
	s_and_saveexec_b32 s33, s6
	s_cbranch_execnz .LBB166_100
.LBB166_68:                             ;   in Loop: Header=BB166_61 Depth=1
	s_or_b32 exec_lo, exec_lo, s33
	s_and_saveexec_b32 s33, s7
	s_cbranch_execnz .LBB166_101
.LBB166_69:                             ;   in Loop: Header=BB166_61 Depth=1
	s_or_b32 exec_lo, exec_lo, s33
	s_and_saveexec_b32 s33, s8
	s_cbranch_execnz .LBB166_102
.LBB166_70:                             ;   in Loop: Header=BB166_61 Depth=1
	s_or_b32 exec_lo, exec_lo, s33
	s_and_saveexec_b32 s33, s9
	s_cbranch_execnz .LBB166_103
.LBB166_71:                             ;   in Loop: Header=BB166_61 Depth=1
	s_or_b32 exec_lo, exec_lo, s33
	s_and_saveexec_b32 s33, s10
	s_cbranch_execnz .LBB166_104
.LBB166_72:                             ;   in Loop: Header=BB166_61 Depth=1
	s_or_b32 exec_lo, exec_lo, s33
	s_and_saveexec_b32 s33, s11
	s_cbranch_execnz .LBB166_105
.LBB166_73:                             ;   in Loop: Header=BB166_61 Depth=1
	s_or_b32 exec_lo, exec_lo, s33
	s_and_saveexec_b32 s33, s12
	s_cbranch_execnz .LBB166_106
.LBB166_74:                             ;   in Loop: Header=BB166_61 Depth=1
	s_or_b32 exec_lo, exec_lo, s33
	s_and_saveexec_b32 s33, s13
	s_cbranch_execnz .LBB166_107
.LBB166_75:                             ;   in Loop: Header=BB166_61 Depth=1
	s_or_b32 exec_lo, exec_lo, s33
	s_and_saveexec_b32 s33, s14
	s_cbranch_execnz .LBB166_108
.LBB166_76:                             ;   in Loop: Header=BB166_61 Depth=1
	s_or_b32 exec_lo, exec_lo, s33
	s_and_saveexec_b32 s33, s15
	s_cbranch_execnz .LBB166_109
.LBB166_77:                             ;   in Loop: Header=BB166_61 Depth=1
	s_or_b32 exec_lo, exec_lo, s33
	s_and_saveexec_b32 s33, s16
	s_cbranch_execnz .LBB166_110
.LBB166_78:                             ;   in Loop: Header=BB166_61 Depth=1
	s_or_b32 exec_lo, exec_lo, s33
	s_and_saveexec_b32 s33, s17
	s_cbranch_execnz .LBB166_111
.LBB166_79:                             ;   in Loop: Header=BB166_61 Depth=1
	s_or_b32 exec_lo, exec_lo, s33
	s_and_saveexec_b32 s33, s18
	s_cbranch_execnz .LBB166_112
.LBB166_80:                             ;   in Loop: Header=BB166_61 Depth=1
	s_or_b32 exec_lo, exec_lo, s33
	s_and_saveexec_b32 s33, s19
	s_cbranch_execnz .LBB166_113
.LBB166_81:                             ;   in Loop: Header=BB166_61 Depth=1
	s_or_b32 exec_lo, exec_lo, s33
	s_and_saveexec_b32 s33, s20
	s_cbranch_execnz .LBB166_114
.LBB166_82:                             ;   in Loop: Header=BB166_61 Depth=1
	s_or_b32 exec_lo, exec_lo, s33
	s_and_saveexec_b32 s33, s21
	s_cbranch_execnz .LBB166_115
.LBB166_83:                             ;   in Loop: Header=BB166_61 Depth=1
	s_or_b32 exec_lo, exec_lo, s33
	s_and_saveexec_b32 s33, s22
	s_cbranch_execnz .LBB166_116
.LBB166_84:                             ;   in Loop: Header=BB166_61 Depth=1
	s_or_b32 exec_lo, exec_lo, s33
	s_and_saveexec_b32 s33, s23
	s_cbranch_execnz .LBB166_117
.LBB166_85:                             ;   in Loop: Header=BB166_61 Depth=1
	s_or_b32 exec_lo, exec_lo, s33
	s_and_saveexec_b32 s33, s24
	s_cbranch_execnz .LBB166_118
.LBB166_86:                             ;   in Loop: Header=BB166_61 Depth=1
	s_or_b32 exec_lo, exec_lo, s33
	s_and_saveexec_b32 s33, s25
	s_cbranch_execnz .LBB166_119
.LBB166_87:                             ;   in Loop: Header=BB166_61 Depth=1
	s_or_b32 exec_lo, exec_lo, s33
	s_and_saveexec_b32 s33, s26
	s_cbranch_execnz .LBB166_120
.LBB166_88:                             ;   in Loop: Header=BB166_61 Depth=1
	s_or_b32 exec_lo, exec_lo, s33
	s_and_saveexec_b32 s33, s27
	s_cbranch_execnz .LBB166_121
.LBB166_89:                             ;   in Loop: Header=BB166_61 Depth=1
	s_or_b32 exec_lo, exec_lo, s33
	s_and_saveexec_b32 s33, s28
	s_cbranch_execnz .LBB166_122
.LBB166_90:                             ;   in Loop: Header=BB166_61 Depth=1
	s_or_b32 exec_lo, exec_lo, s33
	s_and_saveexec_b32 s33, s29
	s_cbranch_execnz .LBB166_123
.LBB166_91:                             ;   in Loop: Header=BB166_61 Depth=1
	s_or_b32 exec_lo, exec_lo, s33
	s_and_saveexec_b32 s33, s30
	s_cbranch_execnz .LBB166_124
.LBB166_92:                             ;   in Loop: Header=BB166_61 Depth=1
	s_or_b32 exec_lo, exec_lo, s33
	v_ashrrev_i32_e32 v9, 31, v8
	s_and_saveexec_b32 s33, s31
	s_cbranch_execnz .LBB166_125
.LBB166_93:                             ;   in Loop: Header=BB166_61 Depth=1
	s_or_b32 exec_lo, exec_lo, s33
	s_and_saveexec_b32 s31, vcc_lo
	s_cbranch_execz .LBB166_60
	s_branch .LBB166_126
.LBB166_94:                             ;   in Loop: Header=BB166_61 Depth=1
	v_mov_b32_e32 v4, s46
	ds_load_b32 v4, v4
	s_waitcnt lgkmcnt(0)
	v_add_nc_u32_e32 v8, v4, v8
	s_or_b32 exec_lo, exec_lo, s33
	s_and_saveexec_b32 s33, s1
	s_cbranch_execz .LBB166_63
.LBB166_95:                             ;   in Loop: Header=BB166_61 Depth=1
	v_mov_b32_e32 v4, s47
	ds_load_b32 v4, v4
	s_waitcnt lgkmcnt(0)
	v_add_nc_u32_e32 v8, v8, v4
	s_or_b32 exec_lo, exec_lo, s33
	s_and_saveexec_b32 s33, s2
	s_cbranch_execz .LBB166_64
.LBB166_96:                             ;   in Loop: Header=BB166_61 Depth=1
	v_mov_b32_e32 v4, s48
	ds_load_b32 v4, v4
	s_waitcnt lgkmcnt(0)
	v_add_nc_u32_e32 v8, v8, v4
	s_or_b32 exec_lo, exec_lo, s33
	s_and_saveexec_b32 s33, s3
	s_cbranch_execz .LBB166_65
.LBB166_97:                             ;   in Loop: Header=BB166_61 Depth=1
	v_mov_b32_e32 v4, s49
	ds_load_b32 v4, v4
	s_waitcnt lgkmcnt(0)
	v_add_nc_u32_e32 v8, v8, v4
	s_or_b32 exec_lo, exec_lo, s33
	s_and_saveexec_b32 s33, s4
	s_cbranch_execz .LBB166_66
.LBB166_98:                             ;   in Loop: Header=BB166_61 Depth=1
	v_mov_b32_e32 v4, s50
	ds_load_b32 v4, v4
	s_waitcnt lgkmcnt(0)
	v_add_nc_u32_e32 v8, v8, v4
	s_or_b32 exec_lo, exec_lo, s33
	s_and_saveexec_b32 s33, s5
	s_cbranch_execz .LBB166_67
.LBB166_99:                             ;   in Loop: Header=BB166_61 Depth=1
	v_mov_b32_e32 v4, s51
	ds_load_b32 v4, v4
	s_waitcnt lgkmcnt(0)
	v_add_nc_u32_e32 v8, v8, v4
	s_or_b32 exec_lo, exec_lo, s33
	s_and_saveexec_b32 s33, s6
	s_cbranch_execz .LBB166_68
.LBB166_100:                            ;   in Loop: Header=BB166_61 Depth=1
	v_mov_b32_e32 v4, s52
	ds_load_b32 v4, v4
	s_waitcnt lgkmcnt(0)
	v_add_nc_u32_e32 v8, v8, v4
	s_or_b32 exec_lo, exec_lo, s33
	s_and_saveexec_b32 s33, s7
	s_cbranch_execz .LBB166_69
.LBB166_101:                            ;   in Loop: Header=BB166_61 Depth=1
	v_mov_b32_e32 v4, s53
	ds_load_b32 v4, v4
	s_waitcnt lgkmcnt(0)
	v_add_nc_u32_e32 v8, v8, v4
	s_or_b32 exec_lo, exec_lo, s33
	s_and_saveexec_b32 s33, s8
	s_cbranch_execz .LBB166_70
.LBB166_102:                            ;   in Loop: Header=BB166_61 Depth=1
	v_mov_b32_e32 v4, s54
	ds_load_b32 v4, v4
	s_waitcnt lgkmcnt(0)
	v_add_nc_u32_e32 v8, v8, v4
	s_or_b32 exec_lo, exec_lo, s33
	s_and_saveexec_b32 s33, s9
	s_cbranch_execz .LBB166_71
.LBB166_103:                            ;   in Loop: Header=BB166_61 Depth=1
	v_mov_b32_e32 v4, s55
	ds_load_b32 v4, v4
	s_waitcnt lgkmcnt(0)
	v_add_nc_u32_e32 v8, v8, v4
	s_or_b32 exec_lo, exec_lo, s33
	s_and_saveexec_b32 s33, s10
	s_cbranch_execz .LBB166_72
.LBB166_104:                            ;   in Loop: Header=BB166_61 Depth=1
	v_mov_b32_e32 v4, s56
	ds_load_b32 v4, v4
	s_waitcnt lgkmcnt(0)
	v_add_nc_u32_e32 v8, v8, v4
	s_or_b32 exec_lo, exec_lo, s33
	s_and_saveexec_b32 s33, s11
	s_cbranch_execz .LBB166_73
.LBB166_105:                            ;   in Loop: Header=BB166_61 Depth=1
	v_mov_b32_e32 v4, s57
	ds_load_b32 v4, v4
	s_waitcnt lgkmcnt(0)
	v_add_nc_u32_e32 v8, v8, v4
	s_or_b32 exec_lo, exec_lo, s33
	s_and_saveexec_b32 s33, s12
	s_cbranch_execz .LBB166_74
.LBB166_106:                            ;   in Loop: Header=BB166_61 Depth=1
	v_mov_b32_e32 v4, s58
	ds_load_b32 v4, v4
	s_waitcnt lgkmcnt(0)
	v_add_nc_u32_e32 v8, v8, v4
	s_or_b32 exec_lo, exec_lo, s33
	s_and_saveexec_b32 s33, s13
	s_cbranch_execz .LBB166_75
.LBB166_107:                            ;   in Loop: Header=BB166_61 Depth=1
	v_mov_b32_e32 v4, s59
	ds_load_b32 v4, v4
	s_waitcnt lgkmcnt(0)
	v_add_nc_u32_e32 v8, v8, v4
	s_or_b32 exec_lo, exec_lo, s33
	s_and_saveexec_b32 s33, s14
	s_cbranch_execz .LBB166_76
.LBB166_108:                            ;   in Loop: Header=BB166_61 Depth=1
	v_mov_b32_e32 v4, s60
	ds_load_b32 v4, v4
	s_waitcnt lgkmcnt(0)
	v_add_nc_u32_e32 v8, v8, v4
	s_or_b32 exec_lo, exec_lo, s33
	s_and_saveexec_b32 s33, s15
	s_cbranch_execz .LBB166_77
.LBB166_109:                            ;   in Loop: Header=BB166_61 Depth=1
	v_mov_b32_e32 v4, s61
	ds_load_b32 v4, v4
	s_waitcnt lgkmcnt(0)
	v_add_nc_u32_e32 v8, v8, v4
	s_or_b32 exec_lo, exec_lo, s33
	s_and_saveexec_b32 s33, s16
	s_cbranch_execz .LBB166_78
.LBB166_110:                            ;   in Loop: Header=BB166_61 Depth=1
	v_mov_b32_e32 v4, s62
	ds_load_b32 v4, v4
	s_waitcnt lgkmcnt(0)
	v_add_nc_u32_e32 v8, v8, v4
	s_or_b32 exec_lo, exec_lo, s33
	s_and_saveexec_b32 s33, s17
	s_cbranch_execz .LBB166_79
.LBB166_111:                            ;   in Loop: Header=BB166_61 Depth=1
	v_mov_b32_e32 v4, s63
	ds_load_b32 v4, v4
	s_waitcnt lgkmcnt(0)
	v_add_nc_u32_e32 v8, v8, v4
	s_or_b32 exec_lo, exec_lo, s33
	s_and_saveexec_b32 s33, s18
	s_cbranch_execz .LBB166_80
.LBB166_112:                            ;   in Loop: Header=BB166_61 Depth=1
	v_mov_b32_e32 v4, s64
	ds_load_b32 v4, v4
	s_waitcnt lgkmcnt(0)
	v_add_nc_u32_e32 v8, v8, v4
	s_or_b32 exec_lo, exec_lo, s33
	s_and_saveexec_b32 s33, s19
	s_cbranch_execz .LBB166_81
.LBB166_113:                            ;   in Loop: Header=BB166_61 Depth=1
	v_mov_b32_e32 v4, s65
	ds_load_b32 v4, v4
	s_waitcnt lgkmcnt(0)
	v_add_nc_u32_e32 v8, v8, v4
	s_or_b32 exec_lo, exec_lo, s33
	s_and_saveexec_b32 s33, s20
	s_cbranch_execz .LBB166_82
.LBB166_114:                            ;   in Loop: Header=BB166_61 Depth=1
	v_mov_b32_e32 v4, s66
	ds_load_b32 v4, v4
	s_waitcnt lgkmcnt(0)
	v_add_nc_u32_e32 v8, v8, v4
	s_or_b32 exec_lo, exec_lo, s33
	s_and_saveexec_b32 s33, s21
	s_cbranch_execz .LBB166_83
.LBB166_115:                            ;   in Loop: Header=BB166_61 Depth=1
	v_mov_b32_e32 v4, s67
	ds_load_b32 v4, v4
	s_waitcnt lgkmcnt(0)
	v_add_nc_u32_e32 v8, v8, v4
	s_or_b32 exec_lo, exec_lo, s33
	s_and_saveexec_b32 s33, s22
	s_cbranch_execz .LBB166_84
.LBB166_116:                            ;   in Loop: Header=BB166_61 Depth=1
	v_mov_b32_e32 v4, s68
	ds_load_b32 v4, v4
	s_waitcnt lgkmcnt(0)
	v_add_nc_u32_e32 v8, v8, v4
	s_or_b32 exec_lo, exec_lo, s33
	s_and_saveexec_b32 s33, s23
	s_cbranch_execz .LBB166_85
.LBB166_117:                            ;   in Loop: Header=BB166_61 Depth=1
	v_mov_b32_e32 v4, s69
	ds_load_b32 v4, v4
	s_waitcnt lgkmcnt(0)
	v_add_nc_u32_e32 v8, v8, v4
	s_or_b32 exec_lo, exec_lo, s33
	s_and_saveexec_b32 s33, s24
	s_cbranch_execz .LBB166_86
.LBB166_118:                            ;   in Loop: Header=BB166_61 Depth=1
	v_mov_b32_e32 v4, s70
	ds_load_b32 v4, v4
	s_waitcnt lgkmcnt(0)
	v_add_nc_u32_e32 v8, v8, v4
	s_or_b32 exec_lo, exec_lo, s33
	s_and_saveexec_b32 s33, s25
	s_cbranch_execz .LBB166_87
.LBB166_119:                            ;   in Loop: Header=BB166_61 Depth=1
	v_mov_b32_e32 v4, s71
	ds_load_b32 v4, v4
	s_waitcnt lgkmcnt(0)
	v_add_nc_u32_e32 v8, v8, v4
	s_or_b32 exec_lo, exec_lo, s33
	s_and_saveexec_b32 s33, s26
	s_cbranch_execz .LBB166_88
.LBB166_120:                            ;   in Loop: Header=BB166_61 Depth=1
	v_mov_b32_e32 v4, s72
	ds_load_b32 v4, v4
	s_waitcnt lgkmcnt(0)
	v_add_nc_u32_e32 v8, v8, v4
	s_or_b32 exec_lo, exec_lo, s33
	s_and_saveexec_b32 s33, s27
	s_cbranch_execz .LBB166_89
.LBB166_121:                            ;   in Loop: Header=BB166_61 Depth=1
	v_mov_b32_e32 v4, s74
	ds_load_b32 v4, v4
	s_waitcnt lgkmcnt(0)
	v_add_nc_u32_e32 v8, v8, v4
	s_or_b32 exec_lo, exec_lo, s33
	s_and_saveexec_b32 s33, s28
	s_cbranch_execz .LBB166_90
.LBB166_122:                            ;   in Loop: Header=BB166_61 Depth=1
	v_mov_b32_e32 v4, s75
	ds_load_b32 v4, v4
	s_waitcnt lgkmcnt(0)
	v_add_nc_u32_e32 v8, v8, v4
	s_or_b32 exec_lo, exec_lo, s33
	s_and_saveexec_b32 s33, s29
	s_cbranch_execz .LBB166_91
.LBB166_123:                            ;   in Loop: Header=BB166_61 Depth=1
	v_mov_b32_e32 v4, s76
	ds_load_b32 v4, v4
	s_waitcnt lgkmcnt(0)
	v_add_nc_u32_e32 v8, v8, v4
	s_or_b32 exec_lo, exec_lo, s33
	s_and_saveexec_b32 s33, s30
	s_cbranch_execz .LBB166_92
.LBB166_124:                            ;   in Loop: Header=BB166_61 Depth=1
	v_mov_b32_e32 v4, s77
	ds_load_b32 v4, v4
	s_waitcnt lgkmcnt(0)
	v_add_nc_u32_e32 v8, v8, v4
	s_or_b32 exec_lo, exec_lo, s33
	s_delay_alu instid0(VALU_DEP_1)
	v_ashrrev_i32_e32 v9, 31, v8
	s_and_saveexec_b32 s33, s31
	s_cbranch_execz .LBB166_93
.LBB166_125:                            ;   in Loop: Header=BB166_61 Depth=1
	scratch_load_b128 v[14:17], off, off
	v_add3_u32 v4, v2, -1, v8
	s_delay_alu instid0(VALU_DEP_1) | instskip(SKIP_1) | instid1(VALU_DEP_2)
	v_lshlrev_b32_e32 v18, 4, v4
	v_lshl_add_u32 v4, v4, 3, 0
	v_add3_u32 v18, 0, v18, 0x10000
	ds_store_b64 v4, v[6:7]
	s_waitcnt vmcnt(0)
	ds_store_2addr_b64 v18, v[14:15], v[16:17] offset1:1
	s_or_b32 exec_lo, exec_lo, s33
	s_and_saveexec_b32 s31, vcc_lo
	s_cbranch_execz .LBB166_60
.LBB166_126:                            ;   in Loop: Header=BB166_61 Depth=1
	v_mov_b32_e32 v4, s73
	ds_store_b64 v4, v[8:9]
	s_branch .LBB166_60
.LBB166_127:
	s_or_b32 exec_lo, exec_lo, s39
	s_lshl_b64 s[0:1], s[44:45], 3
	v_mov_b32_e32 v1, 0
	s_add_u32 s0, s40, s0
	s_addc_u32 s1, s41, s1
	s_mov_b32 s6, exec_lo
	s_load_b128 s[0:3], s[0:1], 0x0
	s_waitcnt lgkmcnt(0)
	s_sub_u32 s4, s2, s0
	s_subb_u32 s5, s3, s1
	s_delay_alu instid0(SALU_CYCLE_1)
	v_cmpx_gt_i64_e64 s[4:5], v[0:1]
	s_cbranch_execz .LBB166_137
; %bb.128:
	s_sub_u32 s8, s0, s38
	s_subb_u32 s9, s1, 0
	s_and_b32 s6, s4, 7
	s_sub_u32 s0, s0, s2
	s_subb_u32 s1, s1, s3
	s_mov_b32 s7, 0
	v_cmp_lt_u64_e64 s12, s[0:1], -7
	s_and_b32 s2, s4, -8
	s_cmp_lg_u64 s[6:7], 0
	s_mov_b32 s3, s5
	s_cselect_b32 s13, -1, 0
	s_mov_b32 s14, s7
	s_branch .LBB166_130
.LBB166_129:                            ;   in Loop: Header=BB166_130 Depth=1
	v_lshlrev_b32_e32 v6, 4, v0
	s_waitcnt lgkmcnt(0)
	v_add_co_u32 v2, vcc_lo, v2, s38
	v_lshlrev_b64 v[10:11], 3, v[4:5]
	v_add_co_ci_u32_e32 v3, vcc_lo, 0, v3, vcc_lo
	v_add3_u32 v6, 0, v6, 0x10000
	v_add_co_u32 v0, vcc_lo, 0x400, v0
	v_add_co_ci_u32_e32 v1, vcc_lo, 0, v1, vcc_lo
	ds_load_2addr_b64 v[6:9], v6 offset1:1
	v_lshlrev_b64 v[4:5], 4, v[4:5]
	v_add_co_u32 v10, vcc_lo, s42, v10
	v_add_co_ci_u32_e32 v11, vcc_lo, s43, v11, vcc_lo
	v_cmp_le_i64_e32 vcc_lo, s[4:5], v[0:1]
	s_delay_alu instid0(VALU_DEP_4) | instskip(NEXT) | instid1(VALU_DEP_1)
	v_add_co_u32 v4, s0, s36, v4
	v_add_co_ci_u32_e64 v5, s0, s37, v5, s0
	global_store_b64 v[10:11], v[2:3], off
	s_waitcnt lgkmcnt(0)
	global_store_b128 v[4:5], v[6:9], off
	s_or_b32 s14, vcc_lo, s14
	s_delay_alu instid0(SALU_CYCLE_1)
	s_and_not1_b32 exec_lo, exec_lo, s14
	s_cbranch_execz .LBB166_137
.LBB166_130:                            ; =>This Loop Header: Depth=1
                                        ;     Child Loop BB166_132 Depth 2
                                        ;     Child Loop BB166_136 Depth 2
	v_lshl_add_u32 v2, v0, 3, 0
	v_dual_mov_b32 v4, s8 :: v_dual_mov_b32 v5, s9
	s_and_not1_b32 vcc_lo, exec_lo, s12
	s_mov_b64 s[0:1], 0
	ds_load_b64 v[2:3], v2
	s_cbranch_vccnz .LBB166_134
; %bb.131:                              ;   in Loop: Header=BB166_130 Depth=1
	v_dual_mov_b32 v4, s8 :: v_dual_mov_b32 v5, s9
	s_mov_b64 s[10:11], 0
	s_mov_b32 s1, 0
.LBB166_132:                            ;   Parent Loop BB166_130 Depth=1
                                        ; =>  This Inner Loop Header: Depth=2
	s_delay_alu instid0(SALU_CYCLE_1)
	v_mov_b32_e32 v18, s1
	s_add_u32 s10, s10, 8
	s_addc_u32 s11, s11, 0
	s_add_i32 s1, s1, 64
	s_cmp_eq_u64 s[2:3], s[10:11]
	ds_load_2addr_b64 v[6:9], v18 offset1:1
	ds_load_2addr_b64 v[10:13], v18 offset0:2 offset1:3
	ds_load_2addr_b64 v[14:17], v18 offset0:4 offset1:5
	;; [unrolled: 1-line block ×3, first 2 shown]
	s_waitcnt lgkmcnt(3)
	v_cmp_gt_i64_e32 vcc_lo, v[2:3], v[6:7]
	v_cndmask_b32_e64 v6, 0, 1, vcc_lo
	v_cmp_gt_i64_e32 vcc_lo, v[2:3], v[8:9]
	v_cndmask_b32_e64 v7, 0, 1, vcc_lo
	s_waitcnt lgkmcnt(2)
	v_cmp_gt_i64_e32 vcc_lo, v[2:3], v[10:11]
	v_cndmask_b32_e64 v8, 0, 1, vcc_lo
	v_cmp_gt_i64_e32 vcc_lo, v[2:3], v[12:13]
	v_cndmask_b32_e64 v9, 0, 1, vcc_lo
	s_waitcnt lgkmcnt(1)
	v_cmp_gt_i64_e32 vcc_lo, v[2:3], v[14:15]
	v_cndmask_b32_e64 v10, 0, 1, vcc_lo
	v_add_co_u32 v4, vcc_lo, v4, v6
	v_add_co_ci_u32_e32 v5, vcc_lo, 0, v5, vcc_lo
	v_cmp_gt_i64_e32 vcc_lo, v[2:3], v[16:17]
	s_delay_alu instid0(VALU_DEP_3) | instskip(NEXT) | instid1(VALU_DEP_1)
	v_add_co_u32 v4, s0, v4, v7
	v_add_co_ci_u32_e64 v5, s0, 0, v5, s0
	v_cndmask_b32_e64 v6, 0, 1, vcc_lo
	s_delay_alu instid0(VALU_DEP_3) | instskip(NEXT) | instid1(VALU_DEP_3)
	v_add_co_u32 v4, vcc_lo, v4, v8
	v_add_co_ci_u32_e32 v5, vcc_lo, 0, v5, vcc_lo
	s_waitcnt lgkmcnt(0)
	v_cmp_gt_i64_e32 vcc_lo, v[2:3], v[18:19]
	s_delay_alu instid0(VALU_DEP_3) | instskip(NEXT) | instid1(VALU_DEP_1)
	v_add_co_u32 v4, s0, v4, v9
	v_add_co_ci_u32_e64 v5, s0, 0, v5, s0
	v_cndmask_b32_e64 v7, 0, 1, vcc_lo
	s_delay_alu instid0(VALU_DEP_3) | instskip(NEXT) | instid1(VALU_DEP_3)
	v_add_co_u32 v4, vcc_lo, v4, v10
	v_add_co_ci_u32_e32 v5, vcc_lo, 0, v5, vcc_lo
	v_cmp_gt_i64_e32 vcc_lo, v[2:3], v[20:21]
	s_delay_alu instid0(VALU_DEP_3) | instskip(NEXT) | instid1(VALU_DEP_1)
	v_add_co_u32 v4, s0, v4, v6
	v_add_co_ci_u32_e64 v5, s0, 0, v5, s0
	v_cndmask_b32_e64 v6, 0, 1, vcc_lo
	s_delay_alu instid0(VALU_DEP_3) | instskip(NEXT) | instid1(VALU_DEP_3)
	v_add_co_u32 v4, vcc_lo, v4, v7
	v_add_co_ci_u32_e32 v5, vcc_lo, 0, v5, vcc_lo
	s_delay_alu instid0(VALU_DEP_2) | instskip(NEXT) | instid1(VALU_DEP_2)
	v_add_co_u32 v4, vcc_lo, v4, v6
	v_add_co_ci_u32_e32 v5, vcc_lo, 0, v5, vcc_lo
	s_cbranch_scc0 .LBB166_132
; %bb.133:                              ;   in Loop: Header=BB166_130 Depth=1
	s_mov_b64 s[0:1], s[2:3]
.LBB166_134:                            ;   in Loop: Header=BB166_130 Depth=1
	s_and_not1_b32 vcc_lo, exec_lo, s13
	s_cbranch_vccnz .LBB166_129
; %bb.135:                              ;   in Loop: Header=BB166_130 Depth=1
	s_lshl_b32 s0, s0, 3
	s_delay_alu instid0(SALU_CYCLE_1)
	s_add_i32 s10, s0, 0
	s_mov_b64 s[0:1], s[6:7]
.LBB166_136:                            ;   Parent Loop BB166_130 Depth=1
                                        ; =>  This Inner Loop Header: Depth=2
	v_mov_b32_e32 v6, s10
	s_add_i32 s10, s10, 8
	s_add_u32 s0, s0, -1
	s_addc_u32 s1, s1, -1
	s_delay_alu instid0(SALU_CYCLE_1) | instskip(SKIP_4) | instid1(VALU_DEP_1)
	s_cmp_lg_u64 s[0:1], 0
	ds_load_b64 v[6:7], v6
	s_waitcnt lgkmcnt(0)
	v_cmp_gt_i64_e32 vcc_lo, v[2:3], v[6:7]
	v_cndmask_b32_e64 v6, 0, 1, vcc_lo
	v_add_co_u32 v4, vcc_lo, v4, v6
	v_add_co_ci_u32_e32 v5, vcc_lo, 0, v5, vcc_lo
	s_cbranch_scc1 .LBB166_136
	s_branch .LBB166_129
.LBB166_137:
	s_nop 0
	s_sendmsg sendmsg(MSG_DEALLOC_VGPRS)
	s_endpgm
	.section	.rodata,"a",@progbits
	.p2align	6, 0x0
	.amdhsa_kernel _ZN9rocsparseL26csrgemm_fill_block_per_rowILj1024ELj64ELj8192ELj137ELj32Ell21rocsparse_complex_numIdEEEvT5_PKS3_S5_NS_24const_host_device_scalarIT6_EEPKT4_S5_PKS7_SB_S5_SD_S8_SB_S5_SD_SB_PS3_PS7_21rocsparse_index_base_SG_SG_SG_bbb
		.amdhsa_group_segment_fixed_size 0
		.amdhsa_private_segment_fixed_size 40
		.amdhsa_kernarg_size 172
		.amdhsa_user_sgpr_count 15
		.amdhsa_user_sgpr_dispatch_ptr 0
		.amdhsa_user_sgpr_queue_ptr 0
		.amdhsa_user_sgpr_kernarg_segment_ptr 1
		.amdhsa_user_sgpr_dispatch_id 0
		.amdhsa_user_sgpr_private_segment_size 0
		.amdhsa_wavefront_size32 1
		.amdhsa_uses_dynamic_stack 0
		.amdhsa_enable_private_segment 1
		.amdhsa_system_sgpr_workgroup_id_x 1
		.amdhsa_system_sgpr_workgroup_id_y 0
		.amdhsa_system_sgpr_workgroup_id_z 0
		.amdhsa_system_sgpr_workgroup_info 0
		.amdhsa_system_vgpr_workitem_id 0
		.amdhsa_next_free_vgpr 34
		.amdhsa_next_free_sgpr 78
		.amdhsa_reserve_vcc 1
		.amdhsa_float_round_mode_32 0
		.amdhsa_float_round_mode_16_64 0
		.amdhsa_float_denorm_mode_32 3
		.amdhsa_float_denorm_mode_16_64 3
		.amdhsa_dx10_clamp 1
		.amdhsa_ieee_mode 1
		.amdhsa_fp16_overflow 0
		.amdhsa_workgroup_processor_mode 1
		.amdhsa_memory_ordered 1
		.amdhsa_forward_progress 0
		.amdhsa_shared_vgpr_count 0
		.amdhsa_exception_fp_ieee_invalid_op 0
		.amdhsa_exception_fp_denorm_src 0
		.amdhsa_exception_fp_ieee_div_zero 0
		.amdhsa_exception_fp_ieee_overflow 0
		.amdhsa_exception_fp_ieee_underflow 0
		.amdhsa_exception_fp_ieee_inexact 0
		.amdhsa_exception_int_div_zero 0
	.end_amdhsa_kernel
	.section	.text._ZN9rocsparseL26csrgemm_fill_block_per_rowILj1024ELj64ELj8192ELj137ELj32Ell21rocsparse_complex_numIdEEEvT5_PKS3_S5_NS_24const_host_device_scalarIT6_EEPKT4_S5_PKS7_SB_S5_SD_S8_SB_S5_SD_SB_PS3_PS7_21rocsparse_index_base_SG_SG_SG_bbb,"axG",@progbits,_ZN9rocsparseL26csrgemm_fill_block_per_rowILj1024ELj64ELj8192ELj137ELj32Ell21rocsparse_complex_numIdEEEvT5_PKS3_S5_NS_24const_host_device_scalarIT6_EEPKT4_S5_PKS7_SB_S5_SD_S8_SB_S5_SD_SB_PS3_PS7_21rocsparse_index_base_SG_SG_SG_bbb,comdat
.Lfunc_end166:
	.size	_ZN9rocsparseL26csrgemm_fill_block_per_rowILj1024ELj64ELj8192ELj137ELj32Ell21rocsparse_complex_numIdEEEvT5_PKS3_S5_NS_24const_host_device_scalarIT6_EEPKT4_S5_PKS7_SB_S5_SD_S8_SB_S5_SD_SB_PS3_PS7_21rocsparse_index_base_SG_SG_SG_bbb, .Lfunc_end166-_ZN9rocsparseL26csrgemm_fill_block_per_rowILj1024ELj64ELj8192ELj137ELj32Ell21rocsparse_complex_numIdEEEvT5_PKS3_S5_NS_24const_host_device_scalarIT6_EEPKT4_S5_PKS7_SB_S5_SD_S8_SB_S5_SD_SB_PS3_PS7_21rocsparse_index_base_SG_SG_SG_bbb
                                        ; -- End function
	.section	.AMDGPU.csdata,"",@progbits
; Kernel info:
; codeLenInByte = 5856
; NumSgprs: 80
; NumVgprs: 34
; ScratchSize: 40
; MemoryBound: 0
; FloatMode: 240
; IeeeMode: 1
; LDSByteSize: 0 bytes/workgroup (compile time only)
; SGPRBlocks: 9
; VGPRBlocks: 4
; NumSGPRsForWavesPerEU: 80
; NumVGPRsForWavesPerEU: 34
; Occupancy: 16
; WaveLimiterHint : 1
; COMPUTE_PGM_RSRC2:SCRATCH_EN: 1
; COMPUTE_PGM_RSRC2:USER_SGPR: 15
; COMPUTE_PGM_RSRC2:TRAP_HANDLER: 0
; COMPUTE_PGM_RSRC2:TGID_X_EN: 1
; COMPUTE_PGM_RSRC2:TGID_Y_EN: 0
; COMPUTE_PGM_RSRC2:TGID_Z_EN: 0
; COMPUTE_PGM_RSRC2:TIDIG_COMP_CNT: 0
	.section	.text._ZN9rocsparseL26csrgemm_fill_block_per_rowILj1024ELj64ELj8192ELj137ELj64Ell21rocsparse_complex_numIdEEEvT5_PKS3_S5_NS_24const_host_device_scalarIT6_EEPKT4_S5_PKS7_SB_S5_SD_S8_SB_S5_SD_SB_PS3_PS7_21rocsparse_index_base_SG_SG_SG_bbb,"axG",@progbits,_ZN9rocsparseL26csrgemm_fill_block_per_rowILj1024ELj64ELj8192ELj137ELj64Ell21rocsparse_complex_numIdEEEvT5_PKS3_S5_NS_24const_host_device_scalarIT6_EEPKT4_S5_PKS7_SB_S5_SD_S8_SB_S5_SD_SB_PS3_PS7_21rocsparse_index_base_SG_SG_SG_bbb,comdat
	.globl	_ZN9rocsparseL26csrgemm_fill_block_per_rowILj1024ELj64ELj8192ELj137ELj64Ell21rocsparse_complex_numIdEEEvT5_PKS3_S5_NS_24const_host_device_scalarIT6_EEPKT4_S5_PKS7_SB_S5_SD_S8_SB_S5_SD_SB_PS3_PS7_21rocsparse_index_base_SG_SG_SG_bbb ; -- Begin function _ZN9rocsparseL26csrgemm_fill_block_per_rowILj1024ELj64ELj8192ELj137ELj64Ell21rocsparse_complex_numIdEEEvT5_PKS3_S5_NS_24const_host_device_scalarIT6_EEPKT4_S5_PKS7_SB_S5_SD_S8_SB_S5_SD_SB_PS3_PS7_21rocsparse_index_base_SG_SG_SG_bbb
	.p2align	8
	.type	_ZN9rocsparseL26csrgemm_fill_block_per_rowILj1024ELj64ELj8192ELj137ELj64Ell21rocsparse_complex_numIdEEEvT5_PKS3_S5_NS_24const_host_device_scalarIT6_EEPKT4_S5_PKS7_SB_S5_SD_S8_SB_S5_SD_SB_PS3_PS7_21rocsparse_index_base_SG_SG_SG_bbb,@function
_ZN9rocsparseL26csrgemm_fill_block_per_rowILj1024ELj64ELj8192ELj137ELj64Ell21rocsparse_complex_numIdEEEvT5_PKS3_S5_NS_24const_host_device_scalarIT6_EEPKT4_S5_PKS7_SB_S5_SD_S8_SB_S5_SD_SB_PS3_PS7_21rocsparse_index_base_SG_SG_SG_bbb: ; @_ZN9rocsparseL26csrgemm_fill_block_per_rowILj1024ELj64ELj8192ELj137ELj64Ell21rocsparse_complex_numIdEEEvT5_PKS3_S5_NS_24const_host_device_scalarIT6_EEPKT4_S5_PKS7_SB_S5_SD_S8_SB_S5_SD_SB_PS3_PS7_21rocsparse_index_base_SG_SG_SG_bbb
; %bb.0:
	s_mov_b32 s20, s15
	s_clause 0x3
	s_load_b32 s22, s[0:1], 0xa8
	s_load_b256 s[4:11], s[0:1], 0x8
	s_load_b128 s[12:15], s[0:1], 0x58
	s_load_b128 s[16:19], s[0:1], 0x98
	v_mov_b32_e32 v1, 0
	v_mov_b32_e32 v2, 0
	s_waitcnt lgkmcnt(0)
	s_bitcmp1_b32 s22, 0
	v_mov_b32_e32 v3, s8
	s_cselect_b32 s3, -1, 0
	s_bitcmp1_b32 s22, 16
	v_dual_mov_b32 v6, v2 :: v_dual_mov_b32 v5, v1
	s_cselect_b32 s2, -1, 0
	v_mov_b32_e32 v4, s9
	s_xor_b32 s21, s2, -1
	v_dual_mov_b32 v9, s12 :: v_dual_mov_b32 v10, s13
	v_cndmask_b32_e64 v7, 0, 1, s21
	s_bitcmp0_b32 s22, 0
	s_clause 0x1
	scratch_store_b64 off, v[3:4], off offset:16
	scratch_store_b64 off, v[9:10], off offset:24
	v_cmp_ne_u32_e32 vcc_lo, 1, v7
	v_dual_mov_b32 v8, v2 :: v_dual_mov_b32 v7, v1
	s_cbranch_scc1 .LBB167_3
; %bb.1:
	s_mov_b64 s[24:25], src_private_base
	s_and_b32 s23, s2, exec_lo
	s_cselect_b32 s23, s25, s9
	s_delay_alu instid0(SALU_CYCLE_1) | instskip(SKIP_2) | instid1(VALU_DEP_2)
	v_dual_mov_b32 v3, 16 :: v_dual_mov_b32 v4, s23
	v_dual_mov_b32 v7, s10 :: v_dual_mov_b32 v8, s11
	s_and_b32 vcc_lo, exec_lo, vcc_lo
	v_cndmask_b32_e64 v3, s8, v3, s2
	flat_load_b64 v[5:6], v[3:4]
	s_cbranch_vccnz .LBB167_3
; %bb.2:
	v_dual_mov_b32 v3, s8 :: v_dual_mov_b32 v4, s9
	flat_load_b64 v[7:8], v[3:4] offset:8
.LBB167_3:
	s_bitcmp1_b32 s22, 8
	v_dual_mov_b32 v4, v2 :: v_dual_mov_b32 v3, v1
	s_cselect_b32 s30, -1, 0
	s_bfe_u32 s8, s22, 0x10008
	s_delay_alu instid0(SALU_CYCLE_1)
	s_cmp_eq_u32 s8, 0
	s_cbranch_scc1 .LBB167_6
; %bb.4:
	s_mov_b64 s[8:9], src_private_base
	s_and_b32 s8, s2, exec_lo
	s_cselect_b32 s8, s9, s13
	s_delay_alu instid0(SALU_CYCLE_1) | instskip(SKIP_1) | instid1(VALU_DEP_1)
	v_dual_mov_b32 v1, 24 :: v_dual_mov_b32 v2, s8
	s_and_not1_b32 vcc_lo, exec_lo, s21
	v_cndmask_b32_e64 v1, s12, v1, s2
	flat_load_b64 v[3:4], v[1:2]
	v_dual_mov_b32 v1, s14 :: v_dual_mov_b32 v2, s15
	s_cbranch_vccnz .LBB167_6
; %bb.5:
	v_dual_mov_b32 v1, s12 :: v_dual_mov_b32 v2, s13
	flat_load_b64 v[1:2], v[1:2] offset:8
.LBB167_6:
	s_load_b64 s[24:25], s[0:1], 0x0
	v_lshl_add_u32 v25, v0, 4, 0
	s_mov_b32 s8, 0
	v_lshl_add_u32 v27, v0, 3, 0
	s_mov_b32 s9, s8
	s_mov_b32 s11, s8
	v_dual_mov_b32 v10, s9 :: v_dual_add_nc_u32 v13, 0x10000, v25
	s_mov_b32 s10, s8
	v_dual_mov_b32 v9, s8 :: v_dual_mov_b32 v12, s11
	s_delay_alu instid0(VALU_DEP_2)
	v_dual_mov_b32 v11, s10 :: v_dual_add_nc_u32 v14, 0x4000, v13
	v_add_nc_u32_e32 v28, 0x8000, v13
	v_add_nc_u32_e32 v26, 0x20000, v25
	;; [unrolled: 1-line block ×3, first 2 shown]
	ds_store_2addr_b64 v13, v[9:10], v[11:12] offset1:1
	ds_store_2addr_b64 v14, v[9:10], v[11:12] offset1:1
	s_mov_b32 s21, s8
	s_waitcnt lgkmcnt(0)
	v_dual_mov_b32 v15, s24 :: v_dual_mov_b32 v16, s25
	v_mov_b32_e32 v17, s24
	v_dual_mov_b32 v13, s24 :: v_dual_mov_b32 v18, s25
	v_dual_mov_b32 v19, s24 :: v_dual_mov_b32 v14, s25
	v_dual_mov_b32 v20, s25 :: v_dual_mov_b32 v21, s24
	v_dual_mov_b32 v22, s25 :: v_dual_mov_b32 v23, s24
	v_mov_b32_e32 v24, s25
	ds_store_2addr_b64 v28, v[9:10], v[11:12] offset1:1
	ds_store_2addr_b64 v29, v[9:10], v[11:12] offset1:1
	ds_store_2addr_stride64_b64 v27, v[13:14], v[15:16] offset1:16
	ds_store_2addr_stride64_b64 v27, v[17:18], v[19:20] offset0:32 offset1:48
	ds_store_2addr_stride64_b64 v27, v[21:22], v[23:24] offset0:64 offset1:80
	v_add_nc_u32_e32 v17, 0x24000, v25
	v_add_nc_u32_e32 v18, 0x28000, v25
	;; [unrolled: 1-line block ×3, first 2 shown]
	ds_store_2addr_b64 v26, v[9:10], v[11:12] offset1:1
	ds_store_2addr_b64 v17, v[9:10], v[11:12] offset1:1
	ds_store_2addr_stride64_b64 v27, v[13:14], v[15:16] offset0:96 offset1:112
	ds_store_2addr_b64 v18, v[9:10], v[11:12] offset1:1
	ds_store_2addr_b64 v19, v[9:10], v[11:12] offset1:1
	s_waitcnt vmcnt(0) lgkmcnt(0)
	s_waitcnt_vscnt null, 0x0
	s_barrier
	buffer_gl0_inv
	s_load_b64 s[4:5], s[4:5], 0x0
	v_lshrrev_b32_e32 v28, 6, v0
	s_waitcnt lgkmcnt(0)
	s_lshl_b64 s[4:5], s[4:5], 3
	s_delay_alu instid0(SALU_CYCLE_1) | instskip(SKIP_2) | instid1(SALU_CYCLE_1)
	s_add_u32 s2, s6, s4
	s_addc_u32 s6, s7, s5
	s_lshl_b64 s[4:5], s[20:21], 3
	s_add_u32 s4, s2, s4
	s_addc_u32 s5, s6, s5
	s_and_not1_b32 vcc_lo, exec_lo, s3
	s_load_b64 s[26:27], s[4:5], 0x0
	s_cbranch_vccnz .LBB167_34
; %bb.7:
	s_load_b64 s[2:3], s[0:1], 0x28
	s_waitcnt lgkmcnt(0)
	s_lshl_b64 s[4:5], s[26:27], 3
	s_mov_b32 s14, exec_lo
	s_add_u32 s2, s2, s4
	s_addc_u32 s3, s3, s5
	s_load_b128 s[4:7], s[2:3], 0x0
	v_sub_co_u32 v9, s2, v28, s16
	s_delay_alu instid0(VALU_DEP_1) | instskip(SKIP_1) | instid1(VALU_DEP_2)
	v_sub_co_ci_u32_e64 v10, null, 0, 0, s2
	s_waitcnt lgkmcnt(0)
	v_add_co_u32 v9, vcc_lo, s4, v9
	s_delay_alu instid0(VALU_DEP_2)
	v_add_co_ci_u32_e32 v10, vcc_lo, s5, v10, vcc_lo
	s_sub_u32 s2, s6, s16
	s_subb_u32 s3, s7, 0
	s_delay_alu instid0(VALU_DEP_1) | instid1(SALU_CYCLE_1)
	v_cmpx_gt_i64_e64 s[2:3], v[9:10]
	s_cbranch_execz .LBB167_33
; %bb.8:
	s_clause 0x1
	s_load_b64 s[12:13], s[0:1], 0x50
	s_load_b256 s[4:11], s[0:1], 0x30
	v_and_b32_e32 v11, 63, v0
	s_delay_alu instid0(VALU_DEP_1) | instskip(NEXT) | instid1(VALU_DEP_1)
	v_sub_co_u32 v29, s15, v11, s17
	v_sub_co_ci_u32_e64 v30, null, 0, 0, s15
	s_mov_b32 s15, 0
	s_branch .LBB167_10
.LBB167_9:                              ;   in Loop: Header=BB167_10 Depth=1
	s_or_b32 exec_lo, exec_lo, s20
	v_add_co_u32 v9, vcc_lo, v9, 16
	v_add_co_ci_u32_e32 v10, vcc_lo, 0, v10, vcc_lo
	s_delay_alu instid0(VALU_DEP_1) | instskip(SKIP_1) | instid1(SALU_CYCLE_1)
	v_cmp_le_i64_e32 vcc_lo, s[2:3], v[9:10]
	s_or_b32 s15, vcc_lo, s15
	s_and_not1_b32 exec_lo, exec_lo, s15
	s_cbranch_execz .LBB167_33
.LBB167_10:                             ; =>This Loop Header: Depth=1
                                        ;     Child Loop BB167_13 Depth 2
                                        ;       Child Loop BB167_15 Depth 3
                                        ;         Child Loop BB167_21 Depth 4
                                        ;         Child Loop BB167_23 Depth 4
	;; [unrolled: 1-line block ×4, first 2 shown]
	v_lshlrev_b64 v[11:12], 3, v[9:10]
	s_mov_b32 s20, exec_lo
	s_waitcnt lgkmcnt(0)
	s_delay_alu instid0(VALU_DEP_1) | instskip(NEXT) | instid1(VALU_DEP_2)
	v_add_co_u32 v11, vcc_lo, s4, v11
	v_add_co_ci_u32_e32 v12, vcc_lo, s5, v12, vcc_lo
	global_load_b64 v[11:12], v[11:12], off
	s_waitcnt vmcnt(0)
	v_sub_co_u32 v11, vcc_lo, v11, s16
	v_subrev_co_ci_u32_e32 v12, vcc_lo, 0, v12, vcc_lo
	s_delay_alu instid0(VALU_DEP_1) | instskip(NEXT) | instid1(VALU_DEP_1)
	v_lshlrev_b64 v[11:12], 3, v[11:12]
	v_add_co_u32 v11, vcc_lo, s8, v11
	s_delay_alu instid0(VALU_DEP_2)
	v_add_co_ci_u32_e32 v12, vcc_lo, s9, v12, vcc_lo
	global_load_b128 v[13:16], v[11:12], off
	s_waitcnt vmcnt(0)
	v_sub_co_u32 v11, vcc_lo, v15, s17
	v_subrev_co_ci_u32_e32 v12, vcc_lo, 0, v16, vcc_lo
	v_add_co_u32 v13, vcc_lo, v13, v29
	v_add_co_ci_u32_e32 v14, vcc_lo, v14, v30, vcc_lo
	s_delay_alu instid0(VALU_DEP_1)
	v_cmpx_lt_i64_e64 v[13:14], v[11:12]
	s_cbranch_execz .LBB167_9
; %bb.11:                               ;   in Loop: Header=BB167_10 Depth=1
	v_lshlrev_b64 v[15:16], 4, v[9:10]
	s_mov_b32 s21, 0
	s_delay_alu instid0(VALU_DEP_1) | instskip(NEXT) | instid1(VALU_DEP_2)
	v_add_co_u32 v15, vcc_lo, s6, v15
	v_add_co_ci_u32_e32 v16, vcc_lo, s7, v16, vcc_lo
	global_load_b128 v[17:20], v[15:16], off
	s_waitcnt vmcnt(0)
	v_mul_f64 v[15:16], v[19:20], -v[7:8]
	v_mul_f64 v[19:20], v[5:6], v[19:20]
	s_delay_alu instid0(VALU_DEP_2) | instskip(NEXT) | instid1(VALU_DEP_2)
	v_fma_f64 v[15:16], v[5:6], v[17:18], v[15:16]
	v_fma_f64 v[17:18], v[7:8], v[17:18], v[19:20]
	s_branch .LBB167_13
.LBB167_12:                             ;   in Loop: Header=BB167_13 Depth=2
	s_or_b32 exec_lo, exec_lo, s22
	v_add_co_u32 v13, vcc_lo, v13, 64
	v_add_co_ci_u32_e32 v14, vcc_lo, 0, v14, vcc_lo
	s_delay_alu instid0(VALU_DEP_1) | instskip(SKIP_1) | instid1(SALU_CYCLE_1)
	v_cmp_ge_i64_e32 vcc_lo, v[13:14], v[11:12]
	s_or_b32 s21, vcc_lo, s21
	s_and_not1_b32 exec_lo, exec_lo, s21
	s_cbranch_execz .LBB167_9
.LBB167_13:                             ;   Parent Loop BB167_10 Depth=1
                                        ; =>  This Loop Header: Depth=2
                                        ;       Child Loop BB167_15 Depth 3
                                        ;         Child Loop BB167_21 Depth 4
                                        ;         Child Loop BB167_23 Depth 4
	;; [unrolled: 1-line block ×4, first 2 shown]
	v_lshlrev_b64 v[19:20], 4, v[13:14]
	s_mov_b32 s22, 0
	s_delay_alu instid0(VALU_DEP_1) | instskip(NEXT) | instid1(VALU_DEP_2)
	v_add_co_u32 v19, vcc_lo, s12, v19
	v_add_co_ci_u32_e32 v20, vcc_lo, s13, v20, vcc_lo
	global_load_b128 v[21:24], v[19:20], off
	v_lshlrev_b64 v[19:20], 3, v[13:14]
	s_delay_alu instid0(VALU_DEP_1) | instskip(NEXT) | instid1(VALU_DEP_2)
	v_add_co_u32 v19, vcc_lo, s10, v19
	v_add_co_ci_u32_e32 v20, vcc_lo, s11, v20, vcc_lo
	global_load_b64 v[25:26], v[19:20], off
	s_waitcnt vmcnt(1)
	v_mul_f64 v[19:20], v[23:24], -v[17:18]
	v_mul_f64 v[23:24], v[15:16], v[23:24]
	s_delay_alu instid0(VALU_DEP_2) | instskip(NEXT) | instid1(VALU_DEP_2)
	v_fma_f64 v[19:20], v[15:16], v[21:22], v[19:20]
	v_fma_f64 v[21:22], v[17:18], v[21:22], v[23:24]
	s_waitcnt vmcnt(0)
	v_sub_co_u32 v23, vcc_lo, v25, s17
	v_subrev_co_ci_u32_e32 v24, vcc_lo, 0, v26, vcc_lo
	s_delay_alu instid0(VALU_DEP_2) | instskip(NEXT) | instid1(VALU_DEP_1)
	v_mul_lo_u32 v25, 0x89, v23
	v_and_b32_e32 v31, 0x1fff, v25
	s_branch .LBB167_15
.LBB167_14:                             ;   in Loop: Header=BB167_15 Depth=3
	s_or_b32 exec_lo, exec_lo, s23
	s_xor_b32 s23, s28, -1
	s_delay_alu instid0(SALU_CYCLE_1) | instskip(NEXT) | instid1(SALU_CYCLE_1)
	s_and_b32 s23, exec_lo, s23
	s_or_b32 s22, s23, s22
	s_delay_alu instid0(SALU_CYCLE_1)
	s_and_not1_b32 exec_lo, exec_lo, s22
	s_cbranch_execz .LBB167_12
.LBB167_15:                             ;   Parent Loop BB167_10 Depth=1
                                        ;     Parent Loop BB167_13 Depth=2
                                        ; =>    This Loop Header: Depth=3
                                        ;         Child Loop BB167_21 Depth 4
                                        ;         Child Loop BB167_23 Depth 4
	;; [unrolled: 1-line block ×4, first 2 shown]
	s_delay_alu instid0(VALU_DEP_1)
	v_lshl_add_u32 v32, v31, 3, 0
	s_mov_b32 s23, exec_lo
                                        ; implicit-def: $sgpr28
	ds_load_b64 v[25:26], v32
	s_waitcnt lgkmcnt(0)
	v_cmpx_ne_u64_e64 v[25:26], v[23:24]
	s_xor_b32 s23, exec_lo, s23
	s_cbranch_execz .LBB167_27
; %bb.16:                               ;   in Loop: Header=BB167_15 Depth=3
	s_mov_b32 s29, exec_lo
                                        ; implicit-def: $sgpr28
	v_cmpx_ne_u64_e64 s[24:25], v[25:26]
	s_xor_b32 s29, exec_lo, s29
; %bb.17:                               ;   in Loop: Header=BB167_15 Depth=3
	v_add_nc_u32_e32 v25, 1, v31
	s_mov_b32 s28, -1
                                        ; implicit-def: $vgpr32
	s_delay_alu instid0(VALU_DEP_1)
	v_and_b32_e32 v31, 0x1fff, v25
; %bb.18:                               ;   in Loop: Header=BB167_15 Depth=3
	s_and_not1_saveexec_b32 s29, s29
	s_cbranch_execz .LBB167_26
; %bb.19:                               ;   in Loop: Header=BB167_15 Depth=3
	v_dual_mov_b32 v26, s25 :: v_dual_mov_b32 v25, s24
	s_mov_b32 s33, -1
	s_mov_b32 s31, exec_lo
	ds_cmpstore_rtn_b64 v[25:26], v32, v[23:24], v[25:26]
	s_waitcnt lgkmcnt(0)
	v_cmpx_eq_u64_e64 s[24:25], v[25:26]
	s_cbranch_execz .LBB167_25
; %bb.20:                               ;   in Loop: Header=BB167_15 Depth=3
	v_lshlrev_b32_e32 v25, 4, v31
	s_mov_b32 s33, 0
	s_delay_alu instid0(VALU_DEP_1)
	v_add3_u32 v32, 0, v25, 0x10000
	ds_load_b64 v[25:26], v32
.LBB167_21:                             ;   Parent Loop BB167_10 Depth=1
                                        ;     Parent Loop BB167_13 Depth=2
                                        ;       Parent Loop BB167_15 Depth=3
                                        ; =>      This Inner Loop Header: Depth=4
	s_waitcnt lgkmcnt(0)
	v_add_f64 v[33:34], v[25:26], v[19:20]
	ds_cmpstore_rtn_b64 v[33:34], v32, v[33:34], v[25:26]
	s_waitcnt lgkmcnt(0)
	v_cmp_eq_u64_e32 vcc_lo, v[33:34], v[25:26]
	v_dual_mov_b32 v25, v33 :: v_dual_mov_b32 v26, v34
	s_or_b32 s33, vcc_lo, s33
	s_delay_alu instid0(SALU_CYCLE_1)
	s_and_not1_b32 exec_lo, exec_lo, s33
	s_cbranch_execnz .LBB167_21
; %bb.22:                               ;   in Loop: Header=BB167_15 Depth=3
	s_or_b32 exec_lo, exec_lo, s33
	ds_load_b64 v[25:26], v32 offset:8
	s_mov_b32 s33, 0
.LBB167_23:                             ;   Parent Loop BB167_10 Depth=1
                                        ;     Parent Loop BB167_13 Depth=2
                                        ;       Parent Loop BB167_15 Depth=3
                                        ; =>      This Inner Loop Header: Depth=4
	s_waitcnt lgkmcnt(0)
	v_add_f64 v[33:34], v[25:26], v[21:22]
	ds_cmpstore_rtn_b64 v[33:34], v32, v[33:34], v[25:26] offset:8
	s_waitcnt lgkmcnt(0)
	v_cmp_eq_u64_e32 vcc_lo, v[33:34], v[25:26]
	v_dual_mov_b32 v25, v33 :: v_dual_mov_b32 v26, v34
	s_or_b32 s33, vcc_lo, s33
	s_delay_alu instid0(SALU_CYCLE_1)
	s_and_not1_b32 exec_lo, exec_lo, s33
	s_cbranch_execnz .LBB167_23
; %bb.24:                               ;   in Loop: Header=BB167_15 Depth=3
	s_or_b32 exec_lo, exec_lo, s33
	s_delay_alu instid0(SALU_CYCLE_1)
	s_xor_b32 s33, exec_lo, -1
.LBB167_25:                             ;   in Loop: Header=BB167_15 Depth=3
	s_or_b32 exec_lo, exec_lo, s31
	s_delay_alu instid0(SALU_CYCLE_1) | instskip(SKIP_1) | instid1(SALU_CYCLE_1)
	s_and_not1_b32 s28, s28, exec_lo
	s_and_b32 s31, s33, exec_lo
	s_or_b32 s28, s28, s31
.LBB167_26:                             ;   in Loop: Header=BB167_15 Depth=3
	s_or_b32 exec_lo, exec_lo, s29
	s_delay_alu instid0(SALU_CYCLE_1)
	s_and_b32 s28, s28, exec_lo
.LBB167_27:                             ;   in Loop: Header=BB167_15 Depth=3
	s_and_not1_saveexec_b32 s23, s23
	s_cbranch_execz .LBB167_14
; %bb.28:                               ;   in Loop: Header=BB167_15 Depth=3
	v_lshlrev_b32_e32 v25, 4, v31
	s_mov_b32 s29, 0
	s_delay_alu instid0(VALU_DEP_1)
	v_add3_u32 v32, 0, v25, 0x10000
	ds_load_b64 v[25:26], v32
.LBB167_29:                             ;   Parent Loop BB167_10 Depth=1
                                        ;     Parent Loop BB167_13 Depth=2
                                        ;       Parent Loop BB167_15 Depth=3
                                        ; =>      This Inner Loop Header: Depth=4
	s_waitcnt lgkmcnt(0)
	v_add_f64 v[33:34], v[25:26], v[19:20]
	ds_cmpstore_rtn_b64 v[33:34], v32, v[33:34], v[25:26]
	s_waitcnt lgkmcnt(0)
	v_cmp_eq_u64_e32 vcc_lo, v[33:34], v[25:26]
	v_dual_mov_b32 v25, v33 :: v_dual_mov_b32 v26, v34
	s_or_b32 s29, vcc_lo, s29
	s_delay_alu instid0(SALU_CYCLE_1)
	s_and_not1_b32 exec_lo, exec_lo, s29
	s_cbranch_execnz .LBB167_29
; %bb.30:                               ;   in Loop: Header=BB167_15 Depth=3
	s_or_b32 exec_lo, exec_lo, s29
	ds_load_b64 v[25:26], v32 offset:8
	s_mov_b32 s29, 0
.LBB167_31:                             ;   Parent Loop BB167_10 Depth=1
                                        ;     Parent Loop BB167_13 Depth=2
                                        ;       Parent Loop BB167_15 Depth=3
                                        ; =>      This Inner Loop Header: Depth=4
	s_waitcnt lgkmcnt(0)
	v_add_f64 v[33:34], v[25:26], v[21:22]
	ds_cmpstore_rtn_b64 v[33:34], v32, v[33:34], v[25:26] offset:8
	s_waitcnt lgkmcnt(0)
	v_cmp_eq_u64_e32 vcc_lo, v[33:34], v[25:26]
	v_dual_mov_b32 v25, v33 :: v_dual_mov_b32 v26, v34
	s_or_b32 s29, vcc_lo, s29
	s_delay_alu instid0(SALU_CYCLE_1)
	s_and_not1_b32 exec_lo, exec_lo, s29
	s_cbranch_execnz .LBB167_31
; %bb.32:                               ;   in Loop: Header=BB167_15 Depth=3
	s_or_b32 exec_lo, exec_lo, s29
	s_delay_alu instid0(SALU_CYCLE_1)
	s_and_not1_b32 s28, s28, exec_lo
	s_branch .LBB167_14
.LBB167_33:
	s_or_b32 exec_lo, exec_lo, s14
.LBB167_34:
	s_clause 0x1
	s_load_b64 s[28:29], s[0:1], 0x90
	s_load_b128 s[20:23], s[0:1], 0x80
	s_and_not1_b32 vcc_lo, exec_lo, s30
	s_cbranch_vccnz .LBB167_59
; %bb.35:
	s_load_b64 s[2:3], s[0:1], 0x68
	s_waitcnt lgkmcnt(0)
	s_lshl_b64 s[4:5], s[26:27], 3
	s_delay_alu instid0(SALU_CYCLE_1) | instskip(SKIP_3) | instid1(VALU_DEP_1)
	s_add_u32 s2, s2, s4
	s_addc_u32 s3, s3, s5
	s_load_b128 s[4:7], s[2:3], 0x0
	v_sub_co_u32 v5, s2, v0, s19
	v_sub_co_ci_u32_e64 v6, null, 0, 0, s2
	s_waitcnt lgkmcnt(0)
	s_delay_alu instid0(VALU_DEP_2) | instskip(NEXT) | instid1(VALU_DEP_2)
	v_add_co_u32 v5, vcc_lo, s4, v5
	v_add_co_ci_u32_e32 v6, vcc_lo, s5, v6, vcc_lo
	s_sub_u32 s4, s6, s19
	s_subb_u32 s5, s7, 0
	s_mov_b32 s6, 0
	s_mov_b32 s7, exec_lo
	v_cmpx_gt_i64_e64 s[4:5], v[5:6]
	s_cbranch_execz .LBB167_58
; %bb.36:
	s_load_b128 s[0:3], s[0:1], 0x70
	s_mov_b32 s8, s19
	s_branch .LBB167_38
.LBB167_37:                             ;   in Loop: Header=BB167_38 Depth=1
	s_or_b32 exec_lo, exec_lo, s9
	v_add_co_u32 v5, vcc_lo, 0x400, v5
	v_add_co_ci_u32_e32 v6, vcc_lo, 0, v6, vcc_lo
	s_delay_alu instid0(VALU_DEP_1) | instskip(SKIP_1) | instid1(SALU_CYCLE_1)
	v_cmp_le_i64_e32 vcc_lo, s[4:5], v[5:6]
	s_or_b32 s6, vcc_lo, s6
	s_and_not1_b32 exec_lo, exec_lo, s6
	s_cbranch_execz .LBB167_58
.LBB167_38:                             ; =>This Loop Header: Depth=1
                                        ;     Child Loop BB167_40 Depth 2
                                        ;       Child Loop BB167_46 Depth 3
                                        ;       Child Loop BB167_48 Depth 3
	;; [unrolled: 1-line block ×4, first 2 shown]
	v_lshlrev_b64 v[7:8], 4, v[5:6]
	s_mov_b32 s9, 0
	s_waitcnt lgkmcnt(0)
	s_delay_alu instid0(VALU_DEP_1) | instskip(NEXT) | instid1(VALU_DEP_2)
	v_add_co_u32 v7, vcc_lo, s2, v7
	v_add_co_ci_u32_e32 v8, vcc_lo, s3, v8, vcc_lo
	global_load_b128 v[9:12], v[7:8], off
	v_lshlrev_b64 v[7:8], 3, v[5:6]
	s_delay_alu instid0(VALU_DEP_1) | instskip(NEXT) | instid1(VALU_DEP_2)
	v_add_co_u32 v7, vcc_lo, s0, v7
	v_add_co_ci_u32_e32 v8, vcc_lo, s1, v8, vcc_lo
	global_load_b64 v[13:14], v[7:8], off
	s_waitcnt vmcnt(1)
	v_mul_f64 v[7:8], v[11:12], -v[1:2]
	v_mul_f64 v[11:12], v[3:4], v[11:12]
	s_delay_alu instid0(VALU_DEP_2) | instskip(NEXT) | instid1(VALU_DEP_2)
	v_fma_f64 v[7:8], v[3:4], v[9:10], v[7:8]
	v_fma_f64 v[9:10], v[1:2], v[9:10], v[11:12]
	s_waitcnt vmcnt(0)
	v_sub_co_u32 v11, vcc_lo, v13, s8
	v_subrev_co_ci_u32_e32 v12, vcc_lo, 0, v14, vcc_lo
	s_delay_alu instid0(VALU_DEP_2) | instskip(NEXT) | instid1(VALU_DEP_1)
	v_mul_lo_u32 v13, 0x89, v11
	v_and_b32_e32 v15, 0x1fff, v13
	s_branch .LBB167_40
.LBB167_39:                             ;   in Loop: Header=BB167_40 Depth=2
	s_or_b32 exec_lo, exec_lo, s10
	s_xor_b32 s10, s11, -1
	s_delay_alu instid0(SALU_CYCLE_1) | instskip(NEXT) | instid1(SALU_CYCLE_1)
	s_and_b32 s10, exec_lo, s10
	s_or_b32 s9, s10, s9
	s_delay_alu instid0(SALU_CYCLE_1)
	s_and_not1_b32 exec_lo, exec_lo, s9
	s_cbranch_execz .LBB167_37
.LBB167_40:                             ;   Parent Loop BB167_38 Depth=1
                                        ; =>  This Loop Header: Depth=2
                                        ;       Child Loop BB167_46 Depth 3
                                        ;       Child Loop BB167_48 Depth 3
	;; [unrolled: 1-line block ×4, first 2 shown]
	s_delay_alu instid0(VALU_DEP_1)
	v_lshl_add_u32 v16, v15, 3, 0
	s_mov_b32 s10, exec_lo
                                        ; implicit-def: $sgpr11
	ds_load_b64 v[13:14], v16
	s_waitcnt lgkmcnt(0)
	v_cmpx_ne_u64_e64 v[13:14], v[11:12]
	s_xor_b32 s10, exec_lo, s10
	s_cbranch_execz .LBB167_52
; %bb.41:                               ;   in Loop: Header=BB167_40 Depth=2
	s_mov_b32 s12, exec_lo
                                        ; implicit-def: $sgpr11
	v_cmpx_ne_u64_e64 s[24:25], v[13:14]
	s_xor_b32 s12, exec_lo, s12
; %bb.42:                               ;   in Loop: Header=BB167_40 Depth=2
	v_add_nc_u32_e32 v13, 1, v15
	s_mov_b32 s11, -1
                                        ; implicit-def: $vgpr16
	s_delay_alu instid0(VALU_DEP_1)
	v_and_b32_e32 v15, 0x1fff, v13
; %bb.43:                               ;   in Loop: Header=BB167_40 Depth=2
	s_and_not1_saveexec_b32 s12, s12
	s_cbranch_execz .LBB167_51
; %bb.44:                               ;   in Loop: Header=BB167_40 Depth=2
	v_dual_mov_b32 v13, s24 :: v_dual_mov_b32 v14, s25
	s_mov_b32 s14, -1
	s_mov_b32 s13, exec_lo
	ds_cmpstore_rtn_b64 v[13:14], v16, v[11:12], v[13:14]
	s_waitcnt lgkmcnt(0)
	v_cmpx_eq_u64_e64 s[24:25], v[13:14]
	s_cbranch_execz .LBB167_50
; %bb.45:                               ;   in Loop: Header=BB167_40 Depth=2
	v_lshlrev_b32_e32 v13, 4, v15
	s_mov_b32 s14, 0
	s_delay_alu instid0(VALU_DEP_1)
	v_add3_u32 v16, 0, v13, 0x10000
	ds_load_b64 v[13:14], v16
.LBB167_46:                             ;   Parent Loop BB167_38 Depth=1
                                        ;     Parent Loop BB167_40 Depth=2
                                        ; =>    This Inner Loop Header: Depth=3
	s_waitcnt lgkmcnt(0)
	v_add_f64 v[17:18], v[13:14], v[7:8]
	ds_cmpstore_rtn_b64 v[17:18], v16, v[17:18], v[13:14]
	s_waitcnt lgkmcnt(0)
	v_cmp_eq_u64_e32 vcc_lo, v[17:18], v[13:14]
	v_dual_mov_b32 v13, v17 :: v_dual_mov_b32 v14, v18
	s_or_b32 s14, vcc_lo, s14
	s_delay_alu instid0(SALU_CYCLE_1)
	s_and_not1_b32 exec_lo, exec_lo, s14
	s_cbranch_execnz .LBB167_46
; %bb.47:                               ;   in Loop: Header=BB167_40 Depth=2
	s_or_b32 exec_lo, exec_lo, s14
	ds_load_b64 v[13:14], v16 offset:8
	s_mov_b32 s14, 0
.LBB167_48:                             ;   Parent Loop BB167_38 Depth=1
                                        ;     Parent Loop BB167_40 Depth=2
                                        ; =>    This Inner Loop Header: Depth=3
	s_waitcnt lgkmcnt(0)
	v_add_f64 v[17:18], v[13:14], v[9:10]
	ds_cmpstore_rtn_b64 v[17:18], v16, v[17:18], v[13:14] offset:8
	s_waitcnt lgkmcnt(0)
	v_cmp_eq_u64_e32 vcc_lo, v[17:18], v[13:14]
	v_dual_mov_b32 v13, v17 :: v_dual_mov_b32 v14, v18
	s_or_b32 s14, vcc_lo, s14
	s_delay_alu instid0(SALU_CYCLE_1)
	s_and_not1_b32 exec_lo, exec_lo, s14
	s_cbranch_execnz .LBB167_48
; %bb.49:                               ;   in Loop: Header=BB167_40 Depth=2
	s_or_b32 exec_lo, exec_lo, s14
	s_delay_alu instid0(SALU_CYCLE_1)
	s_xor_b32 s14, exec_lo, -1
.LBB167_50:                             ;   in Loop: Header=BB167_40 Depth=2
	s_or_b32 exec_lo, exec_lo, s13
	s_delay_alu instid0(SALU_CYCLE_1) | instskip(SKIP_1) | instid1(SALU_CYCLE_1)
	s_and_not1_b32 s11, s11, exec_lo
	s_and_b32 s13, s14, exec_lo
	s_or_b32 s11, s11, s13
.LBB167_51:                             ;   in Loop: Header=BB167_40 Depth=2
	s_or_b32 exec_lo, exec_lo, s12
	s_delay_alu instid0(SALU_CYCLE_1)
	s_and_b32 s11, s11, exec_lo
.LBB167_52:                             ;   in Loop: Header=BB167_40 Depth=2
	s_and_not1_saveexec_b32 s10, s10
	s_cbranch_execz .LBB167_39
; %bb.53:                               ;   in Loop: Header=BB167_40 Depth=2
	v_lshlrev_b32_e32 v13, 4, v15
	s_mov_b32 s12, 0
	s_delay_alu instid0(VALU_DEP_1)
	v_add3_u32 v16, 0, v13, 0x10000
	ds_load_b64 v[13:14], v16
.LBB167_54:                             ;   Parent Loop BB167_38 Depth=1
                                        ;     Parent Loop BB167_40 Depth=2
                                        ; =>    This Inner Loop Header: Depth=3
	s_waitcnt lgkmcnt(0)
	v_add_f64 v[17:18], v[13:14], v[7:8]
	ds_cmpstore_rtn_b64 v[17:18], v16, v[17:18], v[13:14]
	s_waitcnt lgkmcnt(0)
	v_cmp_eq_u64_e32 vcc_lo, v[17:18], v[13:14]
	v_dual_mov_b32 v13, v17 :: v_dual_mov_b32 v14, v18
	s_or_b32 s12, vcc_lo, s12
	s_delay_alu instid0(SALU_CYCLE_1)
	s_and_not1_b32 exec_lo, exec_lo, s12
	s_cbranch_execnz .LBB167_54
; %bb.55:                               ;   in Loop: Header=BB167_40 Depth=2
	s_or_b32 exec_lo, exec_lo, s12
	ds_load_b64 v[13:14], v16 offset:8
	s_mov_b32 s12, 0
.LBB167_56:                             ;   Parent Loop BB167_38 Depth=1
                                        ;     Parent Loop BB167_40 Depth=2
                                        ; =>    This Inner Loop Header: Depth=3
	s_waitcnt lgkmcnt(0)
	v_add_f64 v[17:18], v[13:14], v[9:10]
	ds_cmpstore_rtn_b64 v[17:18], v16, v[17:18], v[13:14] offset:8
	s_waitcnt lgkmcnt(0)
	v_cmp_eq_u64_e32 vcc_lo, v[17:18], v[13:14]
	v_dual_mov_b32 v13, v17 :: v_dual_mov_b32 v14, v18
	s_or_b32 s12, vcc_lo, s12
	s_delay_alu instid0(SALU_CYCLE_1)
	s_and_not1_b32 exec_lo, exec_lo, s12
	s_cbranch_execnz .LBB167_56
; %bb.57:                               ;   in Loop: Header=BB167_40 Depth=2
	s_or_b32 exec_lo, exec_lo, s12
	s_delay_alu instid0(SALU_CYCLE_1)
	s_and_not1_b32 s11, s11, exec_lo
	s_branch .LBB167_39
.LBB167_58:
	s_or_b32 exec_lo, exec_lo, s7
.LBB167_59:
	v_mbcnt_lo_u32_b32 v1, -1, 0
	v_dual_mov_b32 v5, 0 :: v_dual_lshlrev_b32 v2, 3, v28
	s_add_i32 s41, 0, 0x30078
	v_cmp_eq_u32_e32 vcc_lo, 0x3ff, v0
	s_delay_alu instid0(VALU_DEP_3) | instskip(NEXT) | instid1(VALU_DEP_3)
	v_xor_b32_e32 v1, 63, v1
	v_add3_u32 v10, 0, 0x30000, v2
	v_cmp_lt_u32_e64 s0, 63, v0
	v_cmp_lt_u32_e64 s1, 0x7f, v0
	;; [unrolled: 1-line block ×3, first 2 shown]
	v_lshrrev_b64 v[1:2], v1, -1
	v_dual_mov_b32 v13, s41 :: v_dual_lshlrev_b32 v2, 4, v0
	v_cmp_lt_u32_e64 s3, 0xff, v0
	v_cmp_lt_u32_e64 s4, 0x13f, v0
	v_cmp_lt_u32_e64 s5, 0x17f, v0
	s_delay_alu instid0(VALU_DEP_4)
	v_add3_u32 v12, v2, 0, 0x10000
	v_mov_b32_e32 v2, 0
	v_cmp_lt_u32_e64 s6, 0x1bf, v0
	v_cmp_lt_u32_e64 s7, 0x1ff, v0
	;; [unrolled: 1-line block ×9, first 2 shown]
	v_or_b32_e32 v11, 0xfffffc00, v0
	v_mov_b32_e32 v3, 0
	s_mov_b32 s17, 0
	s_add_i32 s19, 0, 0x30000
	s_add_i32 s30, 0, 0x30008
	;; [unrolled: 1-line block ×15, first 2 shown]
	s_waitcnt lgkmcnt(0)
	s_barrier
	buffer_gl0_inv
	s_branch .LBB167_61
.LBB167_60:                             ;   in Loop: Header=BB167_61 Depth=1
	s_or_b32 exec_lo, exec_lo, s15
	s_waitcnt lgkmcnt(0)
	s_barrier
	buffer_gl0_inv
	ds_load_b64 v[6:7], v13
	v_add_nc_u32_e32 v11, 0x400, v11
	v_add_nc_u32_e32 v12, 0x4000, v12
	;; [unrolled: 1-line block ×3, first 2 shown]
	s_delay_alu instid0(VALU_DEP_3) | instskip(NEXT) | instid1(VALU_DEP_1)
	v_cmp_lt_u32_e64 s15, 0x1bff, v11
	s_or_b32 s17, s15, s17
	s_waitcnt lgkmcnt(0)
	v_add_co_u32 v2, s16, v6, v2
	s_delay_alu instid0(VALU_DEP_1)
	v_add_co_ci_u32_e64 v3, s16, v7, v3, s16
	s_and_not1_b32 exec_lo, exec_lo, s17
	s_cbranch_execz .LBB167_95
.LBB167_61:                             ; =>This Inner Loop Header: Depth=1
	ds_load_b64 v[6:7], v27
	ds_load_2addr_b64 v[14:17], v12 offset1:1
	s_waitcnt lgkmcnt(1)
	v_cmp_gt_i64_e64 s15, s[24:25], v[6:7]
	s_waitcnt lgkmcnt(0)
	scratch_store_b128 off, v[14:17], off
	s_waitcnt_vscnt null, 0x0
	s_barrier
	buffer_gl0_inv
	v_and_b32_e32 v8, s15, v1
	s_bcnt1_i32_b32 s16, s15
	s_delay_alu instid0(SALU_CYCLE_1) | instskip(NEXT) | instid1(VALU_DEP_2)
	v_mov_b32_e32 v4, s16
	v_bcnt_u32_b32 v8, v8, 0
	ds_store_b64 v10, v[4:5]
	s_waitcnt lgkmcnt(0)
	s_barrier
	buffer_gl0_inv
	s_and_saveexec_b32 s16, s0
	s_cbranch_execnz .LBB167_78
; %bb.62:                               ;   in Loop: Header=BB167_61 Depth=1
	s_or_b32 exec_lo, exec_lo, s16
	s_and_saveexec_b32 s16, s1
	s_cbranch_execnz .LBB167_79
.LBB167_63:                             ;   in Loop: Header=BB167_61 Depth=1
	s_or_b32 exec_lo, exec_lo, s16
	s_and_saveexec_b32 s16, s2
	s_cbranch_execnz .LBB167_80
.LBB167_64:                             ;   in Loop: Header=BB167_61 Depth=1
	s_or_b32 exec_lo, exec_lo, s16
	s_and_saveexec_b32 s16, s3
	s_cbranch_execnz .LBB167_81
.LBB167_65:                             ;   in Loop: Header=BB167_61 Depth=1
	s_or_b32 exec_lo, exec_lo, s16
	s_and_saveexec_b32 s16, s4
	s_cbranch_execnz .LBB167_82
.LBB167_66:                             ;   in Loop: Header=BB167_61 Depth=1
	s_or_b32 exec_lo, exec_lo, s16
	s_and_saveexec_b32 s16, s5
	s_cbranch_execnz .LBB167_83
.LBB167_67:                             ;   in Loop: Header=BB167_61 Depth=1
	s_or_b32 exec_lo, exec_lo, s16
	s_and_saveexec_b32 s16, s6
	s_cbranch_execnz .LBB167_84
.LBB167_68:                             ;   in Loop: Header=BB167_61 Depth=1
	s_or_b32 exec_lo, exec_lo, s16
	s_and_saveexec_b32 s16, s7
	s_cbranch_execnz .LBB167_85
.LBB167_69:                             ;   in Loop: Header=BB167_61 Depth=1
	s_or_b32 exec_lo, exec_lo, s16
	s_and_saveexec_b32 s16, s8
	s_cbranch_execnz .LBB167_86
.LBB167_70:                             ;   in Loop: Header=BB167_61 Depth=1
	s_or_b32 exec_lo, exec_lo, s16
	s_and_saveexec_b32 s16, s9
	s_cbranch_execnz .LBB167_87
.LBB167_71:                             ;   in Loop: Header=BB167_61 Depth=1
	s_or_b32 exec_lo, exec_lo, s16
	s_and_saveexec_b32 s16, s10
	s_cbranch_execnz .LBB167_88
.LBB167_72:                             ;   in Loop: Header=BB167_61 Depth=1
	s_or_b32 exec_lo, exec_lo, s16
	s_and_saveexec_b32 s16, s11
	s_cbranch_execnz .LBB167_89
.LBB167_73:                             ;   in Loop: Header=BB167_61 Depth=1
	s_or_b32 exec_lo, exec_lo, s16
	s_and_saveexec_b32 s16, s12
	s_cbranch_execnz .LBB167_90
.LBB167_74:                             ;   in Loop: Header=BB167_61 Depth=1
	s_or_b32 exec_lo, exec_lo, s16
	s_and_saveexec_b32 s16, s13
	s_cbranch_execnz .LBB167_91
.LBB167_75:                             ;   in Loop: Header=BB167_61 Depth=1
	s_or_b32 exec_lo, exec_lo, s16
	s_and_saveexec_b32 s16, s14
	s_cbranch_execnz .LBB167_92
.LBB167_76:                             ;   in Loop: Header=BB167_61 Depth=1
	s_or_b32 exec_lo, exec_lo, s16
	v_ashrrev_i32_e32 v9, 31, v8
	s_and_saveexec_b32 s16, s15
	s_cbranch_execnz .LBB167_93
.LBB167_77:                             ;   in Loop: Header=BB167_61 Depth=1
	s_or_b32 exec_lo, exec_lo, s16
	s_and_saveexec_b32 s15, vcc_lo
	s_cbranch_execz .LBB167_60
	s_branch .LBB167_94
.LBB167_78:                             ;   in Loop: Header=BB167_61 Depth=1
	v_mov_b32_e32 v4, s19
	ds_load_b32 v4, v4
	s_waitcnt lgkmcnt(0)
	v_add_nc_u32_e32 v8, v4, v8
	s_or_b32 exec_lo, exec_lo, s16
	s_and_saveexec_b32 s16, s1
	s_cbranch_execz .LBB167_63
.LBB167_79:                             ;   in Loop: Header=BB167_61 Depth=1
	v_mov_b32_e32 v4, s30
	ds_load_b32 v4, v4
	s_waitcnt lgkmcnt(0)
	v_add_nc_u32_e32 v8, v8, v4
	s_or_b32 exec_lo, exec_lo, s16
	s_and_saveexec_b32 s16, s2
	s_cbranch_execz .LBB167_64
.LBB167_80:                             ;   in Loop: Header=BB167_61 Depth=1
	v_mov_b32_e32 v4, s31
	ds_load_b32 v4, v4
	s_waitcnt lgkmcnt(0)
	v_add_nc_u32_e32 v8, v8, v4
	s_or_b32 exec_lo, exec_lo, s16
	s_and_saveexec_b32 s16, s3
	s_cbranch_execz .LBB167_65
.LBB167_81:                             ;   in Loop: Header=BB167_61 Depth=1
	v_mov_b32_e32 v4, s33
	ds_load_b32 v4, v4
	s_waitcnt lgkmcnt(0)
	v_add_nc_u32_e32 v8, v8, v4
	s_or_b32 exec_lo, exec_lo, s16
	s_and_saveexec_b32 s16, s4
	s_cbranch_execz .LBB167_66
.LBB167_82:                             ;   in Loop: Header=BB167_61 Depth=1
	v_mov_b32_e32 v4, s34
	ds_load_b32 v4, v4
	s_waitcnt lgkmcnt(0)
	v_add_nc_u32_e32 v8, v8, v4
	s_or_b32 exec_lo, exec_lo, s16
	s_and_saveexec_b32 s16, s5
	s_cbranch_execz .LBB167_67
.LBB167_83:                             ;   in Loop: Header=BB167_61 Depth=1
	v_mov_b32_e32 v4, s35
	ds_load_b32 v4, v4
	s_waitcnt lgkmcnt(0)
	v_add_nc_u32_e32 v8, v8, v4
	s_or_b32 exec_lo, exec_lo, s16
	s_and_saveexec_b32 s16, s6
	s_cbranch_execz .LBB167_68
.LBB167_84:                             ;   in Loop: Header=BB167_61 Depth=1
	v_mov_b32_e32 v4, s36
	ds_load_b32 v4, v4
	s_waitcnt lgkmcnt(0)
	v_add_nc_u32_e32 v8, v8, v4
	s_or_b32 exec_lo, exec_lo, s16
	s_and_saveexec_b32 s16, s7
	s_cbranch_execz .LBB167_69
.LBB167_85:                             ;   in Loop: Header=BB167_61 Depth=1
	v_mov_b32_e32 v4, s37
	ds_load_b32 v4, v4
	s_waitcnt lgkmcnt(0)
	v_add_nc_u32_e32 v8, v8, v4
	s_or_b32 exec_lo, exec_lo, s16
	s_and_saveexec_b32 s16, s8
	s_cbranch_execz .LBB167_70
.LBB167_86:                             ;   in Loop: Header=BB167_61 Depth=1
	v_mov_b32_e32 v4, s38
	ds_load_b32 v4, v4
	s_waitcnt lgkmcnt(0)
	v_add_nc_u32_e32 v8, v8, v4
	s_or_b32 exec_lo, exec_lo, s16
	s_and_saveexec_b32 s16, s9
	s_cbranch_execz .LBB167_71
.LBB167_87:                             ;   in Loop: Header=BB167_61 Depth=1
	v_mov_b32_e32 v4, s39
	ds_load_b32 v4, v4
	s_waitcnt lgkmcnt(0)
	v_add_nc_u32_e32 v8, v8, v4
	s_or_b32 exec_lo, exec_lo, s16
	s_and_saveexec_b32 s16, s10
	s_cbranch_execz .LBB167_72
.LBB167_88:                             ;   in Loop: Header=BB167_61 Depth=1
	v_mov_b32_e32 v4, s40
	ds_load_b32 v4, v4
	s_waitcnt lgkmcnt(0)
	v_add_nc_u32_e32 v8, v8, v4
	s_or_b32 exec_lo, exec_lo, s16
	s_and_saveexec_b32 s16, s11
	s_cbranch_execz .LBB167_73
.LBB167_89:                             ;   in Loop: Header=BB167_61 Depth=1
	v_mov_b32_e32 v4, s42
	ds_load_b32 v4, v4
	s_waitcnt lgkmcnt(0)
	v_add_nc_u32_e32 v8, v8, v4
	s_or_b32 exec_lo, exec_lo, s16
	s_and_saveexec_b32 s16, s12
	s_cbranch_execz .LBB167_74
.LBB167_90:                             ;   in Loop: Header=BB167_61 Depth=1
	v_mov_b32_e32 v4, s43
	ds_load_b32 v4, v4
	s_waitcnt lgkmcnt(0)
	v_add_nc_u32_e32 v8, v8, v4
	s_or_b32 exec_lo, exec_lo, s16
	s_and_saveexec_b32 s16, s13
	s_cbranch_execz .LBB167_75
.LBB167_91:                             ;   in Loop: Header=BB167_61 Depth=1
	v_mov_b32_e32 v4, s44
	ds_load_b32 v4, v4
	s_waitcnt lgkmcnt(0)
	v_add_nc_u32_e32 v8, v8, v4
	s_or_b32 exec_lo, exec_lo, s16
	s_and_saveexec_b32 s16, s14
	s_cbranch_execz .LBB167_76
.LBB167_92:                             ;   in Loop: Header=BB167_61 Depth=1
	v_mov_b32_e32 v4, s45
	ds_load_b32 v4, v4
	s_waitcnt lgkmcnt(0)
	v_add_nc_u32_e32 v8, v8, v4
	s_or_b32 exec_lo, exec_lo, s16
	s_delay_alu instid0(VALU_DEP_1)
	v_ashrrev_i32_e32 v9, 31, v8
	s_and_saveexec_b32 s16, s15
	s_cbranch_execz .LBB167_77
.LBB167_93:                             ;   in Loop: Header=BB167_61 Depth=1
	scratch_load_b128 v[14:17], off, off
	v_add3_u32 v4, v2, -1, v8
	s_delay_alu instid0(VALU_DEP_1) | instskip(SKIP_1) | instid1(VALU_DEP_2)
	v_lshlrev_b32_e32 v18, 4, v4
	v_lshl_add_u32 v4, v4, 3, 0
	v_add3_u32 v18, 0, v18, 0x10000
	ds_store_b64 v4, v[6:7]
	s_waitcnt vmcnt(0)
	ds_store_2addr_b64 v18, v[14:15], v[16:17] offset1:1
	s_or_b32 exec_lo, exec_lo, s16
	s_and_saveexec_b32 s15, vcc_lo
	s_cbranch_execz .LBB167_60
.LBB167_94:                             ;   in Loop: Header=BB167_61 Depth=1
	v_mov_b32_e32 v4, s41
	ds_store_b64 v4, v[8:9]
	s_branch .LBB167_60
.LBB167_95:
	s_or_b32 exec_lo, exec_lo, s17
	s_lshl_b64 s[0:1], s[26:27], 3
	v_mov_b32_e32 v1, 0
	s_add_u32 s0, s20, s0
	s_addc_u32 s1, s21, s1
	s_mov_b32 s6, exec_lo
	s_load_b128 s[0:3], s[0:1], 0x0
	s_waitcnt lgkmcnt(0)
	s_sub_u32 s4, s2, s0
	s_subb_u32 s5, s3, s1
	s_delay_alu instid0(SALU_CYCLE_1)
	v_cmpx_gt_i64_e64 s[4:5], v[0:1]
	s_cbranch_execz .LBB167_105
; %bb.96:
	s_sub_u32 s8, s0, s18
	s_subb_u32 s9, s1, 0
	s_and_b32 s6, s4, 7
	s_sub_u32 s0, s0, s2
	s_subb_u32 s1, s1, s3
	s_mov_b32 s7, 0
	v_cmp_lt_u64_e64 s12, s[0:1], -7
	s_and_b32 s2, s4, -8
	s_cmp_lg_u64 s[6:7], 0
	s_mov_b32 s3, s5
	s_cselect_b32 s13, -1, 0
	s_mov_b32 s14, s7
	s_branch .LBB167_98
.LBB167_97:                             ;   in Loop: Header=BB167_98 Depth=1
	v_lshlrev_b32_e32 v6, 4, v0
	s_waitcnt lgkmcnt(0)
	v_add_co_u32 v2, vcc_lo, v2, s18
	v_lshlrev_b64 v[10:11], 3, v[4:5]
	v_add_co_ci_u32_e32 v3, vcc_lo, 0, v3, vcc_lo
	v_add3_u32 v6, 0, v6, 0x10000
	v_add_co_u32 v0, vcc_lo, 0x400, v0
	v_add_co_ci_u32_e32 v1, vcc_lo, 0, v1, vcc_lo
	ds_load_2addr_b64 v[6:9], v6 offset1:1
	v_lshlrev_b64 v[4:5], 4, v[4:5]
	v_add_co_u32 v10, vcc_lo, s22, v10
	v_add_co_ci_u32_e32 v11, vcc_lo, s23, v11, vcc_lo
	v_cmp_le_i64_e32 vcc_lo, s[4:5], v[0:1]
	s_delay_alu instid0(VALU_DEP_4) | instskip(NEXT) | instid1(VALU_DEP_1)
	v_add_co_u32 v4, s0, s28, v4
	v_add_co_ci_u32_e64 v5, s0, s29, v5, s0
	global_store_b64 v[10:11], v[2:3], off
	s_waitcnt lgkmcnt(0)
	global_store_b128 v[4:5], v[6:9], off
	s_or_b32 s14, vcc_lo, s14
	s_delay_alu instid0(SALU_CYCLE_1)
	s_and_not1_b32 exec_lo, exec_lo, s14
	s_cbranch_execz .LBB167_105
.LBB167_98:                             ; =>This Loop Header: Depth=1
                                        ;     Child Loop BB167_100 Depth 2
                                        ;     Child Loop BB167_104 Depth 2
	v_lshl_add_u32 v2, v0, 3, 0
	v_dual_mov_b32 v4, s8 :: v_dual_mov_b32 v5, s9
	s_and_not1_b32 vcc_lo, exec_lo, s12
	s_mov_b64 s[0:1], 0
	ds_load_b64 v[2:3], v2
	s_cbranch_vccnz .LBB167_102
; %bb.99:                               ;   in Loop: Header=BB167_98 Depth=1
	v_dual_mov_b32 v4, s8 :: v_dual_mov_b32 v5, s9
	s_mov_b64 s[10:11], 0
	s_mov_b32 s1, 0
.LBB167_100:                            ;   Parent Loop BB167_98 Depth=1
                                        ; =>  This Inner Loop Header: Depth=2
	s_delay_alu instid0(SALU_CYCLE_1)
	v_mov_b32_e32 v18, s1
	s_add_u32 s10, s10, 8
	s_addc_u32 s11, s11, 0
	s_add_i32 s1, s1, 64
	s_cmp_eq_u64 s[2:3], s[10:11]
	ds_load_2addr_b64 v[6:9], v18 offset1:1
	ds_load_2addr_b64 v[10:13], v18 offset0:2 offset1:3
	ds_load_2addr_b64 v[14:17], v18 offset0:4 offset1:5
	;; [unrolled: 1-line block ×3, first 2 shown]
	s_waitcnt lgkmcnt(3)
	v_cmp_gt_i64_e32 vcc_lo, v[2:3], v[6:7]
	v_cndmask_b32_e64 v6, 0, 1, vcc_lo
	v_cmp_gt_i64_e32 vcc_lo, v[2:3], v[8:9]
	v_cndmask_b32_e64 v7, 0, 1, vcc_lo
	s_waitcnt lgkmcnt(2)
	v_cmp_gt_i64_e32 vcc_lo, v[2:3], v[10:11]
	v_cndmask_b32_e64 v8, 0, 1, vcc_lo
	v_cmp_gt_i64_e32 vcc_lo, v[2:3], v[12:13]
	v_cndmask_b32_e64 v9, 0, 1, vcc_lo
	s_waitcnt lgkmcnt(1)
	v_cmp_gt_i64_e32 vcc_lo, v[2:3], v[14:15]
	v_cndmask_b32_e64 v10, 0, 1, vcc_lo
	v_add_co_u32 v4, vcc_lo, v4, v6
	v_add_co_ci_u32_e32 v5, vcc_lo, 0, v5, vcc_lo
	v_cmp_gt_i64_e32 vcc_lo, v[2:3], v[16:17]
	s_delay_alu instid0(VALU_DEP_3) | instskip(NEXT) | instid1(VALU_DEP_1)
	v_add_co_u32 v4, s0, v4, v7
	v_add_co_ci_u32_e64 v5, s0, 0, v5, s0
	v_cndmask_b32_e64 v6, 0, 1, vcc_lo
	s_delay_alu instid0(VALU_DEP_3) | instskip(NEXT) | instid1(VALU_DEP_3)
	v_add_co_u32 v4, vcc_lo, v4, v8
	v_add_co_ci_u32_e32 v5, vcc_lo, 0, v5, vcc_lo
	s_waitcnt lgkmcnt(0)
	v_cmp_gt_i64_e32 vcc_lo, v[2:3], v[18:19]
	s_delay_alu instid0(VALU_DEP_3) | instskip(NEXT) | instid1(VALU_DEP_1)
	v_add_co_u32 v4, s0, v4, v9
	v_add_co_ci_u32_e64 v5, s0, 0, v5, s0
	v_cndmask_b32_e64 v7, 0, 1, vcc_lo
	s_delay_alu instid0(VALU_DEP_3) | instskip(NEXT) | instid1(VALU_DEP_3)
	v_add_co_u32 v4, vcc_lo, v4, v10
	v_add_co_ci_u32_e32 v5, vcc_lo, 0, v5, vcc_lo
	v_cmp_gt_i64_e32 vcc_lo, v[2:3], v[20:21]
	s_delay_alu instid0(VALU_DEP_3) | instskip(NEXT) | instid1(VALU_DEP_1)
	v_add_co_u32 v4, s0, v4, v6
	v_add_co_ci_u32_e64 v5, s0, 0, v5, s0
	v_cndmask_b32_e64 v6, 0, 1, vcc_lo
	s_delay_alu instid0(VALU_DEP_3) | instskip(NEXT) | instid1(VALU_DEP_3)
	v_add_co_u32 v4, vcc_lo, v4, v7
	v_add_co_ci_u32_e32 v5, vcc_lo, 0, v5, vcc_lo
	s_delay_alu instid0(VALU_DEP_2) | instskip(NEXT) | instid1(VALU_DEP_2)
	v_add_co_u32 v4, vcc_lo, v4, v6
	v_add_co_ci_u32_e32 v5, vcc_lo, 0, v5, vcc_lo
	s_cbranch_scc0 .LBB167_100
; %bb.101:                              ;   in Loop: Header=BB167_98 Depth=1
	s_mov_b64 s[0:1], s[2:3]
.LBB167_102:                            ;   in Loop: Header=BB167_98 Depth=1
	s_and_not1_b32 vcc_lo, exec_lo, s13
	s_cbranch_vccnz .LBB167_97
; %bb.103:                              ;   in Loop: Header=BB167_98 Depth=1
	s_lshl_b32 s0, s0, 3
	s_delay_alu instid0(SALU_CYCLE_1)
	s_add_i32 s10, s0, 0
	s_mov_b64 s[0:1], s[6:7]
.LBB167_104:                            ;   Parent Loop BB167_98 Depth=1
                                        ; =>  This Inner Loop Header: Depth=2
	v_mov_b32_e32 v6, s10
	s_add_i32 s10, s10, 8
	s_add_u32 s0, s0, -1
	s_addc_u32 s1, s1, -1
	s_delay_alu instid0(SALU_CYCLE_1) | instskip(SKIP_4) | instid1(VALU_DEP_1)
	s_cmp_lg_u64 s[0:1], 0
	ds_load_b64 v[6:7], v6
	s_waitcnt lgkmcnt(0)
	v_cmp_gt_i64_e32 vcc_lo, v[2:3], v[6:7]
	v_cndmask_b32_e64 v6, 0, 1, vcc_lo
	v_add_co_u32 v4, vcc_lo, v4, v6
	v_add_co_ci_u32_e32 v5, vcc_lo, 0, v5, vcc_lo
	s_cbranch_scc1 .LBB167_104
	s_branch .LBB167_97
.LBB167_105:
	s_nop 0
	s_sendmsg sendmsg(MSG_DEALLOC_VGPRS)
	s_endpgm
	.section	.rodata,"a",@progbits
	.p2align	6, 0x0
	.amdhsa_kernel _ZN9rocsparseL26csrgemm_fill_block_per_rowILj1024ELj64ELj8192ELj137ELj64Ell21rocsparse_complex_numIdEEEvT5_PKS3_S5_NS_24const_host_device_scalarIT6_EEPKT4_S5_PKS7_SB_S5_SD_S8_SB_S5_SD_SB_PS3_PS7_21rocsparse_index_base_SG_SG_SG_bbb
		.amdhsa_group_segment_fixed_size 0
		.amdhsa_private_segment_fixed_size 40
		.amdhsa_kernarg_size 172
		.amdhsa_user_sgpr_count 15
		.amdhsa_user_sgpr_dispatch_ptr 0
		.amdhsa_user_sgpr_queue_ptr 0
		.amdhsa_user_sgpr_kernarg_segment_ptr 1
		.amdhsa_user_sgpr_dispatch_id 0
		.amdhsa_user_sgpr_private_segment_size 0
		.amdhsa_wavefront_size32 1
		.amdhsa_uses_dynamic_stack 0
		.amdhsa_enable_private_segment 1
		.amdhsa_system_sgpr_workgroup_id_x 1
		.amdhsa_system_sgpr_workgroup_id_y 0
		.amdhsa_system_sgpr_workgroup_id_z 0
		.amdhsa_system_sgpr_workgroup_info 0
		.amdhsa_system_vgpr_workitem_id 0
		.amdhsa_next_free_vgpr 35
		.amdhsa_next_free_sgpr 46
		.amdhsa_reserve_vcc 1
		.amdhsa_float_round_mode_32 0
		.amdhsa_float_round_mode_16_64 0
		.amdhsa_float_denorm_mode_32 3
		.amdhsa_float_denorm_mode_16_64 3
		.amdhsa_dx10_clamp 1
		.amdhsa_ieee_mode 1
		.amdhsa_fp16_overflow 0
		.amdhsa_workgroup_processor_mode 1
		.amdhsa_memory_ordered 1
		.amdhsa_forward_progress 0
		.amdhsa_shared_vgpr_count 0
		.amdhsa_exception_fp_ieee_invalid_op 0
		.amdhsa_exception_fp_denorm_src 0
		.amdhsa_exception_fp_ieee_div_zero 0
		.amdhsa_exception_fp_ieee_overflow 0
		.amdhsa_exception_fp_ieee_underflow 0
		.amdhsa_exception_fp_ieee_inexact 0
		.amdhsa_exception_int_div_zero 0
	.end_amdhsa_kernel
	.section	.text._ZN9rocsparseL26csrgemm_fill_block_per_rowILj1024ELj64ELj8192ELj137ELj64Ell21rocsparse_complex_numIdEEEvT5_PKS3_S5_NS_24const_host_device_scalarIT6_EEPKT4_S5_PKS7_SB_S5_SD_S8_SB_S5_SD_SB_PS3_PS7_21rocsparse_index_base_SG_SG_SG_bbb,"axG",@progbits,_ZN9rocsparseL26csrgemm_fill_block_per_rowILj1024ELj64ELj8192ELj137ELj64Ell21rocsparse_complex_numIdEEEvT5_PKS3_S5_NS_24const_host_device_scalarIT6_EEPKT4_S5_PKS7_SB_S5_SD_S8_SB_S5_SD_SB_PS3_PS7_21rocsparse_index_base_SG_SG_SG_bbb,comdat
.Lfunc_end167:
	.size	_ZN9rocsparseL26csrgemm_fill_block_per_rowILj1024ELj64ELj8192ELj137ELj64Ell21rocsparse_complex_numIdEEEvT5_PKS3_S5_NS_24const_host_device_scalarIT6_EEPKT4_S5_PKS7_SB_S5_SD_S8_SB_S5_SD_SB_PS3_PS7_21rocsparse_index_base_SG_SG_SG_bbb, .Lfunc_end167-_ZN9rocsparseL26csrgemm_fill_block_per_rowILj1024ELj64ELj8192ELj137ELj64Ell21rocsparse_complex_numIdEEEvT5_PKS3_S5_NS_24const_host_device_scalarIT6_EEPKT4_S5_PKS7_SB_S5_SD_S8_SB_S5_SD_SB_PS3_PS7_21rocsparse_index_base_SG_SG_SG_bbb
                                        ; -- End function
	.section	.AMDGPU.csdata,"",@progbits
; Kernel info:
; codeLenInByte = 4828
; NumSgprs: 48
; NumVgprs: 35
; ScratchSize: 40
; MemoryBound: 0
; FloatMode: 240
; IeeeMode: 1
; LDSByteSize: 0 bytes/workgroup (compile time only)
; SGPRBlocks: 5
; VGPRBlocks: 4
; NumSGPRsForWavesPerEU: 48
; NumVGPRsForWavesPerEU: 35
; Occupancy: 16
; WaveLimiterHint : 1
; COMPUTE_PGM_RSRC2:SCRATCH_EN: 1
; COMPUTE_PGM_RSRC2:USER_SGPR: 15
; COMPUTE_PGM_RSRC2:TRAP_HANDLER: 0
; COMPUTE_PGM_RSRC2:TGID_X_EN: 1
; COMPUTE_PGM_RSRC2:TGID_Y_EN: 0
; COMPUTE_PGM_RSRC2:TGID_Z_EN: 0
; COMPUTE_PGM_RSRC2:TIDIG_COMP_CNT: 0
	.section	.text._ZN9rocsparseL26csrgemm_fill_block_per_rowILj1024ELj64ELj16384ELj137ELj32Ell21rocsparse_complex_numIdEEEvT5_PKS3_S5_NS_24const_host_device_scalarIT6_EEPKT4_S5_PKS7_SB_S5_SD_S8_SB_S5_SD_SB_PS3_PS7_21rocsparse_index_base_SG_SG_SG_bbb,"axG",@progbits,_ZN9rocsparseL26csrgemm_fill_block_per_rowILj1024ELj64ELj16384ELj137ELj32Ell21rocsparse_complex_numIdEEEvT5_PKS3_S5_NS_24const_host_device_scalarIT6_EEPKT4_S5_PKS7_SB_S5_SD_S8_SB_S5_SD_SB_PS3_PS7_21rocsparse_index_base_SG_SG_SG_bbb,comdat
	.globl	_ZN9rocsparseL26csrgemm_fill_block_per_rowILj1024ELj64ELj16384ELj137ELj32Ell21rocsparse_complex_numIdEEEvT5_PKS3_S5_NS_24const_host_device_scalarIT6_EEPKT4_S5_PKS7_SB_S5_SD_S8_SB_S5_SD_SB_PS3_PS7_21rocsparse_index_base_SG_SG_SG_bbb ; -- Begin function _ZN9rocsparseL26csrgemm_fill_block_per_rowILj1024ELj64ELj16384ELj137ELj32Ell21rocsparse_complex_numIdEEEvT5_PKS3_S5_NS_24const_host_device_scalarIT6_EEPKT4_S5_PKS7_SB_S5_SD_S8_SB_S5_SD_SB_PS3_PS7_21rocsparse_index_base_SG_SG_SG_bbb
	.p2align	8
	.type	_ZN9rocsparseL26csrgemm_fill_block_per_rowILj1024ELj64ELj16384ELj137ELj32Ell21rocsparse_complex_numIdEEEvT5_PKS3_S5_NS_24const_host_device_scalarIT6_EEPKT4_S5_PKS7_SB_S5_SD_S8_SB_S5_SD_SB_PS3_PS7_21rocsparse_index_base_SG_SG_SG_bbb,@function
_ZN9rocsparseL26csrgemm_fill_block_per_rowILj1024ELj64ELj16384ELj137ELj32Ell21rocsparse_complex_numIdEEEvT5_PKS3_S5_NS_24const_host_device_scalarIT6_EEPKT4_S5_PKS7_SB_S5_SD_S8_SB_S5_SD_SB_PS3_PS7_21rocsparse_index_base_SG_SG_SG_bbb: ; @_ZN9rocsparseL26csrgemm_fill_block_per_rowILj1024ELj64ELj16384ELj137ELj32Ell21rocsparse_complex_numIdEEEvT5_PKS3_S5_NS_24const_host_device_scalarIT6_EEPKT4_S5_PKS7_SB_S5_SD_S8_SB_S5_SD_SB_PS3_PS7_21rocsparse_index_base_SG_SG_SG_bbb
; %bb.0:
	s_clause 0x3
	s_load_b32 s27, s[0:1], 0xa8
	s_load_b128 s[4:7], s[0:1], 0x18
	s_load_b128 s[16:19], s[0:1], 0x58
	;; [unrolled: 1-line block ×3, first 2 shown]
	v_mov_b32_e32 v1, 0
	v_mov_b32_e32 v2, 0
	s_mov_b32 s24, s15
	s_waitcnt lgkmcnt(0)
	s_bitcmp1_b32 s27, 0
	v_mov_b32_e32 v3, s4
	s_cselect_b32 s26, -1, 0
	s_bitcmp1_b32 s27, 16
	v_dual_mov_b32 v6, v2 :: v_dual_mov_b32 v5, v1
	s_cselect_b32 s2, -1, 0
	v_mov_b32_e32 v4, s5
	s_xor_b32 s25, s2, -1
	v_dual_mov_b32 v9, s16 :: v_dual_mov_b32 v10, s17
	v_cndmask_b32_e64 v7, 0, 1, s25
	s_bitcmp0_b32 s27, 0
	s_clause 0x1
	scratch_store_b64 off, v[3:4], off offset:16
	scratch_store_b64 off, v[9:10], off offset:24
	v_cmp_ne_u32_e32 vcc_lo, 1, v7
	v_dual_mov_b32 v8, v2 :: v_dual_mov_b32 v7, v1
	s_cbranch_scc1 .LBB168_3
; %bb.1:
	s_mov_b64 s[8:9], src_private_base
	s_and_b32 s3, s2, exec_lo
	s_cselect_b32 s3, s9, s5
	s_delay_alu instid0(SALU_CYCLE_1) | instskip(SKIP_2) | instid1(VALU_DEP_2)
	v_dual_mov_b32 v3, 16 :: v_dual_mov_b32 v4, s3
	v_dual_mov_b32 v8, s7 :: v_dual_mov_b32 v7, s6
	s_and_b32 vcc_lo, exec_lo, vcc_lo
	v_cndmask_b32_e64 v3, s4, v3, s2
	flat_load_b64 v[5:6], v[3:4]
	s_cbranch_vccnz .LBB168_3
; %bb.2:
	v_dual_mov_b32 v3, s4 :: v_dual_mov_b32 v4, s5
	flat_load_b64 v[7:8], v[3:4] offset:8
.LBB168_3:
	s_clause 0x4
	s_load_b128 s[48:51], s[0:1], 0x88
	s_load_b256 s[36:43], s[0:1], 0x68
	s_load_b128 s[12:15], s[0:1], 0x48
	s_load_b128 s[20:23], s[0:1], 0x8
	s_load_b256 s[4:11], s[0:1], 0x28
	s_bitcmp1_b32 s27, 8
	v_dual_mov_b32 v4, v2 :: v_dual_mov_b32 v3, v1
	s_cselect_b32 s3, -1, 0
	s_bfe_u32 s27, s27, 0x10008
	s_delay_alu instid0(SALU_CYCLE_1)
	s_cmp_eq_u32 s27, 0
	s_cbranch_scc1 .LBB168_6
; %bb.4:
	s_mov_b64 s[28:29], src_private_base
	s_and_b32 s27, s2, exec_lo
	s_cselect_b32 s27, s29, s17
	s_delay_alu instid0(SALU_CYCLE_1) | instskip(SKIP_1) | instid1(VALU_DEP_1)
	v_dual_mov_b32 v1, 24 :: v_dual_mov_b32 v2, s27
	s_and_not1_b32 vcc_lo, exec_lo, s25
	v_cndmask_b32_e64 v1, s16, v1, s2
	flat_load_b64 v[3:4], v[1:2]
	v_dual_mov_b32 v1, s18 :: v_dual_mov_b32 v2, s19
	s_cbranch_vccnz .LBB168_6
; %bb.5:
	v_dual_mov_b32 v1, s16 :: v_dual_mov_b32 v2, s17
	flat_load_b64 v[1:2], v[1:2] offset:8
.LBB168_6:
	s_load_b64 s[34:35], s[0:1], 0x0
	s_mov_b32 s0, 0
	v_or_b32_e32 v27, 0xfffffc00, v0
	v_lshl_add_u32 v28, v0, 3, 0
	s_mov_b32 s1, s0
	s_delay_alu instid0(SALU_CYCLE_1)
	v_dual_mov_b32 v10, s1 :: v_dual_lshlrev_b32 v29, 4, v0
	s_mov_b32 s16, s0
	s_mov_b32 s17, s0
	v_dual_mov_b32 v11, s16 :: v_dual_mov_b32 v16, v28
	v_dual_mov_b32 v9, s0 :: v_dual_mov_b32 v12, s17
	v_add3_u32 v15, v29, 0, 0x20008
	v_mov_b32_e32 v17, v27
	s_waitcnt lgkmcnt(0)
	v_dual_mov_b32 v13, s34 :: v_dual_mov_b32 v14, s35
.LBB168_7:                              ; =>This Inner Loop Header: Depth=1
	s_delay_alu instid0(VALU_DEP_2)
	v_add_nc_u32_e32 v17, 0x400, v17
	ds_store_b64 v16, v[13:14]
	v_add_nc_u32_e32 v18, -8, v15
	v_add_nc_u32_e32 v15, 0x4000, v15
	v_add_nc_u32_e32 v16, 0x2000, v16
	v_cmp_lt_u32_e32 vcc_lo, 0x3bff, v17
	ds_store_2addr_b64 v18, v[9:10], v[11:12] offset1:1
	s_or_b32 s0, vcc_lo, s0
	s_delay_alu instid0(SALU_CYCLE_1)
	s_and_not1_b32 exec_lo, exec_lo, s0
	s_cbranch_execnz .LBB168_7
; %bb.8:
	s_or_b32 exec_lo, exec_lo, s0
	s_waitcnt vmcnt(0) lgkmcnt(0)
	s_waitcnt_vscnt null, 0x0
	s_barrier
	buffer_gl0_inv
	s_load_b64 s[0:1], s[20:21], 0x0
	s_mov_b32 s25, 0
	s_waitcnt lgkmcnt(0)
	s_lshl_b64 s[0:1], s[0:1], 3
	s_delay_alu instid0(SALU_CYCLE_1) | instskip(SKIP_2) | instid1(SALU_CYCLE_1)
	s_add_u32 s2, s22, s0
	s_addc_u32 s16, s23, s1
	s_lshl_b64 s[0:1], s[24:25], 3
	s_add_u32 s0, s2, s0
	s_addc_u32 s1, s16, s1
	s_and_b32 vcc_lo, exec_lo, s26
	s_load_b64 s[52:53], s[0:1], 0x0
	s_cbranch_vccz .LBB168_36
; %bb.9:
	s_waitcnt lgkmcnt(0)
	s_lshl_b64 s[0:1], s[52:53], 3
	v_lshrrev_b32_e32 v9, 6, v0
	s_add_u32 s0, s4, s0
	s_addc_u32 s1, s5, s1
	s_mov_b32 s2, exec_lo
	s_load_b128 s[16:19], s[0:1], 0x0
	v_sub_co_u32 v9, s0, v9, s44
	s_delay_alu instid0(VALU_DEP_1) | instskip(SKIP_1) | instid1(VALU_DEP_2)
	v_sub_co_ci_u32_e64 v10, null, 0, 0, s0
	s_waitcnt lgkmcnt(0)
	v_add_co_u32 v9, vcc_lo, s16, v9
	s_delay_alu instid0(VALU_DEP_2)
	v_add_co_ci_u32_e32 v10, vcc_lo, s17, v10, vcc_lo
	s_sub_u32 s0, s18, s44
	s_subb_u32 s1, s19, 0
	s_delay_alu instid0(VALU_DEP_1) | instid1(SALU_CYCLE_1)
	v_cmpx_gt_i64_e64 s[0:1], v[9:10]
	s_cbranch_execz .LBB168_35
; %bb.10:
	v_and_b32_e32 v11, 63, v0
	s_mov_b32 s5, s45
	s_delay_alu instid0(VALU_DEP_1) | instskip(NEXT) | instid1(VALU_DEP_1)
	v_sub_co_u32 v30, s4, v11, s45
	v_sub_co_ci_u32_e64 v31, null, 0, 0, s4
	s_mov_b32 s4, 0
	s_branch .LBB168_12
.LBB168_11:                             ;   in Loop: Header=BB168_12 Depth=1
	s_or_b32 exec_lo, exec_lo, s16
	v_add_co_u32 v9, vcc_lo, v9, 16
	v_add_co_ci_u32_e32 v10, vcc_lo, 0, v10, vcc_lo
	s_delay_alu instid0(VALU_DEP_1) | instskip(SKIP_1) | instid1(SALU_CYCLE_1)
	v_cmp_le_i64_e32 vcc_lo, s[0:1], v[9:10]
	s_or_b32 s4, vcc_lo, s4
	s_and_not1_b32 exec_lo, exec_lo, s4
	s_cbranch_execz .LBB168_35
.LBB168_12:                             ; =>This Loop Header: Depth=1
                                        ;     Child Loop BB168_15 Depth 2
                                        ;       Child Loop BB168_17 Depth 3
                                        ;         Child Loop BB168_23 Depth 4
                                        ;         Child Loop BB168_25 Depth 4
	;; [unrolled: 1-line block ×4, first 2 shown]
	v_lshlrev_b64 v[11:12], 3, v[9:10]
	s_mov_b32 s16, exec_lo
	s_delay_alu instid0(VALU_DEP_1) | instskip(NEXT) | instid1(VALU_DEP_2)
	v_add_co_u32 v11, vcc_lo, s6, v11
	v_add_co_ci_u32_e32 v12, vcc_lo, s7, v12, vcc_lo
	global_load_b64 v[11:12], v[11:12], off
	s_waitcnt vmcnt(0)
	v_sub_co_u32 v11, vcc_lo, v11, s44
	v_subrev_co_ci_u32_e32 v12, vcc_lo, 0, v12, vcc_lo
	s_delay_alu instid0(VALU_DEP_1) | instskip(NEXT) | instid1(VALU_DEP_1)
	v_lshlrev_b64 v[11:12], 3, v[11:12]
	v_add_co_u32 v11, vcc_lo, s10, v11
	s_delay_alu instid0(VALU_DEP_2)
	v_add_co_ci_u32_e32 v12, vcc_lo, s11, v12, vcc_lo
	global_load_b128 v[13:16], v[11:12], off
	s_waitcnt vmcnt(0)
	v_sub_co_u32 v11, vcc_lo, v15, s5
	v_subrev_co_ci_u32_e32 v12, vcc_lo, 0, v16, vcc_lo
	v_add_co_u32 v13, vcc_lo, v13, v30
	v_add_co_ci_u32_e32 v14, vcc_lo, v14, v31, vcc_lo
	s_delay_alu instid0(VALU_DEP_1)
	v_cmpx_lt_i64_e64 v[13:14], v[11:12]
	s_cbranch_execz .LBB168_11
; %bb.13:                               ;   in Loop: Header=BB168_12 Depth=1
	v_lshlrev_b64 v[15:16], 4, v[9:10]
	s_mov_b32 s17, 0
	s_delay_alu instid0(VALU_DEP_1) | instskip(NEXT) | instid1(VALU_DEP_2)
	v_add_co_u32 v15, vcc_lo, s8, v15
	v_add_co_ci_u32_e32 v16, vcc_lo, s9, v16, vcc_lo
	global_load_b128 v[17:20], v[15:16], off
	s_waitcnt vmcnt(0)
	v_mul_f64 v[15:16], v[19:20], -v[7:8]
	v_mul_f64 v[19:20], v[5:6], v[19:20]
	s_delay_alu instid0(VALU_DEP_2) | instskip(NEXT) | instid1(VALU_DEP_2)
	v_fma_f64 v[15:16], v[5:6], v[17:18], v[15:16]
	v_fma_f64 v[17:18], v[7:8], v[17:18], v[19:20]
	s_branch .LBB168_15
.LBB168_14:                             ;   in Loop: Header=BB168_15 Depth=2
	s_or_b32 exec_lo, exec_lo, s18
	v_add_co_u32 v13, vcc_lo, v13, 64
	v_add_co_ci_u32_e32 v14, vcc_lo, 0, v14, vcc_lo
	s_delay_alu instid0(VALU_DEP_1) | instskip(SKIP_1) | instid1(SALU_CYCLE_1)
	v_cmp_ge_i64_e32 vcc_lo, v[13:14], v[11:12]
	s_or_b32 s17, vcc_lo, s17
	s_and_not1_b32 exec_lo, exec_lo, s17
	s_cbranch_execz .LBB168_11
.LBB168_15:                             ;   Parent Loop BB168_12 Depth=1
                                        ; =>  This Loop Header: Depth=2
                                        ;       Child Loop BB168_17 Depth 3
                                        ;         Child Loop BB168_23 Depth 4
                                        ;         Child Loop BB168_25 Depth 4
	;; [unrolled: 1-line block ×4, first 2 shown]
	v_lshlrev_b64 v[19:20], 4, v[13:14]
	s_mov_b32 s18, 0
	s_delay_alu instid0(VALU_DEP_1) | instskip(NEXT) | instid1(VALU_DEP_2)
	v_add_co_u32 v19, vcc_lo, s14, v19
	v_add_co_ci_u32_e32 v20, vcc_lo, s15, v20, vcc_lo
	global_load_b128 v[21:24], v[19:20], off
	v_lshlrev_b64 v[19:20], 3, v[13:14]
	s_delay_alu instid0(VALU_DEP_1) | instskip(NEXT) | instid1(VALU_DEP_2)
	v_add_co_u32 v19, vcc_lo, s12, v19
	v_add_co_ci_u32_e32 v20, vcc_lo, s13, v20, vcc_lo
	global_load_b64 v[25:26], v[19:20], off
	s_waitcnt vmcnt(1)
	v_mul_f64 v[19:20], v[23:24], -v[17:18]
	v_mul_f64 v[23:24], v[15:16], v[23:24]
	s_delay_alu instid0(VALU_DEP_2) | instskip(NEXT) | instid1(VALU_DEP_2)
	v_fma_f64 v[19:20], v[15:16], v[21:22], v[19:20]
	v_fma_f64 v[21:22], v[17:18], v[21:22], v[23:24]
	s_waitcnt vmcnt(0)
	v_sub_co_u32 v23, vcc_lo, v25, s5
	v_subrev_co_ci_u32_e32 v24, vcc_lo, 0, v26, vcc_lo
	s_delay_alu instid0(VALU_DEP_2) | instskip(NEXT) | instid1(VALU_DEP_1)
	v_mul_lo_u32 v25, 0x89, v23
	v_and_b32_e32 v32, 0x3fff, v25
	s_branch .LBB168_17
.LBB168_16:                             ;   in Loop: Header=BB168_17 Depth=3
	s_or_b32 exec_lo, exec_lo, s19
	s_xor_b32 s19, s20, -1
	s_delay_alu instid0(SALU_CYCLE_1) | instskip(NEXT) | instid1(SALU_CYCLE_1)
	s_and_b32 s19, exec_lo, s19
	s_or_b32 s18, s19, s18
	s_delay_alu instid0(SALU_CYCLE_1)
	s_and_not1_b32 exec_lo, exec_lo, s18
	s_cbranch_execz .LBB168_14
.LBB168_17:                             ;   Parent Loop BB168_12 Depth=1
                                        ;     Parent Loop BB168_15 Depth=2
                                        ; =>    This Loop Header: Depth=3
                                        ;         Child Loop BB168_23 Depth 4
                                        ;         Child Loop BB168_25 Depth 4
	;; [unrolled: 1-line block ×4, first 2 shown]
	s_delay_alu instid0(VALU_DEP_1)
	v_lshl_add_u32 v33, v32, 3, 0
	s_mov_b32 s19, exec_lo
                                        ; implicit-def: $sgpr20
	ds_load_b64 v[25:26], v33
	s_waitcnt lgkmcnt(0)
	v_cmpx_ne_u64_e64 v[25:26], v[23:24]
	s_xor_b32 s19, exec_lo, s19
	s_cbranch_execz .LBB168_29
; %bb.18:                               ;   in Loop: Header=BB168_17 Depth=3
	s_mov_b32 s21, exec_lo
                                        ; implicit-def: $sgpr20
	v_cmpx_ne_u64_e64 s[34:35], v[25:26]
	s_xor_b32 s21, exec_lo, s21
; %bb.19:                               ;   in Loop: Header=BB168_17 Depth=3
	v_add_nc_u32_e32 v25, 1, v32
	s_mov_b32 s20, -1
                                        ; implicit-def: $vgpr33
	s_delay_alu instid0(VALU_DEP_1)
	v_and_b32_e32 v32, 0x3fff, v25
; %bb.20:                               ;   in Loop: Header=BB168_17 Depth=3
	s_and_not1_saveexec_b32 s21, s21
	s_cbranch_execz .LBB168_28
; %bb.21:                               ;   in Loop: Header=BB168_17 Depth=3
	v_dual_mov_b32 v25, s34 :: v_dual_mov_b32 v26, s35
	s_mov_b32 s23, -1
	s_mov_b32 s22, exec_lo
	ds_cmpstore_rtn_b64 v[25:26], v33, v[23:24], v[25:26]
	s_waitcnt lgkmcnt(0)
	v_cmpx_eq_u64_e64 s[34:35], v[25:26]
	s_cbranch_execz .LBB168_27
; %bb.22:                               ;   in Loop: Header=BB168_17 Depth=3
	v_lshlrev_b32_e32 v25, 4, v32
	s_mov_b32 s23, 0
	s_delay_alu instid0(VALU_DEP_1)
	v_add3_u32 v33, 0, v25, 0x20000
	ds_load_b64 v[25:26], v33
.LBB168_23:                             ;   Parent Loop BB168_12 Depth=1
                                        ;     Parent Loop BB168_15 Depth=2
                                        ;       Parent Loop BB168_17 Depth=3
                                        ; =>      This Inner Loop Header: Depth=4
	s_waitcnt lgkmcnt(0)
	v_add_f64 v[34:35], v[25:26], v[19:20]
	ds_cmpstore_rtn_b64 v[34:35], v33, v[34:35], v[25:26]
	s_waitcnt lgkmcnt(0)
	v_cmp_eq_u64_e32 vcc_lo, v[34:35], v[25:26]
	v_dual_mov_b32 v25, v34 :: v_dual_mov_b32 v26, v35
	s_or_b32 s23, vcc_lo, s23
	s_delay_alu instid0(SALU_CYCLE_1)
	s_and_not1_b32 exec_lo, exec_lo, s23
	s_cbranch_execnz .LBB168_23
; %bb.24:                               ;   in Loop: Header=BB168_17 Depth=3
	s_or_b32 exec_lo, exec_lo, s23
	ds_load_b64 v[25:26], v33 offset:8
	s_mov_b32 s23, 0
.LBB168_25:                             ;   Parent Loop BB168_12 Depth=1
                                        ;     Parent Loop BB168_15 Depth=2
                                        ;       Parent Loop BB168_17 Depth=3
                                        ; =>      This Inner Loop Header: Depth=4
	s_waitcnt lgkmcnt(0)
	v_add_f64 v[34:35], v[25:26], v[21:22]
	ds_cmpstore_rtn_b64 v[34:35], v33, v[34:35], v[25:26] offset:8
	s_waitcnt lgkmcnt(0)
	v_cmp_eq_u64_e32 vcc_lo, v[34:35], v[25:26]
	v_dual_mov_b32 v25, v34 :: v_dual_mov_b32 v26, v35
	s_or_b32 s23, vcc_lo, s23
	s_delay_alu instid0(SALU_CYCLE_1)
	s_and_not1_b32 exec_lo, exec_lo, s23
	s_cbranch_execnz .LBB168_25
; %bb.26:                               ;   in Loop: Header=BB168_17 Depth=3
	s_or_b32 exec_lo, exec_lo, s23
	s_delay_alu instid0(SALU_CYCLE_1)
	s_xor_b32 s23, exec_lo, -1
.LBB168_27:                             ;   in Loop: Header=BB168_17 Depth=3
	s_or_b32 exec_lo, exec_lo, s22
	s_delay_alu instid0(SALU_CYCLE_1) | instskip(SKIP_1) | instid1(SALU_CYCLE_1)
	s_and_not1_b32 s20, s20, exec_lo
	s_and_b32 s22, s23, exec_lo
	s_or_b32 s20, s20, s22
.LBB168_28:                             ;   in Loop: Header=BB168_17 Depth=3
	s_or_b32 exec_lo, exec_lo, s21
	s_delay_alu instid0(SALU_CYCLE_1)
	s_and_b32 s20, s20, exec_lo
.LBB168_29:                             ;   in Loop: Header=BB168_17 Depth=3
	s_and_not1_saveexec_b32 s19, s19
	s_cbranch_execz .LBB168_16
; %bb.30:                               ;   in Loop: Header=BB168_17 Depth=3
	v_lshlrev_b32_e32 v25, 4, v32
	s_mov_b32 s21, 0
	s_delay_alu instid0(VALU_DEP_1)
	v_add3_u32 v33, 0, v25, 0x20000
	ds_load_b64 v[25:26], v33
.LBB168_31:                             ;   Parent Loop BB168_12 Depth=1
                                        ;     Parent Loop BB168_15 Depth=2
                                        ;       Parent Loop BB168_17 Depth=3
                                        ; =>      This Inner Loop Header: Depth=4
	s_waitcnt lgkmcnt(0)
	v_add_f64 v[34:35], v[25:26], v[19:20]
	ds_cmpstore_rtn_b64 v[34:35], v33, v[34:35], v[25:26]
	s_waitcnt lgkmcnt(0)
	v_cmp_eq_u64_e32 vcc_lo, v[34:35], v[25:26]
	v_dual_mov_b32 v25, v34 :: v_dual_mov_b32 v26, v35
	s_or_b32 s21, vcc_lo, s21
	s_delay_alu instid0(SALU_CYCLE_1)
	s_and_not1_b32 exec_lo, exec_lo, s21
	s_cbranch_execnz .LBB168_31
; %bb.32:                               ;   in Loop: Header=BB168_17 Depth=3
	s_or_b32 exec_lo, exec_lo, s21
	ds_load_b64 v[25:26], v33 offset:8
	s_mov_b32 s21, 0
.LBB168_33:                             ;   Parent Loop BB168_12 Depth=1
                                        ;     Parent Loop BB168_15 Depth=2
                                        ;       Parent Loop BB168_17 Depth=3
                                        ; =>      This Inner Loop Header: Depth=4
	s_waitcnt lgkmcnt(0)
	v_add_f64 v[34:35], v[25:26], v[21:22]
	ds_cmpstore_rtn_b64 v[34:35], v33, v[34:35], v[25:26] offset:8
	s_waitcnt lgkmcnt(0)
	v_cmp_eq_u64_e32 vcc_lo, v[34:35], v[25:26]
	v_dual_mov_b32 v25, v34 :: v_dual_mov_b32 v26, v35
	s_or_b32 s21, vcc_lo, s21
	s_delay_alu instid0(SALU_CYCLE_1)
	s_and_not1_b32 exec_lo, exec_lo, s21
	s_cbranch_execnz .LBB168_33
; %bb.34:                               ;   in Loop: Header=BB168_17 Depth=3
	s_or_b32 exec_lo, exec_lo, s21
	s_delay_alu instid0(SALU_CYCLE_1)
	s_and_not1_b32 s20, s20, exec_lo
	s_branch .LBB168_16
.LBB168_35:
	s_or_b32 exec_lo, exec_lo, s2
.LBB168_36:
	s_delay_alu instid0(SALU_CYCLE_1)
	s_and_not1_b32 vcc_lo, exec_lo, s3
	s_cbranch_vccnz .LBB168_61
; %bb.37:
	s_waitcnt lgkmcnt(0)
	s_lshl_b64 s[0:1], s[52:53], 3
	v_sub_co_u32 v5, s4, v0, s47
	s_add_u32 s0, s36, s0
	s_addc_u32 s1, s37, s1
	v_sub_co_ci_u32_e64 v6, null, 0, 0, s4
	s_load_b128 s[0:3], s[0:1], 0x0
	s_waitcnt lgkmcnt(0)
	v_add_co_u32 v5, vcc_lo, s0, v5
	s_delay_alu instid0(VALU_DEP_2)
	v_add_co_ci_u32_e32 v6, vcc_lo, s1, v6, vcc_lo
	s_sub_u32 s0, s2, s47
	s_subb_u32 s1, s3, 0
	s_mov_b32 s2, 0
	s_mov_b32 s3, exec_lo
	v_cmpx_gt_i64_e64 s[0:1], v[5:6]
	s_cbranch_execz .LBB168_60
; %bb.38:
	s_mov_b32 s4, s47
	s_branch .LBB168_40
.LBB168_39:                             ;   in Loop: Header=BB168_40 Depth=1
	s_or_b32 exec_lo, exec_lo, s5
	v_add_co_u32 v5, vcc_lo, 0x400, v5
	v_add_co_ci_u32_e32 v6, vcc_lo, 0, v6, vcc_lo
	s_delay_alu instid0(VALU_DEP_1) | instskip(SKIP_1) | instid1(SALU_CYCLE_1)
	v_cmp_le_i64_e32 vcc_lo, s[0:1], v[5:6]
	s_or_b32 s2, vcc_lo, s2
	s_and_not1_b32 exec_lo, exec_lo, s2
	s_cbranch_execz .LBB168_60
.LBB168_40:                             ; =>This Loop Header: Depth=1
                                        ;     Child Loop BB168_42 Depth 2
                                        ;       Child Loop BB168_48 Depth 3
                                        ;       Child Loop BB168_50 Depth 3
	;; [unrolled: 1-line block ×4, first 2 shown]
	v_lshlrev_b64 v[7:8], 4, v[5:6]
	s_mov_b32 s5, 0
	s_delay_alu instid0(VALU_DEP_1) | instskip(NEXT) | instid1(VALU_DEP_2)
	v_add_co_u32 v7, vcc_lo, s40, v7
	v_add_co_ci_u32_e32 v8, vcc_lo, s41, v8, vcc_lo
	global_load_b128 v[9:12], v[7:8], off
	v_lshlrev_b64 v[7:8], 3, v[5:6]
	s_delay_alu instid0(VALU_DEP_1) | instskip(NEXT) | instid1(VALU_DEP_2)
	v_add_co_u32 v7, vcc_lo, s38, v7
	v_add_co_ci_u32_e32 v8, vcc_lo, s39, v8, vcc_lo
	global_load_b64 v[13:14], v[7:8], off
	s_waitcnt vmcnt(1)
	v_mul_f64 v[7:8], v[11:12], -v[1:2]
	v_mul_f64 v[11:12], v[3:4], v[11:12]
	s_delay_alu instid0(VALU_DEP_2) | instskip(NEXT) | instid1(VALU_DEP_2)
	v_fma_f64 v[7:8], v[3:4], v[9:10], v[7:8]
	v_fma_f64 v[9:10], v[1:2], v[9:10], v[11:12]
	s_waitcnt vmcnt(0)
	v_sub_co_u32 v11, vcc_lo, v13, s4
	v_subrev_co_ci_u32_e32 v12, vcc_lo, 0, v14, vcc_lo
	s_delay_alu instid0(VALU_DEP_2) | instskip(NEXT) | instid1(VALU_DEP_1)
	v_mul_lo_u32 v13, 0x89, v11
	v_and_b32_e32 v15, 0x3fff, v13
	s_branch .LBB168_42
.LBB168_41:                             ;   in Loop: Header=BB168_42 Depth=2
	s_or_b32 exec_lo, exec_lo, s6
	s_xor_b32 s6, s7, -1
	s_delay_alu instid0(SALU_CYCLE_1) | instskip(NEXT) | instid1(SALU_CYCLE_1)
	s_and_b32 s6, exec_lo, s6
	s_or_b32 s5, s6, s5
	s_delay_alu instid0(SALU_CYCLE_1)
	s_and_not1_b32 exec_lo, exec_lo, s5
	s_cbranch_execz .LBB168_39
.LBB168_42:                             ;   Parent Loop BB168_40 Depth=1
                                        ; =>  This Loop Header: Depth=2
                                        ;       Child Loop BB168_48 Depth 3
                                        ;       Child Loop BB168_50 Depth 3
	;; [unrolled: 1-line block ×4, first 2 shown]
	s_delay_alu instid0(VALU_DEP_1)
	v_lshl_add_u32 v16, v15, 3, 0
	s_mov_b32 s6, exec_lo
                                        ; implicit-def: $sgpr7
	ds_load_b64 v[13:14], v16
	s_waitcnt lgkmcnt(0)
	v_cmpx_ne_u64_e64 v[13:14], v[11:12]
	s_xor_b32 s6, exec_lo, s6
	s_cbranch_execz .LBB168_54
; %bb.43:                               ;   in Loop: Header=BB168_42 Depth=2
	s_mov_b32 s8, exec_lo
                                        ; implicit-def: $sgpr7
	v_cmpx_ne_u64_e64 s[34:35], v[13:14]
	s_xor_b32 s8, exec_lo, s8
; %bb.44:                               ;   in Loop: Header=BB168_42 Depth=2
	v_add_nc_u32_e32 v13, 1, v15
	s_mov_b32 s7, -1
                                        ; implicit-def: $vgpr16
	s_delay_alu instid0(VALU_DEP_1)
	v_and_b32_e32 v15, 0x3fff, v13
; %bb.45:                               ;   in Loop: Header=BB168_42 Depth=2
	s_and_not1_saveexec_b32 s8, s8
	s_cbranch_execz .LBB168_53
; %bb.46:                               ;   in Loop: Header=BB168_42 Depth=2
	v_dual_mov_b32 v13, s34 :: v_dual_mov_b32 v14, s35
	s_mov_b32 s10, -1
	s_mov_b32 s9, exec_lo
	ds_cmpstore_rtn_b64 v[13:14], v16, v[11:12], v[13:14]
	s_waitcnt lgkmcnt(0)
	v_cmpx_eq_u64_e64 s[34:35], v[13:14]
	s_cbranch_execz .LBB168_52
; %bb.47:                               ;   in Loop: Header=BB168_42 Depth=2
	v_lshlrev_b32_e32 v13, 4, v15
	s_mov_b32 s10, 0
	s_delay_alu instid0(VALU_DEP_1)
	v_add3_u32 v16, 0, v13, 0x20000
	ds_load_b64 v[13:14], v16
.LBB168_48:                             ;   Parent Loop BB168_40 Depth=1
                                        ;     Parent Loop BB168_42 Depth=2
                                        ; =>    This Inner Loop Header: Depth=3
	s_waitcnt lgkmcnt(0)
	v_add_f64 v[17:18], v[13:14], v[7:8]
	ds_cmpstore_rtn_b64 v[17:18], v16, v[17:18], v[13:14]
	s_waitcnt lgkmcnt(0)
	v_cmp_eq_u64_e32 vcc_lo, v[17:18], v[13:14]
	v_dual_mov_b32 v13, v17 :: v_dual_mov_b32 v14, v18
	s_or_b32 s10, vcc_lo, s10
	s_delay_alu instid0(SALU_CYCLE_1)
	s_and_not1_b32 exec_lo, exec_lo, s10
	s_cbranch_execnz .LBB168_48
; %bb.49:                               ;   in Loop: Header=BB168_42 Depth=2
	s_or_b32 exec_lo, exec_lo, s10
	ds_load_b64 v[13:14], v16 offset:8
	s_mov_b32 s10, 0
.LBB168_50:                             ;   Parent Loop BB168_40 Depth=1
                                        ;     Parent Loop BB168_42 Depth=2
                                        ; =>    This Inner Loop Header: Depth=3
	s_waitcnt lgkmcnt(0)
	v_add_f64 v[17:18], v[13:14], v[9:10]
	ds_cmpstore_rtn_b64 v[17:18], v16, v[17:18], v[13:14] offset:8
	s_waitcnt lgkmcnt(0)
	v_cmp_eq_u64_e32 vcc_lo, v[17:18], v[13:14]
	v_dual_mov_b32 v13, v17 :: v_dual_mov_b32 v14, v18
	s_or_b32 s10, vcc_lo, s10
	s_delay_alu instid0(SALU_CYCLE_1)
	s_and_not1_b32 exec_lo, exec_lo, s10
	s_cbranch_execnz .LBB168_50
; %bb.51:                               ;   in Loop: Header=BB168_42 Depth=2
	s_or_b32 exec_lo, exec_lo, s10
	s_delay_alu instid0(SALU_CYCLE_1)
	s_xor_b32 s10, exec_lo, -1
.LBB168_52:                             ;   in Loop: Header=BB168_42 Depth=2
	s_or_b32 exec_lo, exec_lo, s9
	s_delay_alu instid0(SALU_CYCLE_1) | instskip(SKIP_1) | instid1(SALU_CYCLE_1)
	s_and_not1_b32 s7, s7, exec_lo
	s_and_b32 s9, s10, exec_lo
	s_or_b32 s7, s7, s9
.LBB168_53:                             ;   in Loop: Header=BB168_42 Depth=2
	s_or_b32 exec_lo, exec_lo, s8
	s_delay_alu instid0(SALU_CYCLE_1)
	s_and_b32 s7, s7, exec_lo
.LBB168_54:                             ;   in Loop: Header=BB168_42 Depth=2
	s_and_not1_saveexec_b32 s6, s6
	s_cbranch_execz .LBB168_41
; %bb.55:                               ;   in Loop: Header=BB168_42 Depth=2
	v_lshlrev_b32_e32 v13, 4, v15
	s_mov_b32 s8, 0
	s_delay_alu instid0(VALU_DEP_1)
	v_add3_u32 v16, 0, v13, 0x20000
	ds_load_b64 v[13:14], v16
.LBB168_56:                             ;   Parent Loop BB168_40 Depth=1
                                        ;     Parent Loop BB168_42 Depth=2
                                        ; =>    This Inner Loop Header: Depth=3
	s_waitcnt lgkmcnt(0)
	v_add_f64 v[17:18], v[13:14], v[7:8]
	ds_cmpstore_rtn_b64 v[17:18], v16, v[17:18], v[13:14]
	s_waitcnt lgkmcnt(0)
	v_cmp_eq_u64_e32 vcc_lo, v[17:18], v[13:14]
	v_dual_mov_b32 v13, v17 :: v_dual_mov_b32 v14, v18
	s_or_b32 s8, vcc_lo, s8
	s_delay_alu instid0(SALU_CYCLE_1)
	s_and_not1_b32 exec_lo, exec_lo, s8
	s_cbranch_execnz .LBB168_56
; %bb.57:                               ;   in Loop: Header=BB168_42 Depth=2
	s_or_b32 exec_lo, exec_lo, s8
	ds_load_b64 v[13:14], v16 offset:8
	s_mov_b32 s8, 0
.LBB168_58:                             ;   Parent Loop BB168_40 Depth=1
                                        ;     Parent Loop BB168_42 Depth=2
                                        ; =>    This Inner Loop Header: Depth=3
	s_waitcnt lgkmcnt(0)
	v_add_f64 v[17:18], v[13:14], v[9:10]
	ds_cmpstore_rtn_b64 v[17:18], v16, v[17:18], v[13:14] offset:8
	s_waitcnt lgkmcnt(0)
	v_cmp_eq_u64_e32 vcc_lo, v[17:18], v[13:14]
	v_dual_mov_b32 v13, v17 :: v_dual_mov_b32 v14, v18
	s_or_b32 s8, vcc_lo, s8
	s_delay_alu instid0(SALU_CYCLE_1)
	s_and_not1_b32 exec_lo, exec_lo, s8
	s_cbranch_execnz .LBB168_58
; %bb.59:                               ;   in Loop: Header=BB168_42 Depth=2
	s_or_b32 exec_lo, exec_lo, s8
	s_delay_alu instid0(SALU_CYCLE_1)
	s_and_not1_b32 s7, s7, exec_lo
	s_branch .LBB168_41
.LBB168_60:
	s_or_b32 exec_lo, exec_lo, s3
.LBB168_61:
	v_mbcnt_lo_u32_b32 v1, -1, 0
	v_lshrrev_b32_e32 v2, 2, v0
	s_add_i32 s73, 0, 0x600f8
	v_cmp_eq_u32_e32 vcc_lo, 0x3ff, v0
	v_cmp_lt_u32_e64 s0, 31, v0
	v_xor_b32_e32 v1, 63, v1
	v_dual_mov_b32 v12, s73 :: v_dual_and_b32 v3, 0xf8, v2
	v_cmp_lt_u32_e64 s1, 63, v0
	v_cmp_lt_u32_e64 s2, 0x5f, v0
	s_delay_alu instid0(VALU_DEP_4) | instskip(NEXT) | instid1(VALU_DEP_4)
	v_lshrrev_b64 v[1:2], v1, -1
	v_add3_u32 v10, 0, 0x60000, v3
	v_dual_mov_b32 v2, 0 :: v_dual_mov_b32 v5, 0
	v_cmp_lt_u32_e64 s3, 0x7f, v0
	v_cmp_lt_u32_e64 s4, 0x9f, v0
	;; [unrolled: 1-line block ×28, first 2 shown]
	v_add3_u32 v11, v29, 0, 0x20000
	v_mov_b32_e32 v3, 0
	s_mov_b32 s36, 0
	s_add_i32 s37, 0, 0x60000
	s_add_i32 s38, 0, 0x60008
	;; [unrolled: 1-line block ×31, first 2 shown]
	s_waitcnt lgkmcnt(0)
	s_barrier
	buffer_gl0_inv
	s_branch .LBB168_63
.LBB168_62:                             ;   in Loop: Header=BB168_63 Depth=1
	s_or_b32 exec_lo, exec_lo, s31
	s_waitcnt lgkmcnt(0)
	s_barrier
	buffer_gl0_inv
	ds_load_b64 v[6:7], v12
	v_add_nc_u32_e32 v27, 0x400, v27
	v_add_nc_u32_e32 v11, 0x4000, v11
	;; [unrolled: 1-line block ×3, first 2 shown]
	s_delay_alu instid0(VALU_DEP_3) | instskip(NEXT) | instid1(VALU_DEP_1)
	v_cmp_lt_u32_e64 s31, 0x3bff, v27
	s_or_b32 s36, s31, s36
	s_waitcnt lgkmcnt(0)
	v_add_co_u32 v2, s33, v6, v2
	s_delay_alu instid0(VALU_DEP_1)
	v_add_co_ci_u32_e64 v3, s33, v7, v3, s33
	s_and_not1_b32 exec_lo, exec_lo, s36
	s_cbranch_execz .LBB168_129
.LBB168_63:                             ; =>This Inner Loop Header: Depth=1
	ds_load_b64 v[6:7], v28
	ds_load_2addr_b64 v[13:16], v11 offset1:1
	s_waitcnt lgkmcnt(1)
	v_cmp_gt_i64_e64 s31, s[34:35], v[6:7]
	s_waitcnt lgkmcnt(0)
	scratch_store_b128 off, v[13:16], off
	s_waitcnt_vscnt null, 0x0
	s_barrier
	buffer_gl0_inv
	v_and_b32_e32 v8, s31, v1
	s_bcnt1_i32_b32 s33, s31
	s_delay_alu instid0(SALU_CYCLE_1) | instskip(NEXT) | instid1(VALU_DEP_2)
	v_mov_b32_e32 v4, s33
	v_bcnt_u32_b32 v8, v8, 0
	ds_store_b64 v10, v[4:5]
	s_waitcnt lgkmcnt(0)
	s_barrier
	buffer_gl0_inv
	s_and_saveexec_b32 s33, s0
	s_cbranch_execnz .LBB168_96
; %bb.64:                               ;   in Loop: Header=BB168_63 Depth=1
	s_or_b32 exec_lo, exec_lo, s33
	s_and_saveexec_b32 s33, s1
	s_cbranch_execnz .LBB168_97
.LBB168_65:                             ;   in Loop: Header=BB168_63 Depth=1
	s_or_b32 exec_lo, exec_lo, s33
	s_and_saveexec_b32 s33, s2
	s_cbranch_execnz .LBB168_98
.LBB168_66:                             ;   in Loop: Header=BB168_63 Depth=1
	s_or_b32 exec_lo, exec_lo, s33
	s_and_saveexec_b32 s33, s3
	s_cbranch_execnz .LBB168_99
.LBB168_67:                             ;   in Loop: Header=BB168_63 Depth=1
	s_or_b32 exec_lo, exec_lo, s33
	s_and_saveexec_b32 s33, s4
	s_cbranch_execnz .LBB168_100
.LBB168_68:                             ;   in Loop: Header=BB168_63 Depth=1
	s_or_b32 exec_lo, exec_lo, s33
	s_and_saveexec_b32 s33, s5
	s_cbranch_execnz .LBB168_101
.LBB168_69:                             ;   in Loop: Header=BB168_63 Depth=1
	s_or_b32 exec_lo, exec_lo, s33
	s_and_saveexec_b32 s33, s6
	s_cbranch_execnz .LBB168_102
.LBB168_70:                             ;   in Loop: Header=BB168_63 Depth=1
	s_or_b32 exec_lo, exec_lo, s33
	s_and_saveexec_b32 s33, s7
	s_cbranch_execnz .LBB168_103
.LBB168_71:                             ;   in Loop: Header=BB168_63 Depth=1
	s_or_b32 exec_lo, exec_lo, s33
	s_and_saveexec_b32 s33, s8
	s_cbranch_execnz .LBB168_104
.LBB168_72:                             ;   in Loop: Header=BB168_63 Depth=1
	s_or_b32 exec_lo, exec_lo, s33
	s_and_saveexec_b32 s33, s9
	s_cbranch_execnz .LBB168_105
.LBB168_73:                             ;   in Loop: Header=BB168_63 Depth=1
	s_or_b32 exec_lo, exec_lo, s33
	s_and_saveexec_b32 s33, s10
	s_cbranch_execnz .LBB168_106
.LBB168_74:                             ;   in Loop: Header=BB168_63 Depth=1
	s_or_b32 exec_lo, exec_lo, s33
	s_and_saveexec_b32 s33, s11
	s_cbranch_execnz .LBB168_107
.LBB168_75:                             ;   in Loop: Header=BB168_63 Depth=1
	s_or_b32 exec_lo, exec_lo, s33
	s_and_saveexec_b32 s33, s12
	s_cbranch_execnz .LBB168_108
.LBB168_76:                             ;   in Loop: Header=BB168_63 Depth=1
	s_or_b32 exec_lo, exec_lo, s33
	s_and_saveexec_b32 s33, s13
	s_cbranch_execnz .LBB168_109
.LBB168_77:                             ;   in Loop: Header=BB168_63 Depth=1
	s_or_b32 exec_lo, exec_lo, s33
	s_and_saveexec_b32 s33, s14
	s_cbranch_execnz .LBB168_110
.LBB168_78:                             ;   in Loop: Header=BB168_63 Depth=1
	s_or_b32 exec_lo, exec_lo, s33
	s_and_saveexec_b32 s33, s15
	s_cbranch_execnz .LBB168_111
.LBB168_79:                             ;   in Loop: Header=BB168_63 Depth=1
	s_or_b32 exec_lo, exec_lo, s33
	s_and_saveexec_b32 s33, s16
	s_cbranch_execnz .LBB168_112
.LBB168_80:                             ;   in Loop: Header=BB168_63 Depth=1
	s_or_b32 exec_lo, exec_lo, s33
	s_and_saveexec_b32 s33, s17
	s_cbranch_execnz .LBB168_113
.LBB168_81:                             ;   in Loop: Header=BB168_63 Depth=1
	s_or_b32 exec_lo, exec_lo, s33
	s_and_saveexec_b32 s33, s18
	s_cbranch_execnz .LBB168_114
.LBB168_82:                             ;   in Loop: Header=BB168_63 Depth=1
	s_or_b32 exec_lo, exec_lo, s33
	s_and_saveexec_b32 s33, s19
	s_cbranch_execnz .LBB168_115
.LBB168_83:                             ;   in Loop: Header=BB168_63 Depth=1
	s_or_b32 exec_lo, exec_lo, s33
	s_and_saveexec_b32 s33, s20
	s_cbranch_execnz .LBB168_116
.LBB168_84:                             ;   in Loop: Header=BB168_63 Depth=1
	s_or_b32 exec_lo, exec_lo, s33
	s_and_saveexec_b32 s33, s21
	s_cbranch_execnz .LBB168_117
.LBB168_85:                             ;   in Loop: Header=BB168_63 Depth=1
	s_or_b32 exec_lo, exec_lo, s33
	s_and_saveexec_b32 s33, s22
	s_cbranch_execnz .LBB168_118
.LBB168_86:                             ;   in Loop: Header=BB168_63 Depth=1
	s_or_b32 exec_lo, exec_lo, s33
	s_and_saveexec_b32 s33, s23
	s_cbranch_execnz .LBB168_119
.LBB168_87:                             ;   in Loop: Header=BB168_63 Depth=1
	s_or_b32 exec_lo, exec_lo, s33
	s_and_saveexec_b32 s33, s24
	s_cbranch_execnz .LBB168_120
.LBB168_88:                             ;   in Loop: Header=BB168_63 Depth=1
	s_or_b32 exec_lo, exec_lo, s33
	s_and_saveexec_b32 s33, s25
	s_cbranch_execnz .LBB168_121
.LBB168_89:                             ;   in Loop: Header=BB168_63 Depth=1
	s_or_b32 exec_lo, exec_lo, s33
	s_and_saveexec_b32 s33, s26
	s_cbranch_execnz .LBB168_122
.LBB168_90:                             ;   in Loop: Header=BB168_63 Depth=1
	s_or_b32 exec_lo, exec_lo, s33
	s_and_saveexec_b32 s33, s27
	s_cbranch_execnz .LBB168_123
.LBB168_91:                             ;   in Loop: Header=BB168_63 Depth=1
	s_or_b32 exec_lo, exec_lo, s33
	s_and_saveexec_b32 s33, s28
	s_cbranch_execnz .LBB168_124
.LBB168_92:                             ;   in Loop: Header=BB168_63 Depth=1
	s_or_b32 exec_lo, exec_lo, s33
	s_and_saveexec_b32 s33, s29
	s_cbranch_execnz .LBB168_125
.LBB168_93:                             ;   in Loop: Header=BB168_63 Depth=1
	s_or_b32 exec_lo, exec_lo, s33
	s_and_saveexec_b32 s33, s30
	s_cbranch_execnz .LBB168_126
.LBB168_94:                             ;   in Loop: Header=BB168_63 Depth=1
	s_or_b32 exec_lo, exec_lo, s33
	v_ashrrev_i32_e32 v9, 31, v8
	s_and_saveexec_b32 s33, s31
	s_cbranch_execnz .LBB168_127
.LBB168_95:                             ;   in Loop: Header=BB168_63 Depth=1
	s_or_b32 exec_lo, exec_lo, s33
	s_and_saveexec_b32 s31, vcc_lo
	s_cbranch_execz .LBB168_62
	s_branch .LBB168_128
.LBB168_96:                             ;   in Loop: Header=BB168_63 Depth=1
	v_mov_b32_e32 v4, s37
	ds_load_b32 v4, v4
	s_waitcnt lgkmcnt(0)
	v_add_nc_u32_e32 v8, v4, v8
	s_or_b32 exec_lo, exec_lo, s33
	s_and_saveexec_b32 s33, s1
	s_cbranch_execz .LBB168_65
.LBB168_97:                             ;   in Loop: Header=BB168_63 Depth=1
	v_mov_b32_e32 v4, s38
	ds_load_b32 v4, v4
	s_waitcnt lgkmcnt(0)
	v_add_nc_u32_e32 v8, v8, v4
	s_or_b32 exec_lo, exec_lo, s33
	s_and_saveexec_b32 s33, s2
	s_cbranch_execz .LBB168_66
.LBB168_98:                             ;   in Loop: Header=BB168_63 Depth=1
	v_mov_b32_e32 v4, s39
	ds_load_b32 v4, v4
	s_waitcnt lgkmcnt(0)
	v_add_nc_u32_e32 v8, v8, v4
	s_or_b32 exec_lo, exec_lo, s33
	s_and_saveexec_b32 s33, s3
	s_cbranch_execz .LBB168_67
.LBB168_99:                             ;   in Loop: Header=BB168_63 Depth=1
	v_mov_b32_e32 v4, s40
	ds_load_b32 v4, v4
	s_waitcnt lgkmcnt(0)
	v_add_nc_u32_e32 v8, v8, v4
	s_or_b32 exec_lo, exec_lo, s33
	s_and_saveexec_b32 s33, s4
	s_cbranch_execz .LBB168_68
.LBB168_100:                            ;   in Loop: Header=BB168_63 Depth=1
	v_mov_b32_e32 v4, s41
	ds_load_b32 v4, v4
	s_waitcnt lgkmcnt(0)
	v_add_nc_u32_e32 v8, v8, v4
	s_or_b32 exec_lo, exec_lo, s33
	s_and_saveexec_b32 s33, s5
	s_cbranch_execz .LBB168_69
.LBB168_101:                            ;   in Loop: Header=BB168_63 Depth=1
	v_mov_b32_e32 v4, s44
	ds_load_b32 v4, v4
	s_waitcnt lgkmcnt(0)
	v_add_nc_u32_e32 v8, v8, v4
	s_or_b32 exec_lo, exec_lo, s33
	s_and_saveexec_b32 s33, s6
	s_cbranch_execz .LBB168_70
.LBB168_102:                            ;   in Loop: Header=BB168_63 Depth=1
	v_mov_b32_e32 v4, s45
	ds_load_b32 v4, v4
	s_waitcnt lgkmcnt(0)
	v_add_nc_u32_e32 v8, v8, v4
	s_or_b32 exec_lo, exec_lo, s33
	s_and_saveexec_b32 s33, s7
	s_cbranch_execz .LBB168_71
.LBB168_103:                            ;   in Loop: Header=BB168_63 Depth=1
	v_mov_b32_e32 v4, s47
	ds_load_b32 v4, v4
	s_waitcnt lgkmcnt(0)
	v_add_nc_u32_e32 v8, v8, v4
	s_or_b32 exec_lo, exec_lo, s33
	s_and_saveexec_b32 s33, s8
	s_cbranch_execz .LBB168_72
.LBB168_104:                            ;   in Loop: Header=BB168_63 Depth=1
	v_mov_b32_e32 v4, s54
	ds_load_b32 v4, v4
	s_waitcnt lgkmcnt(0)
	v_add_nc_u32_e32 v8, v8, v4
	s_or_b32 exec_lo, exec_lo, s33
	s_and_saveexec_b32 s33, s9
	s_cbranch_execz .LBB168_73
.LBB168_105:                            ;   in Loop: Header=BB168_63 Depth=1
	v_mov_b32_e32 v4, s55
	ds_load_b32 v4, v4
	s_waitcnt lgkmcnt(0)
	v_add_nc_u32_e32 v8, v8, v4
	s_or_b32 exec_lo, exec_lo, s33
	s_and_saveexec_b32 s33, s10
	s_cbranch_execz .LBB168_74
.LBB168_106:                            ;   in Loop: Header=BB168_63 Depth=1
	v_mov_b32_e32 v4, s56
	ds_load_b32 v4, v4
	s_waitcnt lgkmcnt(0)
	v_add_nc_u32_e32 v8, v8, v4
	s_or_b32 exec_lo, exec_lo, s33
	s_and_saveexec_b32 s33, s11
	s_cbranch_execz .LBB168_75
.LBB168_107:                            ;   in Loop: Header=BB168_63 Depth=1
	v_mov_b32_e32 v4, s57
	ds_load_b32 v4, v4
	s_waitcnt lgkmcnt(0)
	v_add_nc_u32_e32 v8, v8, v4
	s_or_b32 exec_lo, exec_lo, s33
	s_and_saveexec_b32 s33, s12
	s_cbranch_execz .LBB168_76
.LBB168_108:                            ;   in Loop: Header=BB168_63 Depth=1
	v_mov_b32_e32 v4, s58
	ds_load_b32 v4, v4
	s_waitcnt lgkmcnt(0)
	v_add_nc_u32_e32 v8, v8, v4
	s_or_b32 exec_lo, exec_lo, s33
	s_and_saveexec_b32 s33, s13
	s_cbranch_execz .LBB168_77
.LBB168_109:                            ;   in Loop: Header=BB168_63 Depth=1
	v_mov_b32_e32 v4, s59
	ds_load_b32 v4, v4
	s_waitcnt lgkmcnt(0)
	v_add_nc_u32_e32 v8, v8, v4
	s_or_b32 exec_lo, exec_lo, s33
	s_and_saveexec_b32 s33, s14
	s_cbranch_execz .LBB168_78
.LBB168_110:                            ;   in Loop: Header=BB168_63 Depth=1
	v_mov_b32_e32 v4, s60
	ds_load_b32 v4, v4
	s_waitcnt lgkmcnt(0)
	v_add_nc_u32_e32 v8, v8, v4
	s_or_b32 exec_lo, exec_lo, s33
	s_and_saveexec_b32 s33, s15
	s_cbranch_execz .LBB168_79
.LBB168_111:                            ;   in Loop: Header=BB168_63 Depth=1
	v_mov_b32_e32 v4, s61
	ds_load_b32 v4, v4
	s_waitcnt lgkmcnt(0)
	v_add_nc_u32_e32 v8, v8, v4
	s_or_b32 exec_lo, exec_lo, s33
	s_and_saveexec_b32 s33, s16
	s_cbranch_execz .LBB168_80
.LBB168_112:                            ;   in Loop: Header=BB168_63 Depth=1
	v_mov_b32_e32 v4, s62
	ds_load_b32 v4, v4
	s_waitcnt lgkmcnt(0)
	v_add_nc_u32_e32 v8, v8, v4
	s_or_b32 exec_lo, exec_lo, s33
	s_and_saveexec_b32 s33, s17
	s_cbranch_execz .LBB168_81
.LBB168_113:                            ;   in Loop: Header=BB168_63 Depth=1
	v_mov_b32_e32 v4, s63
	ds_load_b32 v4, v4
	s_waitcnt lgkmcnt(0)
	v_add_nc_u32_e32 v8, v8, v4
	s_or_b32 exec_lo, exec_lo, s33
	s_and_saveexec_b32 s33, s18
	s_cbranch_execz .LBB168_82
.LBB168_114:                            ;   in Loop: Header=BB168_63 Depth=1
	v_mov_b32_e32 v4, s64
	ds_load_b32 v4, v4
	s_waitcnt lgkmcnt(0)
	v_add_nc_u32_e32 v8, v8, v4
	s_or_b32 exec_lo, exec_lo, s33
	s_and_saveexec_b32 s33, s19
	s_cbranch_execz .LBB168_83
.LBB168_115:                            ;   in Loop: Header=BB168_63 Depth=1
	v_mov_b32_e32 v4, s65
	ds_load_b32 v4, v4
	s_waitcnt lgkmcnt(0)
	v_add_nc_u32_e32 v8, v8, v4
	s_or_b32 exec_lo, exec_lo, s33
	s_and_saveexec_b32 s33, s20
	s_cbranch_execz .LBB168_84
.LBB168_116:                            ;   in Loop: Header=BB168_63 Depth=1
	v_mov_b32_e32 v4, s66
	ds_load_b32 v4, v4
	s_waitcnt lgkmcnt(0)
	v_add_nc_u32_e32 v8, v8, v4
	s_or_b32 exec_lo, exec_lo, s33
	s_and_saveexec_b32 s33, s21
	s_cbranch_execz .LBB168_85
.LBB168_117:                            ;   in Loop: Header=BB168_63 Depth=1
	v_mov_b32_e32 v4, s67
	ds_load_b32 v4, v4
	s_waitcnt lgkmcnt(0)
	v_add_nc_u32_e32 v8, v8, v4
	s_or_b32 exec_lo, exec_lo, s33
	s_and_saveexec_b32 s33, s22
	s_cbranch_execz .LBB168_86
.LBB168_118:                            ;   in Loop: Header=BB168_63 Depth=1
	v_mov_b32_e32 v4, s68
	ds_load_b32 v4, v4
	s_waitcnt lgkmcnt(0)
	v_add_nc_u32_e32 v8, v8, v4
	s_or_b32 exec_lo, exec_lo, s33
	s_and_saveexec_b32 s33, s23
	s_cbranch_execz .LBB168_87
.LBB168_119:                            ;   in Loop: Header=BB168_63 Depth=1
	v_mov_b32_e32 v4, s69
	ds_load_b32 v4, v4
	s_waitcnt lgkmcnt(0)
	v_add_nc_u32_e32 v8, v8, v4
	s_or_b32 exec_lo, exec_lo, s33
	s_and_saveexec_b32 s33, s24
	s_cbranch_execz .LBB168_88
.LBB168_120:                            ;   in Loop: Header=BB168_63 Depth=1
	v_mov_b32_e32 v4, s70
	ds_load_b32 v4, v4
	s_waitcnt lgkmcnt(0)
	v_add_nc_u32_e32 v8, v8, v4
	s_or_b32 exec_lo, exec_lo, s33
	s_and_saveexec_b32 s33, s25
	s_cbranch_execz .LBB168_89
.LBB168_121:                            ;   in Loop: Header=BB168_63 Depth=1
	v_mov_b32_e32 v4, s71
	ds_load_b32 v4, v4
	s_waitcnt lgkmcnt(0)
	v_add_nc_u32_e32 v8, v8, v4
	s_or_b32 exec_lo, exec_lo, s33
	s_and_saveexec_b32 s33, s26
	s_cbranch_execz .LBB168_90
.LBB168_122:                            ;   in Loop: Header=BB168_63 Depth=1
	v_mov_b32_e32 v4, s72
	ds_load_b32 v4, v4
	s_waitcnt lgkmcnt(0)
	v_add_nc_u32_e32 v8, v8, v4
	s_or_b32 exec_lo, exec_lo, s33
	s_and_saveexec_b32 s33, s27
	s_cbranch_execz .LBB168_91
.LBB168_123:                            ;   in Loop: Header=BB168_63 Depth=1
	v_mov_b32_e32 v4, s74
	ds_load_b32 v4, v4
	s_waitcnt lgkmcnt(0)
	v_add_nc_u32_e32 v8, v8, v4
	s_or_b32 exec_lo, exec_lo, s33
	s_and_saveexec_b32 s33, s28
	s_cbranch_execz .LBB168_92
.LBB168_124:                            ;   in Loop: Header=BB168_63 Depth=1
	v_mov_b32_e32 v4, s75
	ds_load_b32 v4, v4
	s_waitcnt lgkmcnt(0)
	v_add_nc_u32_e32 v8, v8, v4
	s_or_b32 exec_lo, exec_lo, s33
	s_and_saveexec_b32 s33, s29
	s_cbranch_execz .LBB168_93
.LBB168_125:                            ;   in Loop: Header=BB168_63 Depth=1
	v_mov_b32_e32 v4, s76
	ds_load_b32 v4, v4
	s_waitcnt lgkmcnt(0)
	v_add_nc_u32_e32 v8, v8, v4
	s_or_b32 exec_lo, exec_lo, s33
	s_and_saveexec_b32 s33, s30
	s_cbranch_execz .LBB168_94
.LBB168_126:                            ;   in Loop: Header=BB168_63 Depth=1
	v_mov_b32_e32 v4, s77
	ds_load_b32 v4, v4
	s_waitcnt lgkmcnt(0)
	v_add_nc_u32_e32 v8, v8, v4
	s_or_b32 exec_lo, exec_lo, s33
	s_delay_alu instid0(VALU_DEP_1)
	v_ashrrev_i32_e32 v9, 31, v8
	s_and_saveexec_b32 s33, s31
	s_cbranch_execz .LBB168_95
.LBB168_127:                            ;   in Loop: Header=BB168_63 Depth=1
	scratch_load_b128 v[13:16], off, off
	v_add3_u32 v4, v2, -1, v8
	s_delay_alu instid0(VALU_DEP_1) | instskip(SKIP_1) | instid1(VALU_DEP_2)
	v_lshlrev_b32_e32 v17, 4, v4
	v_lshl_add_u32 v4, v4, 3, 0
	v_add3_u32 v17, 0, v17, 0x20000
	ds_store_b64 v4, v[6:7]
	s_waitcnt vmcnt(0)
	ds_store_2addr_b64 v17, v[13:14], v[15:16] offset1:1
	s_or_b32 exec_lo, exec_lo, s33
	s_and_saveexec_b32 s31, vcc_lo
	s_cbranch_execz .LBB168_62
.LBB168_128:                            ;   in Loop: Header=BB168_63 Depth=1
	v_mov_b32_e32 v4, s73
	ds_store_b64 v4, v[8:9]
	s_branch .LBB168_62
.LBB168_129:
	s_or_b32 exec_lo, exec_lo, s36
	s_lshl_b64 s[0:1], s[52:53], 3
	v_mov_b32_e32 v1, 0
	s_add_u32 s0, s42, s0
	s_addc_u32 s1, s43, s1
	s_mov_b32 s6, exec_lo
	s_load_b128 s[0:3], s[0:1], 0x0
	s_waitcnt lgkmcnt(0)
	s_sub_u32 s4, s2, s0
	s_subb_u32 s5, s3, s1
	s_delay_alu instid0(SALU_CYCLE_1)
	v_cmpx_gt_i64_e64 s[4:5], v[0:1]
	s_cbranch_execz .LBB168_139
; %bb.130:
	s_sub_u32 s8, s0, s46
	s_subb_u32 s9, s1, 0
	s_and_b32 s6, s4, 7
	s_sub_u32 s0, s0, s2
	s_subb_u32 s1, s1, s3
	s_mov_b32 s7, 0
	v_cmp_lt_u64_e64 s12, s[0:1], -7
	s_and_b32 s2, s4, -8
	s_cmp_lg_u64 s[6:7], 0
	s_mov_b32 s3, s5
	s_cselect_b32 s13, -1, 0
	s_mov_b32 s14, s7
	s_branch .LBB168_132
.LBB168_131:                            ;   in Loop: Header=BB168_132 Depth=1
	v_lshlrev_b32_e32 v6, 4, v0
	s_waitcnt lgkmcnt(0)
	v_add_co_u32 v2, vcc_lo, v2, s46
	v_lshlrev_b64 v[10:11], 3, v[4:5]
	v_add_co_ci_u32_e32 v3, vcc_lo, 0, v3, vcc_lo
	v_add3_u32 v6, 0, v6, 0x20000
	v_add_co_u32 v0, vcc_lo, 0x400, v0
	v_add_co_ci_u32_e32 v1, vcc_lo, 0, v1, vcc_lo
	ds_load_2addr_b64 v[6:9], v6 offset1:1
	v_lshlrev_b64 v[4:5], 4, v[4:5]
	v_add_co_u32 v10, vcc_lo, s48, v10
	v_add_co_ci_u32_e32 v11, vcc_lo, s49, v11, vcc_lo
	v_cmp_le_i64_e32 vcc_lo, s[4:5], v[0:1]
	s_delay_alu instid0(VALU_DEP_4) | instskip(NEXT) | instid1(VALU_DEP_1)
	v_add_co_u32 v4, s0, s50, v4
	v_add_co_ci_u32_e64 v5, s0, s51, v5, s0
	global_store_b64 v[10:11], v[2:3], off
	s_waitcnt lgkmcnt(0)
	global_store_b128 v[4:5], v[6:9], off
	s_or_b32 s14, vcc_lo, s14
	s_delay_alu instid0(SALU_CYCLE_1)
	s_and_not1_b32 exec_lo, exec_lo, s14
	s_cbranch_execz .LBB168_139
.LBB168_132:                            ; =>This Loop Header: Depth=1
                                        ;     Child Loop BB168_134 Depth 2
                                        ;     Child Loop BB168_138 Depth 2
	v_lshl_add_u32 v2, v0, 3, 0
	v_dual_mov_b32 v4, s8 :: v_dual_mov_b32 v5, s9
	s_and_not1_b32 vcc_lo, exec_lo, s12
	s_mov_b64 s[0:1], 0
	ds_load_b64 v[2:3], v2
	s_cbranch_vccnz .LBB168_136
; %bb.133:                              ;   in Loop: Header=BB168_132 Depth=1
	v_dual_mov_b32 v4, s8 :: v_dual_mov_b32 v5, s9
	s_mov_b64 s[10:11], 0
	s_mov_b32 s1, 0
.LBB168_134:                            ;   Parent Loop BB168_132 Depth=1
                                        ; =>  This Inner Loop Header: Depth=2
	s_delay_alu instid0(SALU_CYCLE_1)
	v_mov_b32_e32 v18, s1
	s_add_u32 s10, s10, 8
	s_addc_u32 s11, s11, 0
	s_add_i32 s1, s1, 64
	s_cmp_eq_u64 s[2:3], s[10:11]
	ds_load_2addr_b64 v[6:9], v18 offset1:1
	ds_load_2addr_b64 v[10:13], v18 offset0:2 offset1:3
	ds_load_2addr_b64 v[14:17], v18 offset0:4 offset1:5
	;; [unrolled: 1-line block ×3, first 2 shown]
	s_waitcnt lgkmcnt(3)
	v_cmp_gt_i64_e32 vcc_lo, v[2:3], v[6:7]
	v_cndmask_b32_e64 v6, 0, 1, vcc_lo
	v_cmp_gt_i64_e32 vcc_lo, v[2:3], v[8:9]
	v_cndmask_b32_e64 v7, 0, 1, vcc_lo
	s_waitcnt lgkmcnt(2)
	v_cmp_gt_i64_e32 vcc_lo, v[2:3], v[10:11]
	v_cndmask_b32_e64 v8, 0, 1, vcc_lo
	v_cmp_gt_i64_e32 vcc_lo, v[2:3], v[12:13]
	v_cndmask_b32_e64 v9, 0, 1, vcc_lo
	s_waitcnt lgkmcnt(1)
	v_cmp_gt_i64_e32 vcc_lo, v[2:3], v[14:15]
	v_cndmask_b32_e64 v10, 0, 1, vcc_lo
	v_add_co_u32 v4, vcc_lo, v4, v6
	v_add_co_ci_u32_e32 v5, vcc_lo, 0, v5, vcc_lo
	v_cmp_gt_i64_e32 vcc_lo, v[2:3], v[16:17]
	s_delay_alu instid0(VALU_DEP_3) | instskip(NEXT) | instid1(VALU_DEP_1)
	v_add_co_u32 v4, s0, v4, v7
	v_add_co_ci_u32_e64 v5, s0, 0, v5, s0
	v_cndmask_b32_e64 v6, 0, 1, vcc_lo
	s_delay_alu instid0(VALU_DEP_3) | instskip(NEXT) | instid1(VALU_DEP_3)
	v_add_co_u32 v4, vcc_lo, v4, v8
	v_add_co_ci_u32_e32 v5, vcc_lo, 0, v5, vcc_lo
	s_waitcnt lgkmcnt(0)
	v_cmp_gt_i64_e32 vcc_lo, v[2:3], v[18:19]
	s_delay_alu instid0(VALU_DEP_3) | instskip(NEXT) | instid1(VALU_DEP_1)
	v_add_co_u32 v4, s0, v4, v9
	v_add_co_ci_u32_e64 v5, s0, 0, v5, s0
	v_cndmask_b32_e64 v7, 0, 1, vcc_lo
	s_delay_alu instid0(VALU_DEP_3) | instskip(NEXT) | instid1(VALU_DEP_3)
	v_add_co_u32 v4, vcc_lo, v4, v10
	v_add_co_ci_u32_e32 v5, vcc_lo, 0, v5, vcc_lo
	v_cmp_gt_i64_e32 vcc_lo, v[2:3], v[20:21]
	s_delay_alu instid0(VALU_DEP_3) | instskip(NEXT) | instid1(VALU_DEP_1)
	v_add_co_u32 v4, s0, v4, v6
	v_add_co_ci_u32_e64 v5, s0, 0, v5, s0
	v_cndmask_b32_e64 v6, 0, 1, vcc_lo
	s_delay_alu instid0(VALU_DEP_3) | instskip(NEXT) | instid1(VALU_DEP_3)
	v_add_co_u32 v4, vcc_lo, v4, v7
	v_add_co_ci_u32_e32 v5, vcc_lo, 0, v5, vcc_lo
	s_delay_alu instid0(VALU_DEP_2) | instskip(NEXT) | instid1(VALU_DEP_2)
	v_add_co_u32 v4, vcc_lo, v4, v6
	v_add_co_ci_u32_e32 v5, vcc_lo, 0, v5, vcc_lo
	s_cbranch_scc0 .LBB168_134
; %bb.135:                              ;   in Loop: Header=BB168_132 Depth=1
	s_mov_b64 s[0:1], s[2:3]
.LBB168_136:                            ;   in Loop: Header=BB168_132 Depth=1
	s_and_not1_b32 vcc_lo, exec_lo, s13
	s_cbranch_vccnz .LBB168_131
; %bb.137:                              ;   in Loop: Header=BB168_132 Depth=1
	s_lshl_b32 s0, s0, 3
	s_delay_alu instid0(SALU_CYCLE_1)
	s_add_i32 s10, s0, 0
	s_mov_b64 s[0:1], s[6:7]
.LBB168_138:                            ;   Parent Loop BB168_132 Depth=1
                                        ; =>  This Inner Loop Header: Depth=2
	v_mov_b32_e32 v6, s10
	s_add_i32 s10, s10, 8
	s_add_u32 s0, s0, -1
	s_addc_u32 s1, s1, -1
	s_delay_alu instid0(SALU_CYCLE_1) | instskip(SKIP_4) | instid1(VALU_DEP_1)
	s_cmp_lg_u64 s[0:1], 0
	ds_load_b64 v[6:7], v6
	s_waitcnt lgkmcnt(0)
	v_cmp_gt_i64_e32 vcc_lo, v[2:3], v[6:7]
	v_cndmask_b32_e64 v6, 0, 1, vcc_lo
	v_add_co_u32 v4, vcc_lo, v4, v6
	v_add_co_ci_u32_e32 v5, vcc_lo, 0, v5, vcc_lo
	s_cbranch_scc1 .LBB168_138
	s_branch .LBB168_131
.LBB168_139:
	s_nop 0
	s_sendmsg sendmsg(MSG_DEALLOC_VGPRS)
	s_endpgm
	.section	.rodata,"a",@progbits
	.p2align	6, 0x0
	.amdhsa_kernel _ZN9rocsparseL26csrgemm_fill_block_per_rowILj1024ELj64ELj16384ELj137ELj32Ell21rocsparse_complex_numIdEEEvT5_PKS3_S5_NS_24const_host_device_scalarIT6_EEPKT4_S5_PKS7_SB_S5_SD_S8_SB_S5_SD_SB_PS3_PS7_21rocsparse_index_base_SG_SG_SG_bbb
		.amdhsa_group_segment_fixed_size 0
		.amdhsa_private_segment_fixed_size 40
		.amdhsa_kernarg_size 172
		.amdhsa_user_sgpr_count 15
		.amdhsa_user_sgpr_dispatch_ptr 0
		.amdhsa_user_sgpr_queue_ptr 0
		.amdhsa_user_sgpr_kernarg_segment_ptr 1
		.amdhsa_user_sgpr_dispatch_id 0
		.amdhsa_user_sgpr_private_segment_size 0
		.amdhsa_wavefront_size32 1
		.amdhsa_uses_dynamic_stack 0
		.amdhsa_enable_private_segment 1
		.amdhsa_system_sgpr_workgroup_id_x 1
		.amdhsa_system_sgpr_workgroup_id_y 0
		.amdhsa_system_sgpr_workgroup_id_z 0
		.amdhsa_system_sgpr_workgroup_info 0
		.amdhsa_system_vgpr_workitem_id 0
		.amdhsa_next_free_vgpr 36
		.amdhsa_next_free_sgpr 78
		.amdhsa_reserve_vcc 1
		.amdhsa_float_round_mode_32 0
		.amdhsa_float_round_mode_16_64 0
		.amdhsa_float_denorm_mode_32 3
		.amdhsa_float_denorm_mode_16_64 3
		.amdhsa_dx10_clamp 1
		.amdhsa_ieee_mode 1
		.amdhsa_fp16_overflow 0
		.amdhsa_workgroup_processor_mode 1
		.amdhsa_memory_ordered 1
		.amdhsa_forward_progress 0
		.amdhsa_shared_vgpr_count 0
		.amdhsa_exception_fp_ieee_invalid_op 0
		.amdhsa_exception_fp_denorm_src 0
		.amdhsa_exception_fp_ieee_div_zero 0
		.amdhsa_exception_fp_ieee_overflow 0
		.amdhsa_exception_fp_ieee_underflow 0
		.amdhsa_exception_fp_ieee_inexact 0
		.amdhsa_exception_int_div_zero 0
	.end_amdhsa_kernel
	.section	.text._ZN9rocsparseL26csrgemm_fill_block_per_rowILj1024ELj64ELj16384ELj137ELj32Ell21rocsparse_complex_numIdEEEvT5_PKS3_S5_NS_24const_host_device_scalarIT6_EEPKT4_S5_PKS7_SB_S5_SD_S8_SB_S5_SD_SB_PS3_PS7_21rocsparse_index_base_SG_SG_SG_bbb,"axG",@progbits,_ZN9rocsparseL26csrgemm_fill_block_per_rowILj1024ELj64ELj16384ELj137ELj32Ell21rocsparse_complex_numIdEEEvT5_PKS3_S5_NS_24const_host_device_scalarIT6_EEPKT4_S5_PKS7_SB_S5_SD_S8_SB_S5_SD_SB_PS3_PS7_21rocsparse_index_base_SG_SG_SG_bbb,comdat
.Lfunc_end168:
	.size	_ZN9rocsparseL26csrgemm_fill_block_per_rowILj1024ELj64ELj16384ELj137ELj32Ell21rocsparse_complex_numIdEEEvT5_PKS3_S5_NS_24const_host_device_scalarIT6_EEPKT4_S5_PKS7_SB_S5_SD_S8_SB_S5_SD_SB_PS3_PS7_21rocsparse_index_base_SG_SG_SG_bbb, .Lfunc_end168-_ZN9rocsparseL26csrgemm_fill_block_per_rowILj1024ELj64ELj16384ELj137ELj32Ell21rocsparse_complex_numIdEEEvT5_PKS3_S5_NS_24const_host_device_scalarIT6_EEPKT4_S5_PKS7_SB_S5_SD_S8_SB_S5_SD_SB_PS3_PS7_21rocsparse_index_base_SG_SG_SG_bbb
                                        ; -- End function
	.section	.AMDGPU.csdata,"",@progbits
; Kernel info:
; codeLenInByte = 5716
; NumSgprs: 80
; NumVgprs: 36
; ScratchSize: 40
; MemoryBound: 0
; FloatMode: 240
; IeeeMode: 1
; LDSByteSize: 0 bytes/workgroup (compile time only)
; SGPRBlocks: 9
; VGPRBlocks: 4
; NumSGPRsForWavesPerEU: 80
; NumVGPRsForWavesPerEU: 36
; Occupancy: 16
; WaveLimiterHint : 1
; COMPUTE_PGM_RSRC2:SCRATCH_EN: 1
; COMPUTE_PGM_RSRC2:USER_SGPR: 15
; COMPUTE_PGM_RSRC2:TRAP_HANDLER: 0
; COMPUTE_PGM_RSRC2:TGID_X_EN: 1
; COMPUTE_PGM_RSRC2:TGID_Y_EN: 0
; COMPUTE_PGM_RSRC2:TGID_Z_EN: 0
; COMPUTE_PGM_RSRC2:TIDIG_COMP_CNT: 0
	.section	.text._ZN9rocsparseL26csrgemm_fill_block_per_rowILj1024ELj64ELj16384ELj137ELj64Ell21rocsparse_complex_numIdEEEvT5_PKS3_S5_NS_24const_host_device_scalarIT6_EEPKT4_S5_PKS7_SB_S5_SD_S8_SB_S5_SD_SB_PS3_PS7_21rocsparse_index_base_SG_SG_SG_bbb,"axG",@progbits,_ZN9rocsparseL26csrgemm_fill_block_per_rowILj1024ELj64ELj16384ELj137ELj64Ell21rocsparse_complex_numIdEEEvT5_PKS3_S5_NS_24const_host_device_scalarIT6_EEPKT4_S5_PKS7_SB_S5_SD_S8_SB_S5_SD_SB_PS3_PS7_21rocsparse_index_base_SG_SG_SG_bbb,comdat
	.globl	_ZN9rocsparseL26csrgemm_fill_block_per_rowILj1024ELj64ELj16384ELj137ELj64Ell21rocsparse_complex_numIdEEEvT5_PKS3_S5_NS_24const_host_device_scalarIT6_EEPKT4_S5_PKS7_SB_S5_SD_S8_SB_S5_SD_SB_PS3_PS7_21rocsparse_index_base_SG_SG_SG_bbb ; -- Begin function _ZN9rocsparseL26csrgemm_fill_block_per_rowILj1024ELj64ELj16384ELj137ELj64Ell21rocsparse_complex_numIdEEEvT5_PKS3_S5_NS_24const_host_device_scalarIT6_EEPKT4_S5_PKS7_SB_S5_SD_S8_SB_S5_SD_SB_PS3_PS7_21rocsparse_index_base_SG_SG_SG_bbb
	.p2align	8
	.type	_ZN9rocsparseL26csrgemm_fill_block_per_rowILj1024ELj64ELj16384ELj137ELj64Ell21rocsparse_complex_numIdEEEvT5_PKS3_S5_NS_24const_host_device_scalarIT6_EEPKT4_S5_PKS7_SB_S5_SD_S8_SB_S5_SD_SB_PS3_PS7_21rocsparse_index_base_SG_SG_SG_bbb,@function
_ZN9rocsparseL26csrgemm_fill_block_per_rowILj1024ELj64ELj16384ELj137ELj64Ell21rocsparse_complex_numIdEEEvT5_PKS3_S5_NS_24const_host_device_scalarIT6_EEPKT4_S5_PKS7_SB_S5_SD_S8_SB_S5_SD_SB_PS3_PS7_21rocsparse_index_base_SG_SG_SG_bbb: ; @_ZN9rocsparseL26csrgemm_fill_block_per_rowILj1024ELj64ELj16384ELj137ELj64Ell21rocsparse_complex_numIdEEEvT5_PKS3_S5_NS_24const_host_device_scalarIT6_EEPKT4_S5_PKS7_SB_S5_SD_S8_SB_S5_SD_SB_PS3_PS7_21rocsparse_index_base_SG_SG_SG_bbb
; %bb.0:
	s_clause 0x3
	s_load_b32 s35, s[0:1], 0xa8
	s_load_b128 s[4:7], s[0:1], 0x18
	s_load_b128 s[36:39], s[0:1], 0x58
	;; [unrolled: 1-line block ×3, first 2 shown]
	v_mov_b32_e32 v1, 0
	v_mov_b32_e32 v2, 0
	s_mov_b32 s44, s15
	s_waitcnt lgkmcnt(0)
	s_bitcmp1_b32 s35, 0
	v_mov_b32_e32 v3, s4
	s_cselect_b32 s33, -1, 0
	s_bitcmp1_b32 s35, 16
	v_dual_mov_b32 v6, v2 :: v_dual_mov_b32 v5, v1
	s_cselect_b32 s2, -1, 0
	v_mov_b32_e32 v4, s5
	s_xor_b32 s34, s2, -1
	v_dual_mov_b32 v9, s36 :: v_dual_mov_b32 v10, s37
	v_cndmask_b32_e64 v7, 0, 1, s34
	s_bitcmp0_b32 s35, 0
	s_clause 0x1
	scratch_store_b64 off, v[3:4], off offset:16
	scratch_store_b64 off, v[9:10], off offset:24
	v_cmp_ne_u32_e32 vcc_lo, 1, v7
	v_dual_mov_b32 v8, v2 :: v_dual_mov_b32 v7, v1
	s_cbranch_scc1 .LBB169_3
; %bb.1:
	s_mov_b64 s[8:9], src_private_base
	s_and_b32 s3, s2, exec_lo
	s_cselect_b32 s3, s9, s5
	s_delay_alu instid0(SALU_CYCLE_1) | instskip(SKIP_2) | instid1(VALU_DEP_2)
	v_dual_mov_b32 v3, 16 :: v_dual_mov_b32 v4, s3
	v_dual_mov_b32 v8, s7 :: v_dual_mov_b32 v7, s6
	s_and_b32 vcc_lo, exec_lo, vcc_lo
	v_cndmask_b32_e64 v3, s4, v3, s2
	flat_load_b64 v[5:6], v[3:4]
	s_cbranch_vccnz .LBB169_3
; %bb.2:
	v_dual_mov_b32 v3, s4 :: v_dual_mov_b32 v4, s5
	flat_load_b64 v[7:8], v[3:4] offset:8
.LBB169_3:
	s_clause 0x4
	s_load_b128 s[24:27], s[0:1], 0x88
	s_load_b256 s[12:19], s[0:1], 0x68
	s_load_b128 s[28:31], s[0:1], 0x48
	s_load_b128 s[40:43], s[0:1], 0x8
	s_load_b256 s[4:11], s[0:1], 0x28
	s_bitcmp1_b32 s35, 8
	v_dual_mov_b32 v4, v2 :: v_dual_mov_b32 v3, v1
	s_cselect_b32 s3, -1, 0
	s_bfe_u32 s35, s35, 0x10008
	s_delay_alu instid0(SALU_CYCLE_1)
	s_cmp_eq_u32 s35, 0
	s_cbranch_scc1 .LBB169_6
; %bb.4:
	s_mov_b64 s[46:47], src_private_base
	s_and_b32 s35, s2, exec_lo
	s_cselect_b32 s35, s47, s37
	s_delay_alu instid0(SALU_CYCLE_1) | instskip(SKIP_1) | instid1(VALU_DEP_1)
	v_dual_mov_b32 v1, 24 :: v_dual_mov_b32 v2, s35
	s_and_not1_b32 vcc_lo, exec_lo, s34
	v_cndmask_b32_e64 v1, s36, v1, s2
	flat_load_b64 v[3:4], v[1:2]
	v_dual_mov_b32 v1, s38 :: v_dual_mov_b32 v2, s39
	s_cbranch_vccnz .LBB169_6
; %bb.5:
	v_dual_mov_b32 v1, s36 :: v_dual_mov_b32 v2, s37
	flat_load_b64 v[1:2], v[1:2] offset:8
.LBB169_6:
	s_load_b64 s[34:35], s[0:1], 0x0
	s_mov_b32 s0, 0
	v_or_b32_e32 v27, 0xfffffc00, v0
	v_lshl_add_u32 v28, v0, 3, 0
	s_mov_b32 s1, s0
	s_delay_alu instid0(SALU_CYCLE_1)
	v_dual_mov_b32 v10, s1 :: v_dual_lshlrev_b32 v29, 4, v0
	s_mov_b32 s36, s0
	s_mov_b32 s37, s0
	v_dual_mov_b32 v11, s36 :: v_dual_mov_b32 v16, v28
	v_dual_mov_b32 v9, s0 :: v_dual_mov_b32 v12, s37
	v_add3_u32 v15, v29, 0, 0x20008
	v_mov_b32_e32 v17, v27
	s_waitcnt lgkmcnt(0)
	v_dual_mov_b32 v13, s34 :: v_dual_mov_b32 v14, s35
.LBB169_7:                              ; =>This Inner Loop Header: Depth=1
	s_delay_alu instid0(VALU_DEP_2)
	v_add_nc_u32_e32 v17, 0x400, v17
	ds_store_b64 v16, v[13:14]
	v_add_nc_u32_e32 v18, -8, v15
	v_add_nc_u32_e32 v15, 0x4000, v15
	v_add_nc_u32_e32 v16, 0x2000, v16
	v_cmp_lt_u32_e32 vcc_lo, 0x3bff, v17
	ds_store_2addr_b64 v18, v[9:10], v[11:12] offset1:1
	s_or_b32 s0, vcc_lo, s0
	s_delay_alu instid0(SALU_CYCLE_1)
	s_and_not1_b32 exec_lo, exec_lo, s0
	s_cbranch_execnz .LBB169_7
; %bb.8:
	s_or_b32 exec_lo, exec_lo, s0
	s_waitcnt vmcnt(0) lgkmcnt(0)
	s_waitcnt_vscnt null, 0x0
	s_barrier
	buffer_gl0_inv
	s_load_b64 s[0:1], s[40:41], 0x0
	s_mov_b32 s45, 0
	v_lshrrev_b32_e32 v30, 6, v0
	s_waitcnt lgkmcnt(0)
	s_lshl_b64 s[0:1], s[0:1], 3
	s_delay_alu instid0(SALU_CYCLE_1) | instskip(SKIP_2) | instid1(SALU_CYCLE_1)
	s_add_u32 s2, s42, s0
	s_addc_u32 s36, s43, s1
	s_lshl_b64 s[0:1], s[44:45], 3
	s_add_u32 s0, s2, s0
	s_addc_u32 s1, s36, s1
	s_and_b32 vcc_lo, exec_lo, s33
	s_load_b64 s[36:37], s[0:1], 0x0
	s_cbranch_vccz .LBB169_36
; %bb.9:
	s_waitcnt lgkmcnt(0)
	s_lshl_b64 s[0:1], s[36:37], 3
	s_mov_b32 s2, exec_lo
	s_add_u32 s0, s4, s0
	s_addc_u32 s1, s5, s1
	s_load_b128 s[40:43], s[0:1], 0x0
	v_sub_co_u32 v9, s0, v30, s20
	s_delay_alu instid0(VALU_DEP_1) | instskip(SKIP_1) | instid1(VALU_DEP_2)
	v_sub_co_ci_u32_e64 v10, null, 0, 0, s0
	s_waitcnt lgkmcnt(0)
	v_add_co_u32 v9, vcc_lo, s40, v9
	s_delay_alu instid0(VALU_DEP_2)
	v_add_co_ci_u32_e32 v10, vcc_lo, s41, v10, vcc_lo
	s_sub_u32 s0, s42, s20
	s_subb_u32 s1, s43, 0
	s_delay_alu instid0(VALU_DEP_1) | instid1(SALU_CYCLE_1)
	v_cmpx_gt_i64_e64 s[0:1], v[9:10]
	s_cbranch_execz .LBB169_35
; %bb.10:
	v_and_b32_e32 v11, 63, v0
	s_mov_b32 s5, s21
	s_delay_alu instid0(VALU_DEP_1) | instskip(NEXT) | instid1(VALU_DEP_1)
	v_sub_co_u32 v31, s4, v11, s21
	v_sub_co_ci_u32_e64 v32, null, 0, 0, s4
	s_mov_b32 s4, 0
	s_branch .LBB169_12
.LBB169_11:                             ;   in Loop: Header=BB169_12 Depth=1
	s_or_b32 exec_lo, exec_lo, s21
	v_add_co_u32 v9, vcc_lo, v9, 16
	v_add_co_ci_u32_e32 v10, vcc_lo, 0, v10, vcc_lo
	s_delay_alu instid0(VALU_DEP_1) | instskip(SKIP_1) | instid1(SALU_CYCLE_1)
	v_cmp_le_i64_e32 vcc_lo, s[0:1], v[9:10]
	s_or_b32 s4, vcc_lo, s4
	s_and_not1_b32 exec_lo, exec_lo, s4
	s_cbranch_execz .LBB169_35
.LBB169_12:                             ; =>This Loop Header: Depth=1
                                        ;     Child Loop BB169_15 Depth 2
                                        ;       Child Loop BB169_17 Depth 3
                                        ;         Child Loop BB169_23 Depth 4
                                        ;         Child Loop BB169_25 Depth 4
	;; [unrolled: 1-line block ×4, first 2 shown]
	v_lshlrev_b64 v[11:12], 3, v[9:10]
	s_mov_b32 s21, exec_lo
	s_delay_alu instid0(VALU_DEP_1) | instskip(NEXT) | instid1(VALU_DEP_2)
	v_add_co_u32 v11, vcc_lo, s6, v11
	v_add_co_ci_u32_e32 v12, vcc_lo, s7, v12, vcc_lo
	global_load_b64 v[11:12], v[11:12], off
	s_waitcnt vmcnt(0)
	v_sub_co_u32 v11, vcc_lo, v11, s20
	v_subrev_co_ci_u32_e32 v12, vcc_lo, 0, v12, vcc_lo
	s_delay_alu instid0(VALU_DEP_1) | instskip(NEXT) | instid1(VALU_DEP_1)
	v_lshlrev_b64 v[11:12], 3, v[11:12]
	v_add_co_u32 v11, vcc_lo, s10, v11
	s_delay_alu instid0(VALU_DEP_2)
	v_add_co_ci_u32_e32 v12, vcc_lo, s11, v12, vcc_lo
	global_load_b128 v[13:16], v[11:12], off
	s_waitcnt vmcnt(0)
	v_sub_co_u32 v11, vcc_lo, v15, s5
	v_subrev_co_ci_u32_e32 v12, vcc_lo, 0, v16, vcc_lo
	v_add_co_u32 v13, vcc_lo, v13, v31
	v_add_co_ci_u32_e32 v14, vcc_lo, v14, v32, vcc_lo
	s_delay_alu instid0(VALU_DEP_1)
	v_cmpx_lt_i64_e64 v[13:14], v[11:12]
	s_cbranch_execz .LBB169_11
; %bb.13:                               ;   in Loop: Header=BB169_12 Depth=1
	v_lshlrev_b64 v[15:16], 4, v[9:10]
	s_mov_b32 s33, 0
	s_delay_alu instid0(VALU_DEP_1) | instskip(NEXT) | instid1(VALU_DEP_2)
	v_add_co_u32 v15, vcc_lo, s8, v15
	v_add_co_ci_u32_e32 v16, vcc_lo, s9, v16, vcc_lo
	global_load_b128 v[17:20], v[15:16], off
	s_waitcnt vmcnt(0)
	v_mul_f64 v[15:16], v[19:20], -v[7:8]
	v_mul_f64 v[19:20], v[5:6], v[19:20]
	s_delay_alu instid0(VALU_DEP_2) | instskip(NEXT) | instid1(VALU_DEP_2)
	v_fma_f64 v[15:16], v[5:6], v[17:18], v[15:16]
	v_fma_f64 v[17:18], v[7:8], v[17:18], v[19:20]
	s_branch .LBB169_15
.LBB169_14:                             ;   in Loop: Header=BB169_15 Depth=2
	s_or_b32 exec_lo, exec_lo, s38
	v_add_co_u32 v13, vcc_lo, v13, 64
	v_add_co_ci_u32_e32 v14, vcc_lo, 0, v14, vcc_lo
	s_delay_alu instid0(VALU_DEP_1) | instskip(SKIP_1) | instid1(SALU_CYCLE_1)
	v_cmp_ge_i64_e32 vcc_lo, v[13:14], v[11:12]
	s_or_b32 s33, vcc_lo, s33
	s_and_not1_b32 exec_lo, exec_lo, s33
	s_cbranch_execz .LBB169_11
.LBB169_15:                             ;   Parent Loop BB169_12 Depth=1
                                        ; =>  This Loop Header: Depth=2
                                        ;       Child Loop BB169_17 Depth 3
                                        ;         Child Loop BB169_23 Depth 4
                                        ;         Child Loop BB169_25 Depth 4
                                        ;         Child Loop BB169_31 Depth 4
                                        ;         Child Loop BB169_33 Depth 4
	v_lshlrev_b64 v[19:20], 4, v[13:14]
	s_mov_b32 s38, 0
	s_delay_alu instid0(VALU_DEP_1) | instskip(NEXT) | instid1(VALU_DEP_2)
	v_add_co_u32 v19, vcc_lo, s30, v19
	v_add_co_ci_u32_e32 v20, vcc_lo, s31, v20, vcc_lo
	global_load_b128 v[21:24], v[19:20], off
	v_lshlrev_b64 v[19:20], 3, v[13:14]
	s_delay_alu instid0(VALU_DEP_1) | instskip(NEXT) | instid1(VALU_DEP_2)
	v_add_co_u32 v19, vcc_lo, s28, v19
	v_add_co_ci_u32_e32 v20, vcc_lo, s29, v20, vcc_lo
	global_load_b64 v[25:26], v[19:20], off
	s_waitcnt vmcnt(1)
	v_mul_f64 v[19:20], v[23:24], -v[17:18]
	v_mul_f64 v[23:24], v[15:16], v[23:24]
	s_delay_alu instid0(VALU_DEP_2) | instskip(NEXT) | instid1(VALU_DEP_2)
	v_fma_f64 v[19:20], v[15:16], v[21:22], v[19:20]
	v_fma_f64 v[21:22], v[17:18], v[21:22], v[23:24]
	s_waitcnt vmcnt(0)
	v_sub_co_u32 v23, vcc_lo, v25, s5
	v_subrev_co_ci_u32_e32 v24, vcc_lo, 0, v26, vcc_lo
	s_delay_alu instid0(VALU_DEP_2) | instskip(NEXT) | instid1(VALU_DEP_1)
	v_mul_lo_u32 v25, 0x89, v23
	v_and_b32_e32 v33, 0x3fff, v25
	s_branch .LBB169_17
.LBB169_16:                             ;   in Loop: Header=BB169_17 Depth=3
	s_or_b32 exec_lo, exec_lo, s39
	s_xor_b32 s39, s40, -1
	s_delay_alu instid0(SALU_CYCLE_1) | instskip(NEXT) | instid1(SALU_CYCLE_1)
	s_and_b32 s39, exec_lo, s39
	s_or_b32 s38, s39, s38
	s_delay_alu instid0(SALU_CYCLE_1)
	s_and_not1_b32 exec_lo, exec_lo, s38
	s_cbranch_execz .LBB169_14
.LBB169_17:                             ;   Parent Loop BB169_12 Depth=1
                                        ;     Parent Loop BB169_15 Depth=2
                                        ; =>    This Loop Header: Depth=3
                                        ;         Child Loop BB169_23 Depth 4
                                        ;         Child Loop BB169_25 Depth 4
	;; [unrolled: 1-line block ×4, first 2 shown]
	s_delay_alu instid0(VALU_DEP_1)
	v_lshl_add_u32 v34, v33, 3, 0
	s_mov_b32 s39, exec_lo
                                        ; implicit-def: $sgpr40
	ds_load_b64 v[25:26], v34
	s_waitcnt lgkmcnt(0)
	v_cmpx_ne_u64_e64 v[25:26], v[23:24]
	s_xor_b32 s39, exec_lo, s39
	s_cbranch_execz .LBB169_29
; %bb.18:                               ;   in Loop: Header=BB169_17 Depth=3
	s_mov_b32 s41, exec_lo
                                        ; implicit-def: $sgpr40
	v_cmpx_ne_u64_e64 s[34:35], v[25:26]
	s_xor_b32 s41, exec_lo, s41
; %bb.19:                               ;   in Loop: Header=BB169_17 Depth=3
	v_add_nc_u32_e32 v25, 1, v33
	s_mov_b32 s40, -1
                                        ; implicit-def: $vgpr34
	s_delay_alu instid0(VALU_DEP_1)
	v_and_b32_e32 v33, 0x3fff, v25
; %bb.20:                               ;   in Loop: Header=BB169_17 Depth=3
	s_and_not1_saveexec_b32 s41, s41
	s_cbranch_execz .LBB169_28
; %bb.21:                               ;   in Loop: Header=BB169_17 Depth=3
	v_dual_mov_b32 v25, s34 :: v_dual_mov_b32 v26, s35
	s_mov_b32 s43, -1
	s_mov_b32 s42, exec_lo
	ds_cmpstore_rtn_b64 v[25:26], v34, v[23:24], v[25:26]
	s_waitcnt lgkmcnt(0)
	v_cmpx_eq_u64_e64 s[34:35], v[25:26]
	s_cbranch_execz .LBB169_27
; %bb.22:                               ;   in Loop: Header=BB169_17 Depth=3
	v_lshlrev_b32_e32 v25, 4, v33
	s_mov_b32 s43, 0
	s_delay_alu instid0(VALU_DEP_1)
	v_add3_u32 v34, 0, v25, 0x20000
	ds_load_b64 v[25:26], v34
.LBB169_23:                             ;   Parent Loop BB169_12 Depth=1
                                        ;     Parent Loop BB169_15 Depth=2
                                        ;       Parent Loop BB169_17 Depth=3
                                        ; =>      This Inner Loop Header: Depth=4
	s_waitcnt lgkmcnt(0)
	v_add_f64 v[35:36], v[25:26], v[19:20]
	ds_cmpstore_rtn_b64 v[35:36], v34, v[35:36], v[25:26]
	s_waitcnt lgkmcnt(0)
	v_cmp_eq_u64_e32 vcc_lo, v[35:36], v[25:26]
	v_dual_mov_b32 v25, v35 :: v_dual_mov_b32 v26, v36
	s_or_b32 s43, vcc_lo, s43
	s_delay_alu instid0(SALU_CYCLE_1)
	s_and_not1_b32 exec_lo, exec_lo, s43
	s_cbranch_execnz .LBB169_23
; %bb.24:                               ;   in Loop: Header=BB169_17 Depth=3
	s_or_b32 exec_lo, exec_lo, s43
	ds_load_b64 v[25:26], v34 offset:8
	s_mov_b32 s43, 0
.LBB169_25:                             ;   Parent Loop BB169_12 Depth=1
                                        ;     Parent Loop BB169_15 Depth=2
                                        ;       Parent Loop BB169_17 Depth=3
                                        ; =>      This Inner Loop Header: Depth=4
	s_waitcnt lgkmcnt(0)
	v_add_f64 v[35:36], v[25:26], v[21:22]
	ds_cmpstore_rtn_b64 v[35:36], v34, v[35:36], v[25:26] offset:8
	s_waitcnt lgkmcnt(0)
	v_cmp_eq_u64_e32 vcc_lo, v[35:36], v[25:26]
	v_dual_mov_b32 v25, v35 :: v_dual_mov_b32 v26, v36
	s_or_b32 s43, vcc_lo, s43
	s_delay_alu instid0(SALU_CYCLE_1)
	s_and_not1_b32 exec_lo, exec_lo, s43
	s_cbranch_execnz .LBB169_25
; %bb.26:                               ;   in Loop: Header=BB169_17 Depth=3
	s_or_b32 exec_lo, exec_lo, s43
	s_delay_alu instid0(SALU_CYCLE_1)
	s_xor_b32 s43, exec_lo, -1
.LBB169_27:                             ;   in Loop: Header=BB169_17 Depth=3
	s_or_b32 exec_lo, exec_lo, s42
	s_delay_alu instid0(SALU_CYCLE_1) | instskip(SKIP_1) | instid1(SALU_CYCLE_1)
	s_and_not1_b32 s40, s40, exec_lo
	s_and_b32 s42, s43, exec_lo
	s_or_b32 s40, s40, s42
.LBB169_28:                             ;   in Loop: Header=BB169_17 Depth=3
	s_or_b32 exec_lo, exec_lo, s41
	s_delay_alu instid0(SALU_CYCLE_1)
	s_and_b32 s40, s40, exec_lo
.LBB169_29:                             ;   in Loop: Header=BB169_17 Depth=3
	s_and_not1_saveexec_b32 s39, s39
	s_cbranch_execz .LBB169_16
; %bb.30:                               ;   in Loop: Header=BB169_17 Depth=3
	v_lshlrev_b32_e32 v25, 4, v33
	s_mov_b32 s41, 0
	s_delay_alu instid0(VALU_DEP_1)
	v_add3_u32 v34, 0, v25, 0x20000
	ds_load_b64 v[25:26], v34
.LBB169_31:                             ;   Parent Loop BB169_12 Depth=1
                                        ;     Parent Loop BB169_15 Depth=2
                                        ;       Parent Loop BB169_17 Depth=3
                                        ; =>      This Inner Loop Header: Depth=4
	s_waitcnt lgkmcnt(0)
	v_add_f64 v[35:36], v[25:26], v[19:20]
	ds_cmpstore_rtn_b64 v[35:36], v34, v[35:36], v[25:26]
	s_waitcnt lgkmcnt(0)
	v_cmp_eq_u64_e32 vcc_lo, v[35:36], v[25:26]
	v_dual_mov_b32 v25, v35 :: v_dual_mov_b32 v26, v36
	s_or_b32 s41, vcc_lo, s41
	s_delay_alu instid0(SALU_CYCLE_1)
	s_and_not1_b32 exec_lo, exec_lo, s41
	s_cbranch_execnz .LBB169_31
; %bb.32:                               ;   in Loop: Header=BB169_17 Depth=3
	s_or_b32 exec_lo, exec_lo, s41
	ds_load_b64 v[25:26], v34 offset:8
	s_mov_b32 s41, 0
.LBB169_33:                             ;   Parent Loop BB169_12 Depth=1
                                        ;     Parent Loop BB169_15 Depth=2
                                        ;       Parent Loop BB169_17 Depth=3
                                        ; =>      This Inner Loop Header: Depth=4
	s_waitcnt lgkmcnt(0)
	v_add_f64 v[35:36], v[25:26], v[21:22]
	ds_cmpstore_rtn_b64 v[35:36], v34, v[35:36], v[25:26] offset:8
	s_waitcnt lgkmcnt(0)
	v_cmp_eq_u64_e32 vcc_lo, v[35:36], v[25:26]
	v_dual_mov_b32 v25, v35 :: v_dual_mov_b32 v26, v36
	s_or_b32 s41, vcc_lo, s41
	s_delay_alu instid0(SALU_CYCLE_1)
	s_and_not1_b32 exec_lo, exec_lo, s41
	s_cbranch_execnz .LBB169_33
; %bb.34:                               ;   in Loop: Header=BB169_17 Depth=3
	s_or_b32 exec_lo, exec_lo, s41
	s_delay_alu instid0(SALU_CYCLE_1)
	s_and_not1_b32 s40, s40, exec_lo
	s_branch .LBB169_16
.LBB169_35:
	s_or_b32 exec_lo, exec_lo, s2
.LBB169_36:
	s_delay_alu instid0(SALU_CYCLE_1)
	s_and_not1_b32 vcc_lo, exec_lo, s3
	s_cbranch_vccnz .LBB169_61
; %bb.37:
	s_waitcnt lgkmcnt(0)
	s_lshl_b64 s[0:1], s[36:37], 3
	v_sub_co_u32 v5, s4, v0, s23
	s_add_u32 s0, s12, s0
	s_addc_u32 s1, s13, s1
	v_sub_co_ci_u32_e64 v6, null, 0, 0, s4
	s_load_b128 s[0:3], s[0:1], 0x0
	s_waitcnt lgkmcnt(0)
	v_add_co_u32 v5, vcc_lo, s0, v5
	s_delay_alu instid0(VALU_DEP_2)
	v_add_co_ci_u32_e32 v6, vcc_lo, s1, v6, vcc_lo
	s_sub_u32 s0, s2, s23
	s_subb_u32 s1, s3, 0
	s_mov_b32 s2, 0
	s_mov_b32 s3, exec_lo
	v_cmpx_gt_i64_e64 s[0:1], v[5:6]
	s_cbranch_execz .LBB169_60
; %bb.38:
	s_mov_b32 s4, s23
	s_branch .LBB169_40
.LBB169_39:                             ;   in Loop: Header=BB169_40 Depth=1
	s_or_b32 exec_lo, exec_lo, s5
	v_add_co_u32 v5, vcc_lo, 0x400, v5
	v_add_co_ci_u32_e32 v6, vcc_lo, 0, v6, vcc_lo
	s_delay_alu instid0(VALU_DEP_1) | instskip(SKIP_1) | instid1(SALU_CYCLE_1)
	v_cmp_le_i64_e32 vcc_lo, s[0:1], v[5:6]
	s_or_b32 s2, vcc_lo, s2
	s_and_not1_b32 exec_lo, exec_lo, s2
	s_cbranch_execz .LBB169_60
.LBB169_40:                             ; =>This Loop Header: Depth=1
                                        ;     Child Loop BB169_42 Depth 2
                                        ;       Child Loop BB169_48 Depth 3
                                        ;       Child Loop BB169_50 Depth 3
	;; [unrolled: 1-line block ×4, first 2 shown]
	v_lshlrev_b64 v[7:8], 4, v[5:6]
	s_mov_b32 s5, 0
	s_delay_alu instid0(VALU_DEP_1) | instskip(NEXT) | instid1(VALU_DEP_2)
	v_add_co_u32 v7, vcc_lo, s16, v7
	v_add_co_ci_u32_e32 v8, vcc_lo, s17, v8, vcc_lo
	global_load_b128 v[9:12], v[7:8], off
	v_lshlrev_b64 v[7:8], 3, v[5:6]
	s_delay_alu instid0(VALU_DEP_1) | instskip(NEXT) | instid1(VALU_DEP_2)
	v_add_co_u32 v7, vcc_lo, s14, v7
	v_add_co_ci_u32_e32 v8, vcc_lo, s15, v8, vcc_lo
	global_load_b64 v[13:14], v[7:8], off
	s_waitcnt vmcnt(1)
	v_mul_f64 v[7:8], v[11:12], -v[1:2]
	v_mul_f64 v[11:12], v[3:4], v[11:12]
	s_delay_alu instid0(VALU_DEP_2) | instskip(NEXT) | instid1(VALU_DEP_2)
	v_fma_f64 v[7:8], v[3:4], v[9:10], v[7:8]
	v_fma_f64 v[9:10], v[1:2], v[9:10], v[11:12]
	s_waitcnt vmcnt(0)
	v_sub_co_u32 v11, vcc_lo, v13, s4
	v_subrev_co_ci_u32_e32 v12, vcc_lo, 0, v14, vcc_lo
	s_delay_alu instid0(VALU_DEP_2) | instskip(NEXT) | instid1(VALU_DEP_1)
	v_mul_lo_u32 v13, 0x89, v11
	v_and_b32_e32 v15, 0x3fff, v13
	s_branch .LBB169_42
.LBB169_41:                             ;   in Loop: Header=BB169_42 Depth=2
	s_or_b32 exec_lo, exec_lo, s6
	s_xor_b32 s6, s7, -1
	s_delay_alu instid0(SALU_CYCLE_1) | instskip(NEXT) | instid1(SALU_CYCLE_1)
	s_and_b32 s6, exec_lo, s6
	s_or_b32 s5, s6, s5
	s_delay_alu instid0(SALU_CYCLE_1)
	s_and_not1_b32 exec_lo, exec_lo, s5
	s_cbranch_execz .LBB169_39
.LBB169_42:                             ;   Parent Loop BB169_40 Depth=1
                                        ; =>  This Loop Header: Depth=2
                                        ;       Child Loop BB169_48 Depth 3
                                        ;       Child Loop BB169_50 Depth 3
	;; [unrolled: 1-line block ×4, first 2 shown]
	s_delay_alu instid0(VALU_DEP_1)
	v_lshl_add_u32 v16, v15, 3, 0
	s_mov_b32 s6, exec_lo
                                        ; implicit-def: $sgpr7
	ds_load_b64 v[13:14], v16
	s_waitcnt lgkmcnt(0)
	v_cmpx_ne_u64_e64 v[13:14], v[11:12]
	s_xor_b32 s6, exec_lo, s6
	s_cbranch_execz .LBB169_54
; %bb.43:                               ;   in Loop: Header=BB169_42 Depth=2
	s_mov_b32 s8, exec_lo
                                        ; implicit-def: $sgpr7
	v_cmpx_ne_u64_e64 s[34:35], v[13:14]
	s_xor_b32 s8, exec_lo, s8
; %bb.44:                               ;   in Loop: Header=BB169_42 Depth=2
	v_add_nc_u32_e32 v13, 1, v15
	s_mov_b32 s7, -1
                                        ; implicit-def: $vgpr16
	s_delay_alu instid0(VALU_DEP_1)
	v_and_b32_e32 v15, 0x3fff, v13
; %bb.45:                               ;   in Loop: Header=BB169_42 Depth=2
	s_and_not1_saveexec_b32 s8, s8
	s_cbranch_execz .LBB169_53
; %bb.46:                               ;   in Loop: Header=BB169_42 Depth=2
	v_dual_mov_b32 v13, s34 :: v_dual_mov_b32 v14, s35
	s_mov_b32 s10, -1
	s_mov_b32 s9, exec_lo
	ds_cmpstore_rtn_b64 v[13:14], v16, v[11:12], v[13:14]
	s_waitcnt lgkmcnt(0)
	v_cmpx_eq_u64_e64 s[34:35], v[13:14]
	s_cbranch_execz .LBB169_52
; %bb.47:                               ;   in Loop: Header=BB169_42 Depth=2
	v_lshlrev_b32_e32 v13, 4, v15
	s_mov_b32 s10, 0
	s_delay_alu instid0(VALU_DEP_1)
	v_add3_u32 v16, 0, v13, 0x20000
	ds_load_b64 v[13:14], v16
.LBB169_48:                             ;   Parent Loop BB169_40 Depth=1
                                        ;     Parent Loop BB169_42 Depth=2
                                        ; =>    This Inner Loop Header: Depth=3
	s_waitcnt lgkmcnt(0)
	v_add_f64 v[17:18], v[13:14], v[7:8]
	ds_cmpstore_rtn_b64 v[17:18], v16, v[17:18], v[13:14]
	s_waitcnt lgkmcnt(0)
	v_cmp_eq_u64_e32 vcc_lo, v[17:18], v[13:14]
	v_dual_mov_b32 v13, v17 :: v_dual_mov_b32 v14, v18
	s_or_b32 s10, vcc_lo, s10
	s_delay_alu instid0(SALU_CYCLE_1)
	s_and_not1_b32 exec_lo, exec_lo, s10
	s_cbranch_execnz .LBB169_48
; %bb.49:                               ;   in Loop: Header=BB169_42 Depth=2
	s_or_b32 exec_lo, exec_lo, s10
	ds_load_b64 v[13:14], v16 offset:8
	s_mov_b32 s10, 0
.LBB169_50:                             ;   Parent Loop BB169_40 Depth=1
                                        ;     Parent Loop BB169_42 Depth=2
                                        ; =>    This Inner Loop Header: Depth=3
	s_waitcnt lgkmcnt(0)
	v_add_f64 v[17:18], v[13:14], v[9:10]
	ds_cmpstore_rtn_b64 v[17:18], v16, v[17:18], v[13:14] offset:8
	s_waitcnt lgkmcnt(0)
	v_cmp_eq_u64_e32 vcc_lo, v[17:18], v[13:14]
	v_dual_mov_b32 v13, v17 :: v_dual_mov_b32 v14, v18
	s_or_b32 s10, vcc_lo, s10
	s_delay_alu instid0(SALU_CYCLE_1)
	s_and_not1_b32 exec_lo, exec_lo, s10
	s_cbranch_execnz .LBB169_50
; %bb.51:                               ;   in Loop: Header=BB169_42 Depth=2
	s_or_b32 exec_lo, exec_lo, s10
	s_delay_alu instid0(SALU_CYCLE_1)
	s_xor_b32 s10, exec_lo, -1
.LBB169_52:                             ;   in Loop: Header=BB169_42 Depth=2
	s_or_b32 exec_lo, exec_lo, s9
	s_delay_alu instid0(SALU_CYCLE_1) | instskip(SKIP_1) | instid1(SALU_CYCLE_1)
	s_and_not1_b32 s7, s7, exec_lo
	s_and_b32 s9, s10, exec_lo
	s_or_b32 s7, s7, s9
.LBB169_53:                             ;   in Loop: Header=BB169_42 Depth=2
	s_or_b32 exec_lo, exec_lo, s8
	s_delay_alu instid0(SALU_CYCLE_1)
	s_and_b32 s7, s7, exec_lo
.LBB169_54:                             ;   in Loop: Header=BB169_42 Depth=2
	s_and_not1_saveexec_b32 s6, s6
	s_cbranch_execz .LBB169_41
; %bb.55:                               ;   in Loop: Header=BB169_42 Depth=2
	v_lshlrev_b32_e32 v13, 4, v15
	s_mov_b32 s8, 0
	s_delay_alu instid0(VALU_DEP_1)
	v_add3_u32 v16, 0, v13, 0x20000
	ds_load_b64 v[13:14], v16
.LBB169_56:                             ;   Parent Loop BB169_40 Depth=1
                                        ;     Parent Loop BB169_42 Depth=2
                                        ; =>    This Inner Loop Header: Depth=3
	s_waitcnt lgkmcnt(0)
	v_add_f64 v[17:18], v[13:14], v[7:8]
	ds_cmpstore_rtn_b64 v[17:18], v16, v[17:18], v[13:14]
	s_waitcnt lgkmcnt(0)
	v_cmp_eq_u64_e32 vcc_lo, v[17:18], v[13:14]
	v_dual_mov_b32 v13, v17 :: v_dual_mov_b32 v14, v18
	s_or_b32 s8, vcc_lo, s8
	s_delay_alu instid0(SALU_CYCLE_1)
	s_and_not1_b32 exec_lo, exec_lo, s8
	s_cbranch_execnz .LBB169_56
; %bb.57:                               ;   in Loop: Header=BB169_42 Depth=2
	s_or_b32 exec_lo, exec_lo, s8
	ds_load_b64 v[13:14], v16 offset:8
	s_mov_b32 s8, 0
.LBB169_58:                             ;   Parent Loop BB169_40 Depth=1
                                        ;     Parent Loop BB169_42 Depth=2
                                        ; =>    This Inner Loop Header: Depth=3
	s_waitcnt lgkmcnt(0)
	v_add_f64 v[17:18], v[13:14], v[9:10]
	ds_cmpstore_rtn_b64 v[17:18], v16, v[17:18], v[13:14] offset:8
	s_waitcnt lgkmcnt(0)
	v_cmp_eq_u64_e32 vcc_lo, v[17:18], v[13:14]
	v_dual_mov_b32 v13, v17 :: v_dual_mov_b32 v14, v18
	s_or_b32 s8, vcc_lo, s8
	s_delay_alu instid0(SALU_CYCLE_1)
	s_and_not1_b32 exec_lo, exec_lo, s8
	s_cbranch_execnz .LBB169_58
; %bb.59:                               ;   in Loop: Header=BB169_42 Depth=2
	s_or_b32 exec_lo, exec_lo, s8
	s_delay_alu instid0(SALU_CYCLE_1)
	s_and_not1_b32 s7, s7, exec_lo
	s_branch .LBB169_41
.LBB169_60:
	s_or_b32 exec_lo, exec_lo, s3
.LBB169_61:
	v_mbcnt_lo_u32_b32 v1, -1, 0
	v_dual_mov_b32 v5, 0 :: v_dual_lshlrev_b32 v2, 3, v30
	s_add_i32 s41, 0, 0x60078
	v_cmp_eq_u32_e32 vcc_lo, 0x3ff, v0
	s_delay_alu instid0(VALU_DEP_3) | instskip(NEXT) | instid1(VALU_DEP_3)
	v_xor_b32_e32 v1, 63, v1
	v_add3_u32 v10, 0, 0x60000, v2
	v_cmp_lt_u32_e64 s0, 63, v0
	v_cmp_lt_u32_e64 s1, 0x7f, v0
	;; [unrolled: 1-line block ×3, first 2 shown]
	v_lshrrev_b64 v[1:2], v1, -1
	v_mov_b32_e32 v2, 0
	v_cmp_lt_u32_e64 s3, 0xff, v0
	v_cmp_lt_u32_e64 s4, 0x13f, v0
	;; [unrolled: 1-line block ×12, first 2 shown]
	v_add3_u32 v11, v29, 0, 0x20000
	v_dual_mov_b32 v3, 0 :: v_dual_mov_b32 v12, s41
	s_mov_b32 s17, 0
	s_add_i32 s20, 0, 0x60000
	s_add_i32 s21, 0, 0x60008
	;; [unrolled: 1-line block ×15, first 2 shown]
	s_waitcnt lgkmcnt(0)
	s_barrier
	buffer_gl0_inv
	s_branch .LBB169_63
.LBB169_62:                             ;   in Loop: Header=BB169_63 Depth=1
	s_or_b32 exec_lo, exec_lo, s15
	s_waitcnt lgkmcnt(0)
	s_barrier
	buffer_gl0_inv
	ds_load_b64 v[6:7], v12
	v_add_nc_u32_e32 v27, 0x400, v27
	v_add_nc_u32_e32 v11, 0x4000, v11
	;; [unrolled: 1-line block ×3, first 2 shown]
	s_delay_alu instid0(VALU_DEP_3) | instskip(NEXT) | instid1(VALU_DEP_1)
	v_cmp_lt_u32_e64 s15, 0x3bff, v27
	s_or_b32 s17, s15, s17
	s_waitcnt lgkmcnt(0)
	v_add_co_u32 v2, s16, v6, v2
	s_delay_alu instid0(VALU_DEP_1)
	v_add_co_ci_u32_e64 v3, s16, v7, v3, s16
	s_and_not1_b32 exec_lo, exec_lo, s17
	s_cbranch_execz .LBB169_97
.LBB169_63:                             ; =>This Inner Loop Header: Depth=1
	ds_load_b64 v[6:7], v28
	ds_load_2addr_b64 v[13:16], v11 offset1:1
	s_waitcnt lgkmcnt(1)
	v_cmp_gt_i64_e64 s15, s[34:35], v[6:7]
	s_waitcnt lgkmcnt(0)
	scratch_store_b128 off, v[13:16], off
	s_waitcnt_vscnt null, 0x0
	s_barrier
	buffer_gl0_inv
	v_and_b32_e32 v8, s15, v1
	s_bcnt1_i32_b32 s16, s15
	s_delay_alu instid0(SALU_CYCLE_1) | instskip(NEXT) | instid1(VALU_DEP_2)
	v_mov_b32_e32 v4, s16
	v_bcnt_u32_b32 v8, v8, 0
	ds_store_b64 v10, v[4:5]
	s_waitcnt lgkmcnt(0)
	s_barrier
	buffer_gl0_inv
	s_and_saveexec_b32 s16, s0
	s_cbranch_execnz .LBB169_80
; %bb.64:                               ;   in Loop: Header=BB169_63 Depth=1
	s_or_b32 exec_lo, exec_lo, s16
	s_and_saveexec_b32 s16, s1
	s_cbranch_execnz .LBB169_81
.LBB169_65:                             ;   in Loop: Header=BB169_63 Depth=1
	s_or_b32 exec_lo, exec_lo, s16
	s_and_saveexec_b32 s16, s2
	s_cbranch_execnz .LBB169_82
.LBB169_66:                             ;   in Loop: Header=BB169_63 Depth=1
	s_or_b32 exec_lo, exec_lo, s16
	s_and_saveexec_b32 s16, s3
	s_cbranch_execnz .LBB169_83
.LBB169_67:                             ;   in Loop: Header=BB169_63 Depth=1
	s_or_b32 exec_lo, exec_lo, s16
	s_and_saveexec_b32 s16, s4
	s_cbranch_execnz .LBB169_84
.LBB169_68:                             ;   in Loop: Header=BB169_63 Depth=1
	s_or_b32 exec_lo, exec_lo, s16
	s_and_saveexec_b32 s16, s5
	s_cbranch_execnz .LBB169_85
.LBB169_69:                             ;   in Loop: Header=BB169_63 Depth=1
	s_or_b32 exec_lo, exec_lo, s16
	s_and_saveexec_b32 s16, s6
	s_cbranch_execnz .LBB169_86
.LBB169_70:                             ;   in Loop: Header=BB169_63 Depth=1
	s_or_b32 exec_lo, exec_lo, s16
	s_and_saveexec_b32 s16, s7
	s_cbranch_execnz .LBB169_87
.LBB169_71:                             ;   in Loop: Header=BB169_63 Depth=1
	s_or_b32 exec_lo, exec_lo, s16
	s_and_saveexec_b32 s16, s8
	s_cbranch_execnz .LBB169_88
.LBB169_72:                             ;   in Loop: Header=BB169_63 Depth=1
	s_or_b32 exec_lo, exec_lo, s16
	s_and_saveexec_b32 s16, s9
	s_cbranch_execnz .LBB169_89
.LBB169_73:                             ;   in Loop: Header=BB169_63 Depth=1
	s_or_b32 exec_lo, exec_lo, s16
	s_and_saveexec_b32 s16, s10
	s_cbranch_execnz .LBB169_90
.LBB169_74:                             ;   in Loop: Header=BB169_63 Depth=1
	s_or_b32 exec_lo, exec_lo, s16
	s_and_saveexec_b32 s16, s11
	s_cbranch_execnz .LBB169_91
.LBB169_75:                             ;   in Loop: Header=BB169_63 Depth=1
	s_or_b32 exec_lo, exec_lo, s16
	s_and_saveexec_b32 s16, s12
	s_cbranch_execnz .LBB169_92
.LBB169_76:                             ;   in Loop: Header=BB169_63 Depth=1
	s_or_b32 exec_lo, exec_lo, s16
	s_and_saveexec_b32 s16, s13
	s_cbranch_execnz .LBB169_93
.LBB169_77:                             ;   in Loop: Header=BB169_63 Depth=1
	s_or_b32 exec_lo, exec_lo, s16
	s_and_saveexec_b32 s16, s14
	s_cbranch_execnz .LBB169_94
.LBB169_78:                             ;   in Loop: Header=BB169_63 Depth=1
	s_or_b32 exec_lo, exec_lo, s16
	v_ashrrev_i32_e32 v9, 31, v8
	s_and_saveexec_b32 s16, s15
	s_cbranch_execnz .LBB169_95
.LBB169_79:                             ;   in Loop: Header=BB169_63 Depth=1
	s_or_b32 exec_lo, exec_lo, s16
	s_and_saveexec_b32 s15, vcc_lo
	s_cbranch_execz .LBB169_62
	s_branch .LBB169_96
.LBB169_80:                             ;   in Loop: Header=BB169_63 Depth=1
	v_mov_b32_e32 v4, s20
	ds_load_b32 v4, v4
	s_waitcnt lgkmcnt(0)
	v_add_nc_u32_e32 v8, v4, v8
	s_or_b32 exec_lo, exec_lo, s16
	s_and_saveexec_b32 s16, s1
	s_cbranch_execz .LBB169_65
.LBB169_81:                             ;   in Loop: Header=BB169_63 Depth=1
	v_mov_b32_e32 v4, s21
	ds_load_b32 v4, v4
	s_waitcnt lgkmcnt(0)
	v_add_nc_u32_e32 v8, v8, v4
	s_or_b32 exec_lo, exec_lo, s16
	s_and_saveexec_b32 s16, s2
	s_cbranch_execz .LBB169_66
.LBB169_82:                             ;   in Loop: Header=BB169_63 Depth=1
	v_mov_b32_e32 v4, s23
	ds_load_b32 v4, v4
	s_waitcnt lgkmcnt(0)
	v_add_nc_u32_e32 v8, v8, v4
	s_or_b32 exec_lo, exec_lo, s16
	s_and_saveexec_b32 s16, s3
	s_cbranch_execz .LBB169_67
.LBB169_83:                             ;   in Loop: Header=BB169_63 Depth=1
	v_mov_b32_e32 v4, s28
	ds_load_b32 v4, v4
	s_waitcnt lgkmcnt(0)
	v_add_nc_u32_e32 v8, v8, v4
	s_or_b32 exec_lo, exec_lo, s16
	s_and_saveexec_b32 s16, s4
	s_cbranch_execz .LBB169_68
.LBB169_84:                             ;   in Loop: Header=BB169_63 Depth=1
	v_mov_b32_e32 v4, s29
	ds_load_b32 v4, v4
	s_waitcnt lgkmcnt(0)
	v_add_nc_u32_e32 v8, v8, v4
	s_or_b32 exec_lo, exec_lo, s16
	s_and_saveexec_b32 s16, s5
	s_cbranch_execz .LBB169_69
.LBB169_85:                             ;   in Loop: Header=BB169_63 Depth=1
	v_mov_b32_e32 v4, s30
	ds_load_b32 v4, v4
	s_waitcnt lgkmcnt(0)
	v_add_nc_u32_e32 v8, v8, v4
	s_or_b32 exec_lo, exec_lo, s16
	s_and_saveexec_b32 s16, s6
	s_cbranch_execz .LBB169_70
.LBB169_86:                             ;   in Loop: Header=BB169_63 Depth=1
	v_mov_b32_e32 v4, s31
	ds_load_b32 v4, v4
	s_waitcnt lgkmcnt(0)
	v_add_nc_u32_e32 v8, v8, v4
	s_or_b32 exec_lo, exec_lo, s16
	s_and_saveexec_b32 s16, s7
	s_cbranch_execz .LBB169_71
.LBB169_87:                             ;   in Loop: Header=BB169_63 Depth=1
	v_mov_b32_e32 v4, s33
	ds_load_b32 v4, v4
	s_waitcnt lgkmcnt(0)
	v_add_nc_u32_e32 v8, v8, v4
	s_or_b32 exec_lo, exec_lo, s16
	s_and_saveexec_b32 s16, s8
	s_cbranch_execz .LBB169_72
.LBB169_88:                             ;   in Loop: Header=BB169_63 Depth=1
	v_mov_b32_e32 v4, s38
	ds_load_b32 v4, v4
	s_waitcnt lgkmcnt(0)
	v_add_nc_u32_e32 v8, v8, v4
	s_or_b32 exec_lo, exec_lo, s16
	s_and_saveexec_b32 s16, s9
	s_cbranch_execz .LBB169_73
.LBB169_89:                             ;   in Loop: Header=BB169_63 Depth=1
	v_mov_b32_e32 v4, s39
	ds_load_b32 v4, v4
	s_waitcnt lgkmcnt(0)
	v_add_nc_u32_e32 v8, v8, v4
	s_or_b32 exec_lo, exec_lo, s16
	s_and_saveexec_b32 s16, s10
	s_cbranch_execz .LBB169_74
.LBB169_90:                             ;   in Loop: Header=BB169_63 Depth=1
	v_mov_b32_e32 v4, s40
	ds_load_b32 v4, v4
	s_waitcnt lgkmcnt(0)
	v_add_nc_u32_e32 v8, v8, v4
	s_or_b32 exec_lo, exec_lo, s16
	s_and_saveexec_b32 s16, s11
	s_cbranch_execz .LBB169_75
.LBB169_91:                             ;   in Loop: Header=BB169_63 Depth=1
	v_mov_b32_e32 v4, s42
	ds_load_b32 v4, v4
	s_waitcnt lgkmcnt(0)
	v_add_nc_u32_e32 v8, v8, v4
	s_or_b32 exec_lo, exec_lo, s16
	s_and_saveexec_b32 s16, s12
	s_cbranch_execz .LBB169_76
.LBB169_92:                             ;   in Loop: Header=BB169_63 Depth=1
	v_mov_b32_e32 v4, s43
	ds_load_b32 v4, v4
	s_waitcnt lgkmcnt(0)
	v_add_nc_u32_e32 v8, v8, v4
	s_or_b32 exec_lo, exec_lo, s16
	s_and_saveexec_b32 s16, s13
	s_cbranch_execz .LBB169_77
.LBB169_93:                             ;   in Loop: Header=BB169_63 Depth=1
	v_mov_b32_e32 v4, s44
	ds_load_b32 v4, v4
	s_waitcnt lgkmcnt(0)
	v_add_nc_u32_e32 v8, v8, v4
	s_or_b32 exec_lo, exec_lo, s16
	s_and_saveexec_b32 s16, s14
	s_cbranch_execz .LBB169_78
.LBB169_94:                             ;   in Loop: Header=BB169_63 Depth=1
	v_mov_b32_e32 v4, s45
	ds_load_b32 v4, v4
	s_waitcnt lgkmcnt(0)
	v_add_nc_u32_e32 v8, v8, v4
	s_or_b32 exec_lo, exec_lo, s16
	s_delay_alu instid0(VALU_DEP_1)
	v_ashrrev_i32_e32 v9, 31, v8
	s_and_saveexec_b32 s16, s15
	s_cbranch_execz .LBB169_79
.LBB169_95:                             ;   in Loop: Header=BB169_63 Depth=1
	scratch_load_b128 v[13:16], off, off
	v_add3_u32 v4, v2, -1, v8
	s_delay_alu instid0(VALU_DEP_1) | instskip(SKIP_1) | instid1(VALU_DEP_2)
	v_lshlrev_b32_e32 v17, 4, v4
	v_lshl_add_u32 v4, v4, 3, 0
	v_add3_u32 v17, 0, v17, 0x20000
	ds_store_b64 v4, v[6:7]
	s_waitcnt vmcnt(0)
	ds_store_2addr_b64 v17, v[13:14], v[15:16] offset1:1
	s_or_b32 exec_lo, exec_lo, s16
	s_and_saveexec_b32 s15, vcc_lo
	s_cbranch_execz .LBB169_62
.LBB169_96:                             ;   in Loop: Header=BB169_63 Depth=1
	v_mov_b32_e32 v4, s41
	ds_store_b64 v4, v[8:9]
	s_branch .LBB169_62
.LBB169_97:
	s_or_b32 exec_lo, exec_lo, s17
	s_lshl_b64 s[0:1], s[36:37], 3
	v_mov_b32_e32 v1, 0
	s_add_u32 s0, s18, s0
	s_addc_u32 s1, s19, s1
	s_mov_b32 s6, exec_lo
	s_load_b128 s[0:3], s[0:1], 0x0
	s_waitcnt lgkmcnt(0)
	s_sub_u32 s4, s2, s0
	s_subb_u32 s5, s3, s1
	s_delay_alu instid0(SALU_CYCLE_1)
	v_cmpx_gt_i64_e64 s[4:5], v[0:1]
	s_cbranch_execz .LBB169_107
; %bb.98:
	s_sub_u32 s8, s0, s22
	s_subb_u32 s9, s1, 0
	s_and_b32 s6, s4, 7
	s_sub_u32 s0, s0, s2
	s_subb_u32 s1, s1, s3
	s_mov_b32 s7, 0
	v_cmp_lt_u64_e64 s12, s[0:1], -7
	s_and_b32 s2, s4, -8
	s_cmp_lg_u64 s[6:7], 0
	s_mov_b32 s3, s5
	s_cselect_b32 s13, -1, 0
	s_mov_b32 s14, s7
	s_branch .LBB169_100
.LBB169_99:                             ;   in Loop: Header=BB169_100 Depth=1
	v_lshlrev_b32_e32 v6, 4, v0
	s_waitcnt lgkmcnt(0)
	v_add_co_u32 v2, vcc_lo, v2, s22
	v_lshlrev_b64 v[10:11], 3, v[4:5]
	v_add_co_ci_u32_e32 v3, vcc_lo, 0, v3, vcc_lo
	v_add3_u32 v6, 0, v6, 0x20000
	v_add_co_u32 v0, vcc_lo, 0x400, v0
	v_add_co_ci_u32_e32 v1, vcc_lo, 0, v1, vcc_lo
	ds_load_2addr_b64 v[6:9], v6 offset1:1
	v_lshlrev_b64 v[4:5], 4, v[4:5]
	v_add_co_u32 v10, vcc_lo, s24, v10
	v_add_co_ci_u32_e32 v11, vcc_lo, s25, v11, vcc_lo
	v_cmp_le_i64_e32 vcc_lo, s[4:5], v[0:1]
	s_delay_alu instid0(VALU_DEP_4) | instskip(NEXT) | instid1(VALU_DEP_1)
	v_add_co_u32 v4, s0, s26, v4
	v_add_co_ci_u32_e64 v5, s0, s27, v5, s0
	global_store_b64 v[10:11], v[2:3], off
	s_waitcnt lgkmcnt(0)
	global_store_b128 v[4:5], v[6:9], off
	s_or_b32 s14, vcc_lo, s14
	s_delay_alu instid0(SALU_CYCLE_1)
	s_and_not1_b32 exec_lo, exec_lo, s14
	s_cbranch_execz .LBB169_107
.LBB169_100:                            ; =>This Loop Header: Depth=1
                                        ;     Child Loop BB169_102 Depth 2
                                        ;     Child Loop BB169_106 Depth 2
	v_lshl_add_u32 v2, v0, 3, 0
	v_dual_mov_b32 v4, s8 :: v_dual_mov_b32 v5, s9
	s_and_not1_b32 vcc_lo, exec_lo, s12
	s_mov_b64 s[0:1], 0
	ds_load_b64 v[2:3], v2
	s_cbranch_vccnz .LBB169_104
; %bb.101:                              ;   in Loop: Header=BB169_100 Depth=1
	v_dual_mov_b32 v4, s8 :: v_dual_mov_b32 v5, s9
	s_mov_b64 s[10:11], 0
	s_mov_b32 s1, 0
.LBB169_102:                            ;   Parent Loop BB169_100 Depth=1
                                        ; =>  This Inner Loop Header: Depth=2
	s_delay_alu instid0(SALU_CYCLE_1)
	v_mov_b32_e32 v18, s1
	s_add_u32 s10, s10, 8
	s_addc_u32 s11, s11, 0
	s_add_i32 s1, s1, 64
	s_cmp_eq_u64 s[2:3], s[10:11]
	ds_load_2addr_b64 v[6:9], v18 offset1:1
	ds_load_2addr_b64 v[10:13], v18 offset0:2 offset1:3
	ds_load_2addr_b64 v[14:17], v18 offset0:4 offset1:5
	;; [unrolled: 1-line block ×3, first 2 shown]
	s_waitcnt lgkmcnt(3)
	v_cmp_gt_i64_e32 vcc_lo, v[2:3], v[6:7]
	v_cndmask_b32_e64 v6, 0, 1, vcc_lo
	v_cmp_gt_i64_e32 vcc_lo, v[2:3], v[8:9]
	v_cndmask_b32_e64 v7, 0, 1, vcc_lo
	s_waitcnt lgkmcnt(2)
	v_cmp_gt_i64_e32 vcc_lo, v[2:3], v[10:11]
	v_cndmask_b32_e64 v8, 0, 1, vcc_lo
	v_cmp_gt_i64_e32 vcc_lo, v[2:3], v[12:13]
	v_cndmask_b32_e64 v9, 0, 1, vcc_lo
	s_waitcnt lgkmcnt(1)
	v_cmp_gt_i64_e32 vcc_lo, v[2:3], v[14:15]
	v_cndmask_b32_e64 v10, 0, 1, vcc_lo
	v_add_co_u32 v4, vcc_lo, v4, v6
	v_add_co_ci_u32_e32 v5, vcc_lo, 0, v5, vcc_lo
	v_cmp_gt_i64_e32 vcc_lo, v[2:3], v[16:17]
	s_delay_alu instid0(VALU_DEP_3) | instskip(NEXT) | instid1(VALU_DEP_1)
	v_add_co_u32 v4, s0, v4, v7
	v_add_co_ci_u32_e64 v5, s0, 0, v5, s0
	v_cndmask_b32_e64 v6, 0, 1, vcc_lo
	s_delay_alu instid0(VALU_DEP_3) | instskip(NEXT) | instid1(VALU_DEP_3)
	v_add_co_u32 v4, vcc_lo, v4, v8
	v_add_co_ci_u32_e32 v5, vcc_lo, 0, v5, vcc_lo
	s_waitcnt lgkmcnt(0)
	v_cmp_gt_i64_e32 vcc_lo, v[2:3], v[18:19]
	s_delay_alu instid0(VALU_DEP_3) | instskip(NEXT) | instid1(VALU_DEP_1)
	v_add_co_u32 v4, s0, v4, v9
	v_add_co_ci_u32_e64 v5, s0, 0, v5, s0
	v_cndmask_b32_e64 v7, 0, 1, vcc_lo
	s_delay_alu instid0(VALU_DEP_3) | instskip(NEXT) | instid1(VALU_DEP_3)
	v_add_co_u32 v4, vcc_lo, v4, v10
	v_add_co_ci_u32_e32 v5, vcc_lo, 0, v5, vcc_lo
	v_cmp_gt_i64_e32 vcc_lo, v[2:3], v[20:21]
	s_delay_alu instid0(VALU_DEP_3) | instskip(NEXT) | instid1(VALU_DEP_1)
	v_add_co_u32 v4, s0, v4, v6
	v_add_co_ci_u32_e64 v5, s0, 0, v5, s0
	v_cndmask_b32_e64 v6, 0, 1, vcc_lo
	s_delay_alu instid0(VALU_DEP_3) | instskip(NEXT) | instid1(VALU_DEP_3)
	v_add_co_u32 v4, vcc_lo, v4, v7
	v_add_co_ci_u32_e32 v5, vcc_lo, 0, v5, vcc_lo
	s_delay_alu instid0(VALU_DEP_2) | instskip(NEXT) | instid1(VALU_DEP_2)
	v_add_co_u32 v4, vcc_lo, v4, v6
	v_add_co_ci_u32_e32 v5, vcc_lo, 0, v5, vcc_lo
	s_cbranch_scc0 .LBB169_102
; %bb.103:                              ;   in Loop: Header=BB169_100 Depth=1
	s_mov_b64 s[0:1], s[2:3]
.LBB169_104:                            ;   in Loop: Header=BB169_100 Depth=1
	s_and_not1_b32 vcc_lo, exec_lo, s13
	s_cbranch_vccnz .LBB169_99
; %bb.105:                              ;   in Loop: Header=BB169_100 Depth=1
	s_lshl_b32 s0, s0, 3
	s_delay_alu instid0(SALU_CYCLE_1)
	s_add_i32 s10, s0, 0
	s_mov_b64 s[0:1], s[6:7]
.LBB169_106:                            ;   Parent Loop BB169_100 Depth=1
                                        ; =>  This Inner Loop Header: Depth=2
	v_mov_b32_e32 v6, s10
	s_add_i32 s10, s10, 8
	s_add_u32 s0, s0, -1
	s_addc_u32 s1, s1, -1
	s_delay_alu instid0(SALU_CYCLE_1) | instskip(SKIP_4) | instid1(VALU_DEP_1)
	s_cmp_lg_u64 s[0:1], 0
	ds_load_b64 v[6:7], v6
	s_waitcnt lgkmcnt(0)
	v_cmp_gt_i64_e32 vcc_lo, v[2:3], v[6:7]
	v_cndmask_b32_e64 v6, 0, 1, vcc_lo
	v_add_co_u32 v4, vcc_lo, v4, v6
	v_add_co_ci_u32_e32 v5, vcc_lo, 0, v5, vcc_lo
	s_cbranch_scc1 .LBB169_106
	s_branch .LBB169_99
.LBB169_107:
	s_nop 0
	s_sendmsg sendmsg(MSG_DEALLOC_VGPRS)
	s_endpgm
	.section	.rodata,"a",@progbits
	.p2align	6, 0x0
	.amdhsa_kernel _ZN9rocsparseL26csrgemm_fill_block_per_rowILj1024ELj64ELj16384ELj137ELj64Ell21rocsparse_complex_numIdEEEvT5_PKS3_S5_NS_24const_host_device_scalarIT6_EEPKT4_S5_PKS7_SB_S5_SD_S8_SB_S5_SD_SB_PS3_PS7_21rocsparse_index_base_SG_SG_SG_bbb
		.amdhsa_group_segment_fixed_size 0
		.amdhsa_private_segment_fixed_size 40
		.amdhsa_kernarg_size 172
		.amdhsa_user_sgpr_count 15
		.amdhsa_user_sgpr_dispatch_ptr 0
		.amdhsa_user_sgpr_queue_ptr 0
		.amdhsa_user_sgpr_kernarg_segment_ptr 1
		.amdhsa_user_sgpr_dispatch_id 0
		.amdhsa_user_sgpr_private_segment_size 0
		.amdhsa_wavefront_size32 1
		.amdhsa_uses_dynamic_stack 0
		.amdhsa_enable_private_segment 1
		.amdhsa_system_sgpr_workgroup_id_x 1
		.amdhsa_system_sgpr_workgroup_id_y 0
		.amdhsa_system_sgpr_workgroup_id_z 0
		.amdhsa_system_sgpr_workgroup_info 0
		.amdhsa_system_vgpr_workitem_id 0
		.amdhsa_next_free_vgpr 37
		.amdhsa_next_free_sgpr 48
		.amdhsa_reserve_vcc 1
		.amdhsa_float_round_mode_32 0
		.amdhsa_float_round_mode_16_64 0
		.amdhsa_float_denorm_mode_32 3
		.amdhsa_float_denorm_mode_16_64 3
		.amdhsa_dx10_clamp 1
		.amdhsa_ieee_mode 1
		.amdhsa_fp16_overflow 0
		.amdhsa_workgroup_processor_mode 1
		.amdhsa_memory_ordered 1
		.amdhsa_forward_progress 0
		.amdhsa_shared_vgpr_count 0
		.amdhsa_exception_fp_ieee_invalid_op 0
		.amdhsa_exception_fp_denorm_src 0
		.amdhsa_exception_fp_ieee_div_zero 0
		.amdhsa_exception_fp_ieee_overflow 0
		.amdhsa_exception_fp_ieee_underflow 0
		.amdhsa_exception_fp_ieee_inexact 0
		.amdhsa_exception_int_div_zero 0
	.end_amdhsa_kernel
	.section	.text._ZN9rocsparseL26csrgemm_fill_block_per_rowILj1024ELj64ELj16384ELj137ELj64Ell21rocsparse_complex_numIdEEEvT5_PKS3_S5_NS_24const_host_device_scalarIT6_EEPKT4_S5_PKS7_SB_S5_SD_S8_SB_S5_SD_SB_PS3_PS7_21rocsparse_index_base_SG_SG_SG_bbb,"axG",@progbits,_ZN9rocsparseL26csrgemm_fill_block_per_rowILj1024ELj64ELj16384ELj137ELj64Ell21rocsparse_complex_numIdEEEvT5_PKS3_S5_NS_24const_host_device_scalarIT6_EEPKT4_S5_PKS7_SB_S5_SD_S8_SB_S5_SD_SB_PS3_PS7_21rocsparse_index_base_SG_SG_SG_bbb,comdat
.Lfunc_end169:
	.size	_ZN9rocsparseL26csrgemm_fill_block_per_rowILj1024ELj64ELj16384ELj137ELj64Ell21rocsparse_complex_numIdEEEvT5_PKS3_S5_NS_24const_host_device_scalarIT6_EEPKT4_S5_PKS7_SB_S5_SD_S8_SB_S5_SD_SB_PS3_PS7_21rocsparse_index_base_SG_SG_SG_bbb, .Lfunc_end169-_ZN9rocsparseL26csrgemm_fill_block_per_rowILj1024ELj64ELj16384ELj137ELj64Ell21rocsparse_complex_numIdEEEvT5_PKS3_S5_NS_24const_host_device_scalarIT6_EEPKT4_S5_PKS7_SB_S5_SD_S8_SB_S5_SD_SB_PS3_PS7_21rocsparse_index_base_SG_SG_SG_bbb
                                        ; -- End function
	.section	.AMDGPU.csdata,"",@progbits
; Kernel info:
; codeLenInByte = 4688
; NumSgprs: 50
; NumVgprs: 37
; ScratchSize: 40
; MemoryBound: 0
; FloatMode: 240
; IeeeMode: 1
; LDSByteSize: 0 bytes/workgroup (compile time only)
; SGPRBlocks: 6
; VGPRBlocks: 4
; NumSGPRsForWavesPerEU: 50
; NumVGPRsForWavesPerEU: 37
; Occupancy: 16
; WaveLimiterHint : 1
; COMPUTE_PGM_RSRC2:SCRATCH_EN: 1
; COMPUTE_PGM_RSRC2:USER_SGPR: 15
; COMPUTE_PGM_RSRC2:TRAP_HANDLER: 0
; COMPUTE_PGM_RSRC2:TGID_X_EN: 1
; COMPUTE_PGM_RSRC2:TGID_Y_EN: 0
; COMPUTE_PGM_RSRC2:TGID_Z_EN: 0
; COMPUTE_PGM_RSRC2:TIDIG_COMP_CNT: 0
	.section	.text._ZN9rocsparseL26csrgemm_fill_block_per_rowILj1024ELj64ELj32768ELj137ELj32Ell21rocsparse_complex_numIdEEEvT5_PKS3_S5_NS_24const_host_device_scalarIT6_EEPKT4_S5_PKS7_SB_S5_SD_S8_SB_S5_SD_SB_PS3_PS7_21rocsparse_index_base_SG_SG_SG_bbb,"axG",@progbits,_ZN9rocsparseL26csrgemm_fill_block_per_rowILj1024ELj64ELj32768ELj137ELj32Ell21rocsparse_complex_numIdEEEvT5_PKS3_S5_NS_24const_host_device_scalarIT6_EEPKT4_S5_PKS7_SB_S5_SD_S8_SB_S5_SD_SB_PS3_PS7_21rocsparse_index_base_SG_SG_SG_bbb,comdat
	.globl	_ZN9rocsparseL26csrgemm_fill_block_per_rowILj1024ELj64ELj32768ELj137ELj32Ell21rocsparse_complex_numIdEEEvT5_PKS3_S5_NS_24const_host_device_scalarIT6_EEPKT4_S5_PKS7_SB_S5_SD_S8_SB_S5_SD_SB_PS3_PS7_21rocsparse_index_base_SG_SG_SG_bbb ; -- Begin function _ZN9rocsparseL26csrgemm_fill_block_per_rowILj1024ELj64ELj32768ELj137ELj32Ell21rocsparse_complex_numIdEEEvT5_PKS3_S5_NS_24const_host_device_scalarIT6_EEPKT4_S5_PKS7_SB_S5_SD_S8_SB_S5_SD_SB_PS3_PS7_21rocsparse_index_base_SG_SG_SG_bbb
	.p2align	8
	.type	_ZN9rocsparseL26csrgemm_fill_block_per_rowILj1024ELj64ELj32768ELj137ELj32Ell21rocsparse_complex_numIdEEEvT5_PKS3_S5_NS_24const_host_device_scalarIT6_EEPKT4_S5_PKS7_SB_S5_SD_S8_SB_S5_SD_SB_PS3_PS7_21rocsparse_index_base_SG_SG_SG_bbb,@function
_ZN9rocsparseL26csrgemm_fill_block_per_rowILj1024ELj64ELj32768ELj137ELj32Ell21rocsparse_complex_numIdEEEvT5_PKS3_S5_NS_24const_host_device_scalarIT6_EEPKT4_S5_PKS7_SB_S5_SD_S8_SB_S5_SD_SB_PS3_PS7_21rocsparse_index_base_SG_SG_SG_bbb: ; @_ZN9rocsparseL26csrgemm_fill_block_per_rowILj1024ELj64ELj32768ELj137ELj32Ell21rocsparse_complex_numIdEEEvT5_PKS3_S5_NS_24const_host_device_scalarIT6_EEPKT4_S5_PKS7_SB_S5_SD_S8_SB_S5_SD_SB_PS3_PS7_21rocsparse_index_base_SG_SG_SG_bbb
; %bb.0:
	s_clause 0x3
	s_load_b32 s27, s[0:1], 0xa8
	s_load_b128 s[4:7], s[0:1], 0x18
	s_load_b128 s[16:19], s[0:1], 0x58
	;; [unrolled: 1-line block ×3, first 2 shown]
	v_mov_b32_e32 v1, 0
	v_mov_b32_e32 v2, 0
	s_mov_b32 s24, s15
	s_waitcnt lgkmcnt(0)
	s_bitcmp1_b32 s27, 0
	v_mov_b32_e32 v3, s4
	s_cselect_b32 s26, -1, 0
	s_bitcmp1_b32 s27, 16
	v_dual_mov_b32 v6, v2 :: v_dual_mov_b32 v5, v1
	s_cselect_b32 s2, -1, 0
	v_mov_b32_e32 v4, s5
	s_xor_b32 s25, s2, -1
	v_dual_mov_b32 v9, s16 :: v_dual_mov_b32 v10, s17
	v_cndmask_b32_e64 v7, 0, 1, s25
	s_bitcmp0_b32 s27, 0
	s_clause 0x1
	scratch_store_b64 off, v[3:4], off offset:16
	scratch_store_b64 off, v[9:10], off offset:24
	v_cmp_ne_u32_e32 vcc_lo, 1, v7
	v_dual_mov_b32 v8, v2 :: v_dual_mov_b32 v7, v1
	s_cbranch_scc1 .LBB170_3
; %bb.1:
	s_mov_b64 s[8:9], src_private_base
	s_and_b32 s3, s2, exec_lo
	s_cselect_b32 s3, s9, s5
	s_delay_alu instid0(SALU_CYCLE_1) | instskip(SKIP_2) | instid1(VALU_DEP_2)
	v_dual_mov_b32 v3, 16 :: v_dual_mov_b32 v4, s3
	v_dual_mov_b32 v8, s7 :: v_dual_mov_b32 v7, s6
	s_and_b32 vcc_lo, exec_lo, vcc_lo
	v_cndmask_b32_e64 v3, s4, v3, s2
	flat_load_b64 v[5:6], v[3:4]
	s_cbranch_vccnz .LBB170_3
; %bb.2:
	v_dual_mov_b32 v3, s4 :: v_dual_mov_b32 v4, s5
	flat_load_b64 v[7:8], v[3:4] offset:8
.LBB170_3:
	s_clause 0x4
	s_load_b128 s[48:51], s[0:1], 0x88
	s_load_b256 s[36:43], s[0:1], 0x68
	s_load_b128 s[12:15], s[0:1], 0x48
	s_load_b128 s[20:23], s[0:1], 0x8
	s_load_b256 s[4:11], s[0:1], 0x28
	s_bitcmp1_b32 s27, 8
	v_dual_mov_b32 v4, v2 :: v_dual_mov_b32 v3, v1
	s_cselect_b32 s3, -1, 0
	s_bfe_u32 s27, s27, 0x10008
	s_delay_alu instid0(SALU_CYCLE_1)
	s_cmp_eq_u32 s27, 0
	s_cbranch_scc1 .LBB170_6
; %bb.4:
	s_mov_b64 s[28:29], src_private_base
	s_and_b32 s27, s2, exec_lo
	s_cselect_b32 s27, s29, s17
	s_delay_alu instid0(SALU_CYCLE_1) | instskip(SKIP_1) | instid1(VALU_DEP_1)
	v_dual_mov_b32 v1, 24 :: v_dual_mov_b32 v2, s27
	s_and_not1_b32 vcc_lo, exec_lo, s25
	v_cndmask_b32_e64 v1, s16, v1, s2
	flat_load_b64 v[3:4], v[1:2]
	v_dual_mov_b32 v1, s18 :: v_dual_mov_b32 v2, s19
	s_cbranch_vccnz .LBB170_6
; %bb.5:
	v_dual_mov_b32 v1, s16 :: v_dual_mov_b32 v2, s17
	flat_load_b64 v[1:2], v[1:2] offset:8
.LBB170_6:
	s_load_b64 s[34:35], s[0:1], 0x0
	s_mov_b32 s0, 0
	v_or_b32_e32 v27, 0xfffffc00, v0
	v_lshl_add_u32 v28, v0, 3, 0
	s_mov_b32 s1, s0
	s_delay_alu instid0(SALU_CYCLE_1)
	v_dual_mov_b32 v10, s1 :: v_dual_lshlrev_b32 v29, 4, v0
	s_mov_b32 s16, s0
	s_mov_b32 s17, s0
	v_dual_mov_b32 v11, s16 :: v_dual_mov_b32 v16, v28
	v_dual_mov_b32 v9, s0 :: v_dual_mov_b32 v12, s17
	v_add3_u32 v15, v29, 0, 0x40008
	v_mov_b32_e32 v17, v27
	s_waitcnt lgkmcnt(0)
	v_dual_mov_b32 v13, s34 :: v_dual_mov_b32 v14, s35
.LBB170_7:                              ; =>This Inner Loop Header: Depth=1
	s_delay_alu instid0(VALU_DEP_2)
	v_add_nc_u32_e32 v17, 0x400, v17
	ds_store_b64 v16, v[13:14]
	v_add_nc_u32_e32 v18, -8, v15
	v_add_nc_u32_e32 v15, 0x4000, v15
	v_add_nc_u32_e32 v16, 0x2000, v16
	v_cmp_lt_u32_e32 vcc_lo, 0x7bff, v17
	ds_store_2addr_b64 v18, v[9:10], v[11:12] offset1:1
	s_or_b32 s0, vcc_lo, s0
	s_delay_alu instid0(SALU_CYCLE_1)
	s_and_not1_b32 exec_lo, exec_lo, s0
	s_cbranch_execnz .LBB170_7
; %bb.8:
	s_or_b32 exec_lo, exec_lo, s0
	s_waitcnt vmcnt(0) lgkmcnt(0)
	s_waitcnt_vscnt null, 0x0
	s_barrier
	buffer_gl0_inv
	s_load_b64 s[0:1], s[20:21], 0x0
	s_mov_b32 s25, 0
	s_waitcnt lgkmcnt(0)
	s_lshl_b64 s[0:1], s[0:1], 3
	s_delay_alu instid0(SALU_CYCLE_1) | instskip(SKIP_2) | instid1(SALU_CYCLE_1)
	s_add_u32 s2, s22, s0
	s_addc_u32 s16, s23, s1
	s_lshl_b64 s[0:1], s[24:25], 3
	s_add_u32 s0, s2, s0
	s_addc_u32 s1, s16, s1
	s_and_b32 vcc_lo, exec_lo, s26
	s_load_b64 s[52:53], s[0:1], 0x0
	s_cbranch_vccz .LBB170_36
; %bb.9:
	s_waitcnt lgkmcnt(0)
	s_lshl_b64 s[0:1], s[52:53], 3
	v_lshrrev_b32_e32 v9, 6, v0
	s_add_u32 s0, s4, s0
	s_addc_u32 s1, s5, s1
	s_mov_b32 s2, exec_lo
	s_load_b128 s[16:19], s[0:1], 0x0
	v_sub_co_u32 v9, s0, v9, s44
	s_delay_alu instid0(VALU_DEP_1) | instskip(SKIP_1) | instid1(VALU_DEP_2)
	v_sub_co_ci_u32_e64 v10, null, 0, 0, s0
	s_waitcnt lgkmcnt(0)
	v_add_co_u32 v9, vcc_lo, s16, v9
	s_delay_alu instid0(VALU_DEP_2)
	v_add_co_ci_u32_e32 v10, vcc_lo, s17, v10, vcc_lo
	s_sub_u32 s0, s18, s44
	s_subb_u32 s1, s19, 0
	s_delay_alu instid0(VALU_DEP_1) | instid1(SALU_CYCLE_1)
	v_cmpx_gt_i64_e64 s[0:1], v[9:10]
	s_cbranch_execz .LBB170_35
; %bb.10:
	v_and_b32_e32 v11, 63, v0
	s_mov_b32 s5, s45
	s_delay_alu instid0(VALU_DEP_1) | instskip(NEXT) | instid1(VALU_DEP_1)
	v_sub_co_u32 v30, s4, v11, s45
	v_sub_co_ci_u32_e64 v31, null, 0, 0, s4
	s_mov_b32 s4, 0
	s_branch .LBB170_12
.LBB170_11:                             ;   in Loop: Header=BB170_12 Depth=1
	s_or_b32 exec_lo, exec_lo, s16
	v_add_co_u32 v9, vcc_lo, v9, 16
	v_add_co_ci_u32_e32 v10, vcc_lo, 0, v10, vcc_lo
	s_delay_alu instid0(VALU_DEP_1) | instskip(SKIP_1) | instid1(SALU_CYCLE_1)
	v_cmp_le_i64_e32 vcc_lo, s[0:1], v[9:10]
	s_or_b32 s4, vcc_lo, s4
	s_and_not1_b32 exec_lo, exec_lo, s4
	s_cbranch_execz .LBB170_35
.LBB170_12:                             ; =>This Loop Header: Depth=1
                                        ;     Child Loop BB170_15 Depth 2
                                        ;       Child Loop BB170_17 Depth 3
                                        ;         Child Loop BB170_23 Depth 4
                                        ;         Child Loop BB170_25 Depth 4
	;; [unrolled: 1-line block ×4, first 2 shown]
	v_lshlrev_b64 v[11:12], 3, v[9:10]
	s_mov_b32 s16, exec_lo
	s_delay_alu instid0(VALU_DEP_1) | instskip(NEXT) | instid1(VALU_DEP_2)
	v_add_co_u32 v11, vcc_lo, s6, v11
	v_add_co_ci_u32_e32 v12, vcc_lo, s7, v12, vcc_lo
	global_load_b64 v[11:12], v[11:12], off
	s_waitcnt vmcnt(0)
	v_sub_co_u32 v11, vcc_lo, v11, s44
	v_subrev_co_ci_u32_e32 v12, vcc_lo, 0, v12, vcc_lo
	s_delay_alu instid0(VALU_DEP_1) | instskip(NEXT) | instid1(VALU_DEP_1)
	v_lshlrev_b64 v[11:12], 3, v[11:12]
	v_add_co_u32 v11, vcc_lo, s10, v11
	s_delay_alu instid0(VALU_DEP_2)
	v_add_co_ci_u32_e32 v12, vcc_lo, s11, v12, vcc_lo
	global_load_b128 v[13:16], v[11:12], off
	s_waitcnt vmcnt(0)
	v_sub_co_u32 v11, vcc_lo, v15, s5
	v_subrev_co_ci_u32_e32 v12, vcc_lo, 0, v16, vcc_lo
	v_add_co_u32 v13, vcc_lo, v13, v30
	v_add_co_ci_u32_e32 v14, vcc_lo, v14, v31, vcc_lo
	s_delay_alu instid0(VALU_DEP_1)
	v_cmpx_lt_i64_e64 v[13:14], v[11:12]
	s_cbranch_execz .LBB170_11
; %bb.13:                               ;   in Loop: Header=BB170_12 Depth=1
	v_lshlrev_b64 v[15:16], 4, v[9:10]
	s_mov_b32 s17, 0
	s_delay_alu instid0(VALU_DEP_1) | instskip(NEXT) | instid1(VALU_DEP_2)
	v_add_co_u32 v15, vcc_lo, s8, v15
	v_add_co_ci_u32_e32 v16, vcc_lo, s9, v16, vcc_lo
	global_load_b128 v[17:20], v[15:16], off
	s_waitcnt vmcnt(0)
	v_mul_f64 v[15:16], v[19:20], -v[7:8]
	v_mul_f64 v[19:20], v[5:6], v[19:20]
	s_delay_alu instid0(VALU_DEP_2) | instskip(NEXT) | instid1(VALU_DEP_2)
	v_fma_f64 v[15:16], v[5:6], v[17:18], v[15:16]
	v_fma_f64 v[17:18], v[7:8], v[17:18], v[19:20]
	s_branch .LBB170_15
.LBB170_14:                             ;   in Loop: Header=BB170_15 Depth=2
	s_or_b32 exec_lo, exec_lo, s18
	v_add_co_u32 v13, vcc_lo, v13, 64
	v_add_co_ci_u32_e32 v14, vcc_lo, 0, v14, vcc_lo
	s_delay_alu instid0(VALU_DEP_1) | instskip(SKIP_1) | instid1(SALU_CYCLE_1)
	v_cmp_ge_i64_e32 vcc_lo, v[13:14], v[11:12]
	s_or_b32 s17, vcc_lo, s17
	s_and_not1_b32 exec_lo, exec_lo, s17
	s_cbranch_execz .LBB170_11
.LBB170_15:                             ;   Parent Loop BB170_12 Depth=1
                                        ; =>  This Loop Header: Depth=2
                                        ;       Child Loop BB170_17 Depth 3
                                        ;         Child Loop BB170_23 Depth 4
                                        ;         Child Loop BB170_25 Depth 4
	;; [unrolled: 1-line block ×4, first 2 shown]
	v_lshlrev_b64 v[19:20], 4, v[13:14]
	s_mov_b32 s18, 0
	s_delay_alu instid0(VALU_DEP_1) | instskip(NEXT) | instid1(VALU_DEP_2)
	v_add_co_u32 v19, vcc_lo, s14, v19
	v_add_co_ci_u32_e32 v20, vcc_lo, s15, v20, vcc_lo
	global_load_b128 v[21:24], v[19:20], off
	v_lshlrev_b64 v[19:20], 3, v[13:14]
	s_delay_alu instid0(VALU_DEP_1) | instskip(NEXT) | instid1(VALU_DEP_2)
	v_add_co_u32 v19, vcc_lo, s12, v19
	v_add_co_ci_u32_e32 v20, vcc_lo, s13, v20, vcc_lo
	global_load_b64 v[25:26], v[19:20], off
	s_waitcnt vmcnt(1)
	v_mul_f64 v[19:20], v[23:24], -v[17:18]
	v_mul_f64 v[23:24], v[15:16], v[23:24]
	s_delay_alu instid0(VALU_DEP_2) | instskip(NEXT) | instid1(VALU_DEP_2)
	v_fma_f64 v[19:20], v[15:16], v[21:22], v[19:20]
	v_fma_f64 v[21:22], v[17:18], v[21:22], v[23:24]
	s_waitcnt vmcnt(0)
	v_sub_co_u32 v23, vcc_lo, v25, s5
	v_subrev_co_ci_u32_e32 v24, vcc_lo, 0, v26, vcc_lo
	s_delay_alu instid0(VALU_DEP_2) | instskip(NEXT) | instid1(VALU_DEP_1)
	v_mul_lo_u32 v25, 0x89, v23
	v_and_b32_e32 v32, 0x7fff, v25
	s_branch .LBB170_17
.LBB170_16:                             ;   in Loop: Header=BB170_17 Depth=3
	s_or_b32 exec_lo, exec_lo, s19
	s_xor_b32 s19, s20, -1
	s_delay_alu instid0(SALU_CYCLE_1) | instskip(NEXT) | instid1(SALU_CYCLE_1)
	s_and_b32 s19, exec_lo, s19
	s_or_b32 s18, s19, s18
	s_delay_alu instid0(SALU_CYCLE_1)
	s_and_not1_b32 exec_lo, exec_lo, s18
	s_cbranch_execz .LBB170_14
.LBB170_17:                             ;   Parent Loop BB170_12 Depth=1
                                        ;     Parent Loop BB170_15 Depth=2
                                        ; =>    This Loop Header: Depth=3
                                        ;         Child Loop BB170_23 Depth 4
                                        ;         Child Loop BB170_25 Depth 4
	;; [unrolled: 1-line block ×4, first 2 shown]
	s_delay_alu instid0(VALU_DEP_1)
	v_lshl_add_u32 v33, v32, 3, 0
	s_mov_b32 s19, exec_lo
                                        ; implicit-def: $sgpr20
	ds_load_b64 v[25:26], v33
	s_waitcnt lgkmcnt(0)
	v_cmpx_ne_u64_e64 v[25:26], v[23:24]
	s_xor_b32 s19, exec_lo, s19
	s_cbranch_execz .LBB170_29
; %bb.18:                               ;   in Loop: Header=BB170_17 Depth=3
	s_mov_b32 s21, exec_lo
                                        ; implicit-def: $sgpr20
	v_cmpx_ne_u64_e64 s[34:35], v[25:26]
	s_xor_b32 s21, exec_lo, s21
; %bb.19:                               ;   in Loop: Header=BB170_17 Depth=3
	v_add_nc_u32_e32 v25, 1, v32
	s_mov_b32 s20, -1
                                        ; implicit-def: $vgpr33
	s_delay_alu instid0(VALU_DEP_1)
	v_and_b32_e32 v32, 0x7fff, v25
; %bb.20:                               ;   in Loop: Header=BB170_17 Depth=3
	s_and_not1_saveexec_b32 s21, s21
	s_cbranch_execz .LBB170_28
; %bb.21:                               ;   in Loop: Header=BB170_17 Depth=3
	v_dual_mov_b32 v25, s34 :: v_dual_mov_b32 v26, s35
	s_mov_b32 s23, -1
	s_mov_b32 s22, exec_lo
	ds_cmpstore_rtn_b64 v[25:26], v33, v[23:24], v[25:26]
	s_waitcnt lgkmcnt(0)
	v_cmpx_eq_u64_e64 s[34:35], v[25:26]
	s_cbranch_execz .LBB170_27
; %bb.22:                               ;   in Loop: Header=BB170_17 Depth=3
	v_lshlrev_b32_e32 v25, 4, v32
	s_mov_b32 s23, 0
	s_delay_alu instid0(VALU_DEP_1)
	v_add3_u32 v33, 0, v25, 0x40000
	ds_load_b64 v[25:26], v33
.LBB170_23:                             ;   Parent Loop BB170_12 Depth=1
                                        ;     Parent Loop BB170_15 Depth=2
                                        ;       Parent Loop BB170_17 Depth=3
                                        ; =>      This Inner Loop Header: Depth=4
	s_waitcnt lgkmcnt(0)
	v_add_f64 v[34:35], v[25:26], v[19:20]
	ds_cmpstore_rtn_b64 v[34:35], v33, v[34:35], v[25:26]
	s_waitcnt lgkmcnt(0)
	v_cmp_eq_u64_e32 vcc_lo, v[34:35], v[25:26]
	v_dual_mov_b32 v25, v34 :: v_dual_mov_b32 v26, v35
	s_or_b32 s23, vcc_lo, s23
	s_delay_alu instid0(SALU_CYCLE_1)
	s_and_not1_b32 exec_lo, exec_lo, s23
	s_cbranch_execnz .LBB170_23
; %bb.24:                               ;   in Loop: Header=BB170_17 Depth=3
	s_or_b32 exec_lo, exec_lo, s23
	ds_load_b64 v[25:26], v33 offset:8
	s_mov_b32 s23, 0
.LBB170_25:                             ;   Parent Loop BB170_12 Depth=1
                                        ;     Parent Loop BB170_15 Depth=2
                                        ;       Parent Loop BB170_17 Depth=3
                                        ; =>      This Inner Loop Header: Depth=4
	s_waitcnt lgkmcnt(0)
	v_add_f64 v[34:35], v[25:26], v[21:22]
	ds_cmpstore_rtn_b64 v[34:35], v33, v[34:35], v[25:26] offset:8
	s_waitcnt lgkmcnt(0)
	v_cmp_eq_u64_e32 vcc_lo, v[34:35], v[25:26]
	v_dual_mov_b32 v25, v34 :: v_dual_mov_b32 v26, v35
	s_or_b32 s23, vcc_lo, s23
	s_delay_alu instid0(SALU_CYCLE_1)
	s_and_not1_b32 exec_lo, exec_lo, s23
	s_cbranch_execnz .LBB170_25
; %bb.26:                               ;   in Loop: Header=BB170_17 Depth=3
	s_or_b32 exec_lo, exec_lo, s23
	s_delay_alu instid0(SALU_CYCLE_1)
	s_xor_b32 s23, exec_lo, -1
.LBB170_27:                             ;   in Loop: Header=BB170_17 Depth=3
	s_or_b32 exec_lo, exec_lo, s22
	s_delay_alu instid0(SALU_CYCLE_1) | instskip(SKIP_1) | instid1(SALU_CYCLE_1)
	s_and_not1_b32 s20, s20, exec_lo
	s_and_b32 s22, s23, exec_lo
	s_or_b32 s20, s20, s22
.LBB170_28:                             ;   in Loop: Header=BB170_17 Depth=3
	s_or_b32 exec_lo, exec_lo, s21
	s_delay_alu instid0(SALU_CYCLE_1)
	s_and_b32 s20, s20, exec_lo
.LBB170_29:                             ;   in Loop: Header=BB170_17 Depth=3
	s_and_not1_saveexec_b32 s19, s19
	s_cbranch_execz .LBB170_16
; %bb.30:                               ;   in Loop: Header=BB170_17 Depth=3
	v_lshlrev_b32_e32 v25, 4, v32
	s_mov_b32 s21, 0
	s_delay_alu instid0(VALU_DEP_1)
	v_add3_u32 v33, 0, v25, 0x40000
	ds_load_b64 v[25:26], v33
.LBB170_31:                             ;   Parent Loop BB170_12 Depth=1
                                        ;     Parent Loop BB170_15 Depth=2
                                        ;       Parent Loop BB170_17 Depth=3
                                        ; =>      This Inner Loop Header: Depth=4
	s_waitcnt lgkmcnt(0)
	v_add_f64 v[34:35], v[25:26], v[19:20]
	ds_cmpstore_rtn_b64 v[34:35], v33, v[34:35], v[25:26]
	s_waitcnt lgkmcnt(0)
	v_cmp_eq_u64_e32 vcc_lo, v[34:35], v[25:26]
	v_dual_mov_b32 v25, v34 :: v_dual_mov_b32 v26, v35
	s_or_b32 s21, vcc_lo, s21
	s_delay_alu instid0(SALU_CYCLE_1)
	s_and_not1_b32 exec_lo, exec_lo, s21
	s_cbranch_execnz .LBB170_31
; %bb.32:                               ;   in Loop: Header=BB170_17 Depth=3
	s_or_b32 exec_lo, exec_lo, s21
	ds_load_b64 v[25:26], v33 offset:8
	s_mov_b32 s21, 0
.LBB170_33:                             ;   Parent Loop BB170_12 Depth=1
                                        ;     Parent Loop BB170_15 Depth=2
                                        ;       Parent Loop BB170_17 Depth=3
                                        ; =>      This Inner Loop Header: Depth=4
	s_waitcnt lgkmcnt(0)
	v_add_f64 v[34:35], v[25:26], v[21:22]
	ds_cmpstore_rtn_b64 v[34:35], v33, v[34:35], v[25:26] offset:8
	s_waitcnt lgkmcnt(0)
	v_cmp_eq_u64_e32 vcc_lo, v[34:35], v[25:26]
	v_dual_mov_b32 v25, v34 :: v_dual_mov_b32 v26, v35
	s_or_b32 s21, vcc_lo, s21
	s_delay_alu instid0(SALU_CYCLE_1)
	s_and_not1_b32 exec_lo, exec_lo, s21
	s_cbranch_execnz .LBB170_33
; %bb.34:                               ;   in Loop: Header=BB170_17 Depth=3
	s_or_b32 exec_lo, exec_lo, s21
	s_delay_alu instid0(SALU_CYCLE_1)
	s_and_not1_b32 s20, s20, exec_lo
	s_branch .LBB170_16
.LBB170_35:
	s_or_b32 exec_lo, exec_lo, s2
.LBB170_36:
	s_delay_alu instid0(SALU_CYCLE_1)
	s_and_not1_b32 vcc_lo, exec_lo, s3
	s_cbranch_vccnz .LBB170_61
; %bb.37:
	s_waitcnt lgkmcnt(0)
	s_lshl_b64 s[0:1], s[52:53], 3
	v_sub_co_u32 v5, s4, v0, s47
	s_add_u32 s0, s36, s0
	s_addc_u32 s1, s37, s1
	v_sub_co_ci_u32_e64 v6, null, 0, 0, s4
	s_load_b128 s[0:3], s[0:1], 0x0
	s_waitcnt lgkmcnt(0)
	v_add_co_u32 v5, vcc_lo, s0, v5
	s_delay_alu instid0(VALU_DEP_2)
	v_add_co_ci_u32_e32 v6, vcc_lo, s1, v6, vcc_lo
	s_sub_u32 s0, s2, s47
	s_subb_u32 s1, s3, 0
	s_mov_b32 s2, 0
	s_mov_b32 s3, exec_lo
	v_cmpx_gt_i64_e64 s[0:1], v[5:6]
	s_cbranch_execz .LBB170_60
; %bb.38:
	s_mov_b32 s4, s47
	s_branch .LBB170_40
.LBB170_39:                             ;   in Loop: Header=BB170_40 Depth=1
	s_or_b32 exec_lo, exec_lo, s5
	v_add_co_u32 v5, vcc_lo, 0x400, v5
	v_add_co_ci_u32_e32 v6, vcc_lo, 0, v6, vcc_lo
	s_delay_alu instid0(VALU_DEP_1) | instskip(SKIP_1) | instid1(SALU_CYCLE_1)
	v_cmp_le_i64_e32 vcc_lo, s[0:1], v[5:6]
	s_or_b32 s2, vcc_lo, s2
	s_and_not1_b32 exec_lo, exec_lo, s2
	s_cbranch_execz .LBB170_60
.LBB170_40:                             ; =>This Loop Header: Depth=1
                                        ;     Child Loop BB170_42 Depth 2
                                        ;       Child Loop BB170_48 Depth 3
                                        ;       Child Loop BB170_50 Depth 3
	;; [unrolled: 1-line block ×4, first 2 shown]
	v_lshlrev_b64 v[7:8], 4, v[5:6]
	s_mov_b32 s5, 0
	s_delay_alu instid0(VALU_DEP_1) | instskip(NEXT) | instid1(VALU_DEP_2)
	v_add_co_u32 v7, vcc_lo, s40, v7
	v_add_co_ci_u32_e32 v8, vcc_lo, s41, v8, vcc_lo
	global_load_b128 v[9:12], v[7:8], off
	v_lshlrev_b64 v[7:8], 3, v[5:6]
	s_delay_alu instid0(VALU_DEP_1) | instskip(NEXT) | instid1(VALU_DEP_2)
	v_add_co_u32 v7, vcc_lo, s38, v7
	v_add_co_ci_u32_e32 v8, vcc_lo, s39, v8, vcc_lo
	global_load_b64 v[13:14], v[7:8], off
	s_waitcnt vmcnt(1)
	v_mul_f64 v[7:8], v[11:12], -v[1:2]
	v_mul_f64 v[11:12], v[3:4], v[11:12]
	s_delay_alu instid0(VALU_DEP_2) | instskip(NEXT) | instid1(VALU_DEP_2)
	v_fma_f64 v[7:8], v[3:4], v[9:10], v[7:8]
	v_fma_f64 v[9:10], v[1:2], v[9:10], v[11:12]
	s_waitcnt vmcnt(0)
	v_sub_co_u32 v11, vcc_lo, v13, s4
	v_subrev_co_ci_u32_e32 v12, vcc_lo, 0, v14, vcc_lo
	s_delay_alu instid0(VALU_DEP_2) | instskip(NEXT) | instid1(VALU_DEP_1)
	v_mul_lo_u32 v13, 0x89, v11
	v_and_b32_e32 v15, 0x7fff, v13
	s_branch .LBB170_42
.LBB170_41:                             ;   in Loop: Header=BB170_42 Depth=2
	s_or_b32 exec_lo, exec_lo, s6
	s_xor_b32 s6, s7, -1
	s_delay_alu instid0(SALU_CYCLE_1) | instskip(NEXT) | instid1(SALU_CYCLE_1)
	s_and_b32 s6, exec_lo, s6
	s_or_b32 s5, s6, s5
	s_delay_alu instid0(SALU_CYCLE_1)
	s_and_not1_b32 exec_lo, exec_lo, s5
	s_cbranch_execz .LBB170_39
.LBB170_42:                             ;   Parent Loop BB170_40 Depth=1
                                        ; =>  This Loop Header: Depth=2
                                        ;       Child Loop BB170_48 Depth 3
                                        ;       Child Loop BB170_50 Depth 3
	;; [unrolled: 1-line block ×4, first 2 shown]
	s_delay_alu instid0(VALU_DEP_1)
	v_lshl_add_u32 v16, v15, 3, 0
	s_mov_b32 s6, exec_lo
                                        ; implicit-def: $sgpr7
	ds_load_b64 v[13:14], v16
	s_waitcnt lgkmcnt(0)
	v_cmpx_ne_u64_e64 v[13:14], v[11:12]
	s_xor_b32 s6, exec_lo, s6
	s_cbranch_execz .LBB170_54
; %bb.43:                               ;   in Loop: Header=BB170_42 Depth=2
	s_mov_b32 s8, exec_lo
                                        ; implicit-def: $sgpr7
	v_cmpx_ne_u64_e64 s[34:35], v[13:14]
	s_xor_b32 s8, exec_lo, s8
; %bb.44:                               ;   in Loop: Header=BB170_42 Depth=2
	v_add_nc_u32_e32 v13, 1, v15
	s_mov_b32 s7, -1
                                        ; implicit-def: $vgpr16
	s_delay_alu instid0(VALU_DEP_1)
	v_and_b32_e32 v15, 0x7fff, v13
; %bb.45:                               ;   in Loop: Header=BB170_42 Depth=2
	s_and_not1_saveexec_b32 s8, s8
	s_cbranch_execz .LBB170_53
; %bb.46:                               ;   in Loop: Header=BB170_42 Depth=2
	v_dual_mov_b32 v13, s34 :: v_dual_mov_b32 v14, s35
	s_mov_b32 s10, -1
	s_mov_b32 s9, exec_lo
	ds_cmpstore_rtn_b64 v[13:14], v16, v[11:12], v[13:14]
	s_waitcnt lgkmcnt(0)
	v_cmpx_eq_u64_e64 s[34:35], v[13:14]
	s_cbranch_execz .LBB170_52
; %bb.47:                               ;   in Loop: Header=BB170_42 Depth=2
	v_lshlrev_b32_e32 v13, 4, v15
	s_mov_b32 s10, 0
	s_delay_alu instid0(VALU_DEP_1)
	v_add3_u32 v16, 0, v13, 0x40000
	ds_load_b64 v[13:14], v16
.LBB170_48:                             ;   Parent Loop BB170_40 Depth=1
                                        ;     Parent Loop BB170_42 Depth=2
                                        ; =>    This Inner Loop Header: Depth=3
	s_waitcnt lgkmcnt(0)
	v_add_f64 v[17:18], v[13:14], v[7:8]
	ds_cmpstore_rtn_b64 v[17:18], v16, v[17:18], v[13:14]
	s_waitcnt lgkmcnt(0)
	v_cmp_eq_u64_e32 vcc_lo, v[17:18], v[13:14]
	v_dual_mov_b32 v13, v17 :: v_dual_mov_b32 v14, v18
	s_or_b32 s10, vcc_lo, s10
	s_delay_alu instid0(SALU_CYCLE_1)
	s_and_not1_b32 exec_lo, exec_lo, s10
	s_cbranch_execnz .LBB170_48
; %bb.49:                               ;   in Loop: Header=BB170_42 Depth=2
	s_or_b32 exec_lo, exec_lo, s10
	ds_load_b64 v[13:14], v16 offset:8
	s_mov_b32 s10, 0
.LBB170_50:                             ;   Parent Loop BB170_40 Depth=1
                                        ;     Parent Loop BB170_42 Depth=2
                                        ; =>    This Inner Loop Header: Depth=3
	s_waitcnt lgkmcnt(0)
	v_add_f64 v[17:18], v[13:14], v[9:10]
	ds_cmpstore_rtn_b64 v[17:18], v16, v[17:18], v[13:14] offset:8
	s_waitcnt lgkmcnt(0)
	v_cmp_eq_u64_e32 vcc_lo, v[17:18], v[13:14]
	v_dual_mov_b32 v13, v17 :: v_dual_mov_b32 v14, v18
	s_or_b32 s10, vcc_lo, s10
	s_delay_alu instid0(SALU_CYCLE_1)
	s_and_not1_b32 exec_lo, exec_lo, s10
	s_cbranch_execnz .LBB170_50
; %bb.51:                               ;   in Loop: Header=BB170_42 Depth=2
	s_or_b32 exec_lo, exec_lo, s10
	s_delay_alu instid0(SALU_CYCLE_1)
	s_xor_b32 s10, exec_lo, -1
.LBB170_52:                             ;   in Loop: Header=BB170_42 Depth=2
	s_or_b32 exec_lo, exec_lo, s9
	s_delay_alu instid0(SALU_CYCLE_1) | instskip(SKIP_1) | instid1(SALU_CYCLE_1)
	s_and_not1_b32 s7, s7, exec_lo
	s_and_b32 s9, s10, exec_lo
	s_or_b32 s7, s7, s9
.LBB170_53:                             ;   in Loop: Header=BB170_42 Depth=2
	s_or_b32 exec_lo, exec_lo, s8
	s_delay_alu instid0(SALU_CYCLE_1)
	s_and_b32 s7, s7, exec_lo
.LBB170_54:                             ;   in Loop: Header=BB170_42 Depth=2
	s_and_not1_saveexec_b32 s6, s6
	s_cbranch_execz .LBB170_41
; %bb.55:                               ;   in Loop: Header=BB170_42 Depth=2
	v_lshlrev_b32_e32 v13, 4, v15
	s_mov_b32 s8, 0
	s_delay_alu instid0(VALU_DEP_1)
	v_add3_u32 v16, 0, v13, 0x40000
	ds_load_b64 v[13:14], v16
.LBB170_56:                             ;   Parent Loop BB170_40 Depth=1
                                        ;     Parent Loop BB170_42 Depth=2
                                        ; =>    This Inner Loop Header: Depth=3
	s_waitcnt lgkmcnt(0)
	v_add_f64 v[17:18], v[13:14], v[7:8]
	ds_cmpstore_rtn_b64 v[17:18], v16, v[17:18], v[13:14]
	s_waitcnt lgkmcnt(0)
	v_cmp_eq_u64_e32 vcc_lo, v[17:18], v[13:14]
	v_dual_mov_b32 v13, v17 :: v_dual_mov_b32 v14, v18
	s_or_b32 s8, vcc_lo, s8
	s_delay_alu instid0(SALU_CYCLE_1)
	s_and_not1_b32 exec_lo, exec_lo, s8
	s_cbranch_execnz .LBB170_56
; %bb.57:                               ;   in Loop: Header=BB170_42 Depth=2
	s_or_b32 exec_lo, exec_lo, s8
	ds_load_b64 v[13:14], v16 offset:8
	s_mov_b32 s8, 0
.LBB170_58:                             ;   Parent Loop BB170_40 Depth=1
                                        ;     Parent Loop BB170_42 Depth=2
                                        ; =>    This Inner Loop Header: Depth=3
	s_waitcnt lgkmcnt(0)
	v_add_f64 v[17:18], v[13:14], v[9:10]
	ds_cmpstore_rtn_b64 v[17:18], v16, v[17:18], v[13:14] offset:8
	s_waitcnt lgkmcnt(0)
	v_cmp_eq_u64_e32 vcc_lo, v[17:18], v[13:14]
	v_dual_mov_b32 v13, v17 :: v_dual_mov_b32 v14, v18
	s_or_b32 s8, vcc_lo, s8
	s_delay_alu instid0(SALU_CYCLE_1)
	s_and_not1_b32 exec_lo, exec_lo, s8
	s_cbranch_execnz .LBB170_58
; %bb.59:                               ;   in Loop: Header=BB170_42 Depth=2
	s_or_b32 exec_lo, exec_lo, s8
	s_delay_alu instid0(SALU_CYCLE_1)
	s_and_not1_b32 s7, s7, exec_lo
	s_branch .LBB170_41
.LBB170_60:
	s_or_b32 exec_lo, exec_lo, s3
.LBB170_61:
	v_mbcnt_lo_u32_b32 v1, -1, 0
	v_lshrrev_b32_e32 v2, 2, v0
	s_add_i32 s73, 0, 0xc00f8
	v_cmp_eq_u32_e32 vcc_lo, 0x3ff, v0
	v_cmp_lt_u32_e64 s0, 31, v0
	v_xor_b32_e32 v1, 63, v1
	v_dual_mov_b32 v12, s73 :: v_dual_and_b32 v3, 0xf8, v2
	v_cmp_lt_u32_e64 s1, 63, v0
	v_cmp_lt_u32_e64 s2, 0x5f, v0
	s_delay_alu instid0(VALU_DEP_4) | instskip(NEXT) | instid1(VALU_DEP_4)
	v_lshrrev_b64 v[1:2], v1, -1
	v_add3_u32 v10, 0, 0xc0000, v3
	v_dual_mov_b32 v2, 0 :: v_dual_mov_b32 v5, 0
	v_cmp_lt_u32_e64 s3, 0x7f, v0
	v_cmp_lt_u32_e64 s4, 0x9f, v0
	v_cmp_lt_u32_e64 s5, 0xbf, v0
	v_cmp_lt_u32_e64 s6, 0xdf, v0
	v_cmp_lt_u32_e64 s7, 0xff, v0
	v_cmp_lt_u32_e64 s8, 0x11f, v0
	v_cmp_lt_u32_e64 s9, 0x13f, v0
	v_cmp_lt_u32_e64 s10, 0x15f, v0
	v_cmp_lt_u32_e64 s11, 0x17f, v0
	v_cmp_lt_u32_e64 s12, 0x19f, v0
	v_cmp_lt_u32_e64 s13, 0x1bf, v0
	v_cmp_lt_u32_e64 s14, 0x1df, v0
	v_cmp_lt_u32_e64 s15, 0x1ff, v0
	v_cmp_lt_u32_e64 s16, 0x21f, v0
	v_cmp_lt_u32_e64 s17, 0x23f, v0
	v_cmp_lt_u32_e64 s18, 0x25f, v0
	v_cmp_lt_u32_e64 s19, 0x27f, v0
	v_cmp_lt_u32_e64 s20, 0x29f, v0
	v_cmp_lt_u32_e64 s21, 0x2bf, v0
	v_cmp_lt_u32_e64 s22, 0x2df, v0
	v_cmp_lt_u32_e64 s23, 0x2ff, v0
	v_cmp_lt_u32_e64 s24, 0x31f, v0
	v_cmp_lt_u32_e64 s25, 0x33f, v0
	v_cmp_lt_u32_e64 s26, 0x35f, v0
	v_cmp_lt_u32_e64 s27, 0x37f, v0
	v_cmp_lt_u32_e64 s28, 0x39f, v0
	v_cmp_lt_u32_e64 s29, 0x3bf, v0
	v_cmp_lt_u32_e64 s30, 0x3df, v0
	v_add3_u32 v11, v29, 0, 0x40000
	v_mov_b32_e32 v3, 0
	s_mov_b32 s36, 0
	s_add_i32 s37, 0, 0xc0000
	s_add_i32 s38, 0, 0xc0008
	;; [unrolled: 1-line block ×31, first 2 shown]
	s_waitcnt lgkmcnt(0)
	s_barrier
	buffer_gl0_inv
	s_branch .LBB170_63
.LBB170_62:                             ;   in Loop: Header=BB170_63 Depth=1
	s_or_b32 exec_lo, exec_lo, s31
	s_waitcnt lgkmcnt(0)
	s_barrier
	buffer_gl0_inv
	ds_load_b64 v[6:7], v12
	v_add_nc_u32_e32 v27, 0x400, v27
	v_add_nc_u32_e32 v11, 0x4000, v11
	;; [unrolled: 1-line block ×3, first 2 shown]
	s_delay_alu instid0(VALU_DEP_3) | instskip(NEXT) | instid1(VALU_DEP_1)
	v_cmp_lt_u32_e64 s31, 0x7bff, v27
	s_or_b32 s36, s31, s36
	s_waitcnt lgkmcnt(0)
	v_add_co_u32 v2, s33, v6, v2
	s_delay_alu instid0(VALU_DEP_1)
	v_add_co_ci_u32_e64 v3, s33, v7, v3, s33
	s_and_not1_b32 exec_lo, exec_lo, s36
	s_cbranch_execz .LBB170_129
.LBB170_63:                             ; =>This Inner Loop Header: Depth=1
	ds_load_b64 v[6:7], v28
	ds_load_2addr_b64 v[13:16], v11 offset1:1
	s_waitcnt lgkmcnt(1)
	v_cmp_gt_i64_e64 s31, s[34:35], v[6:7]
	s_waitcnt lgkmcnt(0)
	scratch_store_b128 off, v[13:16], off
	s_waitcnt_vscnt null, 0x0
	s_barrier
	buffer_gl0_inv
	v_and_b32_e32 v8, s31, v1
	s_bcnt1_i32_b32 s33, s31
	s_delay_alu instid0(SALU_CYCLE_1) | instskip(NEXT) | instid1(VALU_DEP_2)
	v_mov_b32_e32 v4, s33
	v_bcnt_u32_b32 v8, v8, 0
	ds_store_b64 v10, v[4:5]
	s_waitcnt lgkmcnt(0)
	s_barrier
	buffer_gl0_inv
	s_and_saveexec_b32 s33, s0
	s_cbranch_execnz .LBB170_96
; %bb.64:                               ;   in Loop: Header=BB170_63 Depth=1
	s_or_b32 exec_lo, exec_lo, s33
	s_and_saveexec_b32 s33, s1
	s_cbranch_execnz .LBB170_97
.LBB170_65:                             ;   in Loop: Header=BB170_63 Depth=1
	s_or_b32 exec_lo, exec_lo, s33
	s_and_saveexec_b32 s33, s2
	s_cbranch_execnz .LBB170_98
.LBB170_66:                             ;   in Loop: Header=BB170_63 Depth=1
	s_or_b32 exec_lo, exec_lo, s33
	s_and_saveexec_b32 s33, s3
	s_cbranch_execnz .LBB170_99
.LBB170_67:                             ;   in Loop: Header=BB170_63 Depth=1
	s_or_b32 exec_lo, exec_lo, s33
	s_and_saveexec_b32 s33, s4
	s_cbranch_execnz .LBB170_100
.LBB170_68:                             ;   in Loop: Header=BB170_63 Depth=1
	s_or_b32 exec_lo, exec_lo, s33
	s_and_saveexec_b32 s33, s5
	s_cbranch_execnz .LBB170_101
.LBB170_69:                             ;   in Loop: Header=BB170_63 Depth=1
	s_or_b32 exec_lo, exec_lo, s33
	s_and_saveexec_b32 s33, s6
	s_cbranch_execnz .LBB170_102
.LBB170_70:                             ;   in Loop: Header=BB170_63 Depth=1
	s_or_b32 exec_lo, exec_lo, s33
	s_and_saveexec_b32 s33, s7
	s_cbranch_execnz .LBB170_103
.LBB170_71:                             ;   in Loop: Header=BB170_63 Depth=1
	s_or_b32 exec_lo, exec_lo, s33
	s_and_saveexec_b32 s33, s8
	s_cbranch_execnz .LBB170_104
.LBB170_72:                             ;   in Loop: Header=BB170_63 Depth=1
	s_or_b32 exec_lo, exec_lo, s33
	s_and_saveexec_b32 s33, s9
	s_cbranch_execnz .LBB170_105
.LBB170_73:                             ;   in Loop: Header=BB170_63 Depth=1
	s_or_b32 exec_lo, exec_lo, s33
	s_and_saveexec_b32 s33, s10
	s_cbranch_execnz .LBB170_106
.LBB170_74:                             ;   in Loop: Header=BB170_63 Depth=1
	s_or_b32 exec_lo, exec_lo, s33
	s_and_saveexec_b32 s33, s11
	s_cbranch_execnz .LBB170_107
.LBB170_75:                             ;   in Loop: Header=BB170_63 Depth=1
	s_or_b32 exec_lo, exec_lo, s33
	s_and_saveexec_b32 s33, s12
	s_cbranch_execnz .LBB170_108
.LBB170_76:                             ;   in Loop: Header=BB170_63 Depth=1
	s_or_b32 exec_lo, exec_lo, s33
	s_and_saveexec_b32 s33, s13
	s_cbranch_execnz .LBB170_109
.LBB170_77:                             ;   in Loop: Header=BB170_63 Depth=1
	s_or_b32 exec_lo, exec_lo, s33
	s_and_saveexec_b32 s33, s14
	s_cbranch_execnz .LBB170_110
.LBB170_78:                             ;   in Loop: Header=BB170_63 Depth=1
	s_or_b32 exec_lo, exec_lo, s33
	s_and_saveexec_b32 s33, s15
	s_cbranch_execnz .LBB170_111
.LBB170_79:                             ;   in Loop: Header=BB170_63 Depth=1
	s_or_b32 exec_lo, exec_lo, s33
	s_and_saveexec_b32 s33, s16
	s_cbranch_execnz .LBB170_112
.LBB170_80:                             ;   in Loop: Header=BB170_63 Depth=1
	s_or_b32 exec_lo, exec_lo, s33
	s_and_saveexec_b32 s33, s17
	s_cbranch_execnz .LBB170_113
.LBB170_81:                             ;   in Loop: Header=BB170_63 Depth=1
	s_or_b32 exec_lo, exec_lo, s33
	s_and_saveexec_b32 s33, s18
	s_cbranch_execnz .LBB170_114
.LBB170_82:                             ;   in Loop: Header=BB170_63 Depth=1
	s_or_b32 exec_lo, exec_lo, s33
	s_and_saveexec_b32 s33, s19
	s_cbranch_execnz .LBB170_115
.LBB170_83:                             ;   in Loop: Header=BB170_63 Depth=1
	s_or_b32 exec_lo, exec_lo, s33
	s_and_saveexec_b32 s33, s20
	s_cbranch_execnz .LBB170_116
.LBB170_84:                             ;   in Loop: Header=BB170_63 Depth=1
	s_or_b32 exec_lo, exec_lo, s33
	s_and_saveexec_b32 s33, s21
	s_cbranch_execnz .LBB170_117
.LBB170_85:                             ;   in Loop: Header=BB170_63 Depth=1
	s_or_b32 exec_lo, exec_lo, s33
	s_and_saveexec_b32 s33, s22
	s_cbranch_execnz .LBB170_118
.LBB170_86:                             ;   in Loop: Header=BB170_63 Depth=1
	s_or_b32 exec_lo, exec_lo, s33
	s_and_saveexec_b32 s33, s23
	s_cbranch_execnz .LBB170_119
.LBB170_87:                             ;   in Loop: Header=BB170_63 Depth=1
	s_or_b32 exec_lo, exec_lo, s33
	s_and_saveexec_b32 s33, s24
	s_cbranch_execnz .LBB170_120
.LBB170_88:                             ;   in Loop: Header=BB170_63 Depth=1
	s_or_b32 exec_lo, exec_lo, s33
	s_and_saveexec_b32 s33, s25
	s_cbranch_execnz .LBB170_121
.LBB170_89:                             ;   in Loop: Header=BB170_63 Depth=1
	s_or_b32 exec_lo, exec_lo, s33
	s_and_saveexec_b32 s33, s26
	s_cbranch_execnz .LBB170_122
.LBB170_90:                             ;   in Loop: Header=BB170_63 Depth=1
	s_or_b32 exec_lo, exec_lo, s33
	s_and_saveexec_b32 s33, s27
	s_cbranch_execnz .LBB170_123
.LBB170_91:                             ;   in Loop: Header=BB170_63 Depth=1
	s_or_b32 exec_lo, exec_lo, s33
	s_and_saveexec_b32 s33, s28
	s_cbranch_execnz .LBB170_124
.LBB170_92:                             ;   in Loop: Header=BB170_63 Depth=1
	s_or_b32 exec_lo, exec_lo, s33
	s_and_saveexec_b32 s33, s29
	s_cbranch_execnz .LBB170_125
.LBB170_93:                             ;   in Loop: Header=BB170_63 Depth=1
	s_or_b32 exec_lo, exec_lo, s33
	s_and_saveexec_b32 s33, s30
	s_cbranch_execnz .LBB170_126
.LBB170_94:                             ;   in Loop: Header=BB170_63 Depth=1
	s_or_b32 exec_lo, exec_lo, s33
	v_ashrrev_i32_e32 v9, 31, v8
	s_and_saveexec_b32 s33, s31
	s_cbranch_execnz .LBB170_127
.LBB170_95:                             ;   in Loop: Header=BB170_63 Depth=1
	s_or_b32 exec_lo, exec_lo, s33
	s_and_saveexec_b32 s31, vcc_lo
	s_cbranch_execz .LBB170_62
	s_branch .LBB170_128
.LBB170_96:                             ;   in Loop: Header=BB170_63 Depth=1
	v_mov_b32_e32 v4, s37
	ds_load_b32 v4, v4
	s_waitcnt lgkmcnt(0)
	v_add_nc_u32_e32 v8, v4, v8
	s_or_b32 exec_lo, exec_lo, s33
	s_and_saveexec_b32 s33, s1
	s_cbranch_execz .LBB170_65
.LBB170_97:                             ;   in Loop: Header=BB170_63 Depth=1
	v_mov_b32_e32 v4, s38
	ds_load_b32 v4, v4
	s_waitcnt lgkmcnt(0)
	v_add_nc_u32_e32 v8, v8, v4
	s_or_b32 exec_lo, exec_lo, s33
	s_and_saveexec_b32 s33, s2
	s_cbranch_execz .LBB170_66
.LBB170_98:                             ;   in Loop: Header=BB170_63 Depth=1
	v_mov_b32_e32 v4, s39
	ds_load_b32 v4, v4
	s_waitcnt lgkmcnt(0)
	v_add_nc_u32_e32 v8, v8, v4
	s_or_b32 exec_lo, exec_lo, s33
	s_and_saveexec_b32 s33, s3
	s_cbranch_execz .LBB170_67
.LBB170_99:                             ;   in Loop: Header=BB170_63 Depth=1
	v_mov_b32_e32 v4, s40
	ds_load_b32 v4, v4
	s_waitcnt lgkmcnt(0)
	v_add_nc_u32_e32 v8, v8, v4
	s_or_b32 exec_lo, exec_lo, s33
	s_and_saveexec_b32 s33, s4
	s_cbranch_execz .LBB170_68
.LBB170_100:                            ;   in Loop: Header=BB170_63 Depth=1
	v_mov_b32_e32 v4, s41
	ds_load_b32 v4, v4
	s_waitcnt lgkmcnt(0)
	v_add_nc_u32_e32 v8, v8, v4
	s_or_b32 exec_lo, exec_lo, s33
	s_and_saveexec_b32 s33, s5
	s_cbranch_execz .LBB170_69
.LBB170_101:                            ;   in Loop: Header=BB170_63 Depth=1
	v_mov_b32_e32 v4, s44
	ds_load_b32 v4, v4
	s_waitcnt lgkmcnt(0)
	v_add_nc_u32_e32 v8, v8, v4
	s_or_b32 exec_lo, exec_lo, s33
	s_and_saveexec_b32 s33, s6
	s_cbranch_execz .LBB170_70
.LBB170_102:                            ;   in Loop: Header=BB170_63 Depth=1
	v_mov_b32_e32 v4, s45
	ds_load_b32 v4, v4
	s_waitcnt lgkmcnt(0)
	v_add_nc_u32_e32 v8, v8, v4
	s_or_b32 exec_lo, exec_lo, s33
	s_and_saveexec_b32 s33, s7
	s_cbranch_execz .LBB170_71
.LBB170_103:                            ;   in Loop: Header=BB170_63 Depth=1
	v_mov_b32_e32 v4, s47
	ds_load_b32 v4, v4
	s_waitcnt lgkmcnt(0)
	v_add_nc_u32_e32 v8, v8, v4
	s_or_b32 exec_lo, exec_lo, s33
	s_and_saveexec_b32 s33, s8
	s_cbranch_execz .LBB170_72
.LBB170_104:                            ;   in Loop: Header=BB170_63 Depth=1
	v_mov_b32_e32 v4, s54
	ds_load_b32 v4, v4
	s_waitcnt lgkmcnt(0)
	v_add_nc_u32_e32 v8, v8, v4
	s_or_b32 exec_lo, exec_lo, s33
	s_and_saveexec_b32 s33, s9
	s_cbranch_execz .LBB170_73
.LBB170_105:                            ;   in Loop: Header=BB170_63 Depth=1
	v_mov_b32_e32 v4, s55
	ds_load_b32 v4, v4
	s_waitcnt lgkmcnt(0)
	v_add_nc_u32_e32 v8, v8, v4
	s_or_b32 exec_lo, exec_lo, s33
	s_and_saveexec_b32 s33, s10
	s_cbranch_execz .LBB170_74
.LBB170_106:                            ;   in Loop: Header=BB170_63 Depth=1
	v_mov_b32_e32 v4, s56
	ds_load_b32 v4, v4
	s_waitcnt lgkmcnt(0)
	v_add_nc_u32_e32 v8, v8, v4
	s_or_b32 exec_lo, exec_lo, s33
	s_and_saveexec_b32 s33, s11
	s_cbranch_execz .LBB170_75
.LBB170_107:                            ;   in Loop: Header=BB170_63 Depth=1
	v_mov_b32_e32 v4, s57
	ds_load_b32 v4, v4
	s_waitcnt lgkmcnt(0)
	v_add_nc_u32_e32 v8, v8, v4
	s_or_b32 exec_lo, exec_lo, s33
	s_and_saveexec_b32 s33, s12
	s_cbranch_execz .LBB170_76
.LBB170_108:                            ;   in Loop: Header=BB170_63 Depth=1
	v_mov_b32_e32 v4, s58
	ds_load_b32 v4, v4
	s_waitcnt lgkmcnt(0)
	v_add_nc_u32_e32 v8, v8, v4
	s_or_b32 exec_lo, exec_lo, s33
	s_and_saveexec_b32 s33, s13
	s_cbranch_execz .LBB170_77
.LBB170_109:                            ;   in Loop: Header=BB170_63 Depth=1
	v_mov_b32_e32 v4, s59
	ds_load_b32 v4, v4
	s_waitcnt lgkmcnt(0)
	v_add_nc_u32_e32 v8, v8, v4
	s_or_b32 exec_lo, exec_lo, s33
	s_and_saveexec_b32 s33, s14
	s_cbranch_execz .LBB170_78
.LBB170_110:                            ;   in Loop: Header=BB170_63 Depth=1
	v_mov_b32_e32 v4, s60
	ds_load_b32 v4, v4
	s_waitcnt lgkmcnt(0)
	v_add_nc_u32_e32 v8, v8, v4
	s_or_b32 exec_lo, exec_lo, s33
	s_and_saveexec_b32 s33, s15
	s_cbranch_execz .LBB170_79
.LBB170_111:                            ;   in Loop: Header=BB170_63 Depth=1
	v_mov_b32_e32 v4, s61
	ds_load_b32 v4, v4
	s_waitcnt lgkmcnt(0)
	v_add_nc_u32_e32 v8, v8, v4
	s_or_b32 exec_lo, exec_lo, s33
	s_and_saveexec_b32 s33, s16
	s_cbranch_execz .LBB170_80
.LBB170_112:                            ;   in Loop: Header=BB170_63 Depth=1
	v_mov_b32_e32 v4, s62
	ds_load_b32 v4, v4
	s_waitcnt lgkmcnt(0)
	v_add_nc_u32_e32 v8, v8, v4
	s_or_b32 exec_lo, exec_lo, s33
	s_and_saveexec_b32 s33, s17
	s_cbranch_execz .LBB170_81
.LBB170_113:                            ;   in Loop: Header=BB170_63 Depth=1
	v_mov_b32_e32 v4, s63
	ds_load_b32 v4, v4
	s_waitcnt lgkmcnt(0)
	v_add_nc_u32_e32 v8, v8, v4
	s_or_b32 exec_lo, exec_lo, s33
	s_and_saveexec_b32 s33, s18
	s_cbranch_execz .LBB170_82
.LBB170_114:                            ;   in Loop: Header=BB170_63 Depth=1
	v_mov_b32_e32 v4, s64
	ds_load_b32 v4, v4
	s_waitcnt lgkmcnt(0)
	v_add_nc_u32_e32 v8, v8, v4
	s_or_b32 exec_lo, exec_lo, s33
	s_and_saveexec_b32 s33, s19
	s_cbranch_execz .LBB170_83
.LBB170_115:                            ;   in Loop: Header=BB170_63 Depth=1
	v_mov_b32_e32 v4, s65
	ds_load_b32 v4, v4
	s_waitcnt lgkmcnt(0)
	v_add_nc_u32_e32 v8, v8, v4
	s_or_b32 exec_lo, exec_lo, s33
	s_and_saveexec_b32 s33, s20
	s_cbranch_execz .LBB170_84
.LBB170_116:                            ;   in Loop: Header=BB170_63 Depth=1
	v_mov_b32_e32 v4, s66
	ds_load_b32 v4, v4
	s_waitcnt lgkmcnt(0)
	v_add_nc_u32_e32 v8, v8, v4
	s_or_b32 exec_lo, exec_lo, s33
	s_and_saveexec_b32 s33, s21
	s_cbranch_execz .LBB170_85
.LBB170_117:                            ;   in Loop: Header=BB170_63 Depth=1
	v_mov_b32_e32 v4, s67
	ds_load_b32 v4, v4
	s_waitcnt lgkmcnt(0)
	v_add_nc_u32_e32 v8, v8, v4
	s_or_b32 exec_lo, exec_lo, s33
	s_and_saveexec_b32 s33, s22
	s_cbranch_execz .LBB170_86
.LBB170_118:                            ;   in Loop: Header=BB170_63 Depth=1
	v_mov_b32_e32 v4, s68
	ds_load_b32 v4, v4
	s_waitcnt lgkmcnt(0)
	v_add_nc_u32_e32 v8, v8, v4
	s_or_b32 exec_lo, exec_lo, s33
	s_and_saveexec_b32 s33, s23
	s_cbranch_execz .LBB170_87
.LBB170_119:                            ;   in Loop: Header=BB170_63 Depth=1
	v_mov_b32_e32 v4, s69
	ds_load_b32 v4, v4
	s_waitcnt lgkmcnt(0)
	v_add_nc_u32_e32 v8, v8, v4
	s_or_b32 exec_lo, exec_lo, s33
	s_and_saveexec_b32 s33, s24
	s_cbranch_execz .LBB170_88
.LBB170_120:                            ;   in Loop: Header=BB170_63 Depth=1
	v_mov_b32_e32 v4, s70
	ds_load_b32 v4, v4
	s_waitcnt lgkmcnt(0)
	v_add_nc_u32_e32 v8, v8, v4
	s_or_b32 exec_lo, exec_lo, s33
	s_and_saveexec_b32 s33, s25
	s_cbranch_execz .LBB170_89
.LBB170_121:                            ;   in Loop: Header=BB170_63 Depth=1
	v_mov_b32_e32 v4, s71
	ds_load_b32 v4, v4
	s_waitcnt lgkmcnt(0)
	v_add_nc_u32_e32 v8, v8, v4
	s_or_b32 exec_lo, exec_lo, s33
	s_and_saveexec_b32 s33, s26
	s_cbranch_execz .LBB170_90
.LBB170_122:                            ;   in Loop: Header=BB170_63 Depth=1
	v_mov_b32_e32 v4, s72
	ds_load_b32 v4, v4
	s_waitcnt lgkmcnt(0)
	v_add_nc_u32_e32 v8, v8, v4
	s_or_b32 exec_lo, exec_lo, s33
	s_and_saveexec_b32 s33, s27
	s_cbranch_execz .LBB170_91
.LBB170_123:                            ;   in Loop: Header=BB170_63 Depth=1
	v_mov_b32_e32 v4, s74
	ds_load_b32 v4, v4
	s_waitcnt lgkmcnt(0)
	v_add_nc_u32_e32 v8, v8, v4
	s_or_b32 exec_lo, exec_lo, s33
	s_and_saveexec_b32 s33, s28
	s_cbranch_execz .LBB170_92
.LBB170_124:                            ;   in Loop: Header=BB170_63 Depth=1
	v_mov_b32_e32 v4, s75
	ds_load_b32 v4, v4
	s_waitcnt lgkmcnt(0)
	v_add_nc_u32_e32 v8, v8, v4
	s_or_b32 exec_lo, exec_lo, s33
	s_and_saveexec_b32 s33, s29
	s_cbranch_execz .LBB170_93
.LBB170_125:                            ;   in Loop: Header=BB170_63 Depth=1
	v_mov_b32_e32 v4, s76
	ds_load_b32 v4, v4
	s_waitcnt lgkmcnt(0)
	v_add_nc_u32_e32 v8, v8, v4
	s_or_b32 exec_lo, exec_lo, s33
	s_and_saveexec_b32 s33, s30
	s_cbranch_execz .LBB170_94
.LBB170_126:                            ;   in Loop: Header=BB170_63 Depth=1
	v_mov_b32_e32 v4, s77
	ds_load_b32 v4, v4
	s_waitcnt lgkmcnt(0)
	v_add_nc_u32_e32 v8, v8, v4
	s_or_b32 exec_lo, exec_lo, s33
	s_delay_alu instid0(VALU_DEP_1)
	v_ashrrev_i32_e32 v9, 31, v8
	s_and_saveexec_b32 s33, s31
	s_cbranch_execz .LBB170_95
.LBB170_127:                            ;   in Loop: Header=BB170_63 Depth=1
	scratch_load_b128 v[13:16], off, off
	v_add3_u32 v4, v2, -1, v8
	s_delay_alu instid0(VALU_DEP_1) | instskip(SKIP_1) | instid1(VALU_DEP_2)
	v_lshlrev_b32_e32 v17, 4, v4
	v_lshl_add_u32 v4, v4, 3, 0
	v_add3_u32 v17, 0, v17, 0x40000
	ds_store_b64 v4, v[6:7]
	s_waitcnt vmcnt(0)
	ds_store_2addr_b64 v17, v[13:14], v[15:16] offset1:1
	s_or_b32 exec_lo, exec_lo, s33
	s_and_saveexec_b32 s31, vcc_lo
	s_cbranch_execz .LBB170_62
.LBB170_128:                            ;   in Loop: Header=BB170_63 Depth=1
	v_mov_b32_e32 v4, s73
	ds_store_b64 v4, v[8:9]
	s_branch .LBB170_62
.LBB170_129:
	s_or_b32 exec_lo, exec_lo, s36
	s_lshl_b64 s[0:1], s[52:53], 3
	v_mov_b32_e32 v1, 0
	s_add_u32 s0, s42, s0
	s_addc_u32 s1, s43, s1
	s_mov_b32 s6, exec_lo
	s_load_b128 s[0:3], s[0:1], 0x0
	s_waitcnt lgkmcnt(0)
	s_sub_u32 s4, s2, s0
	s_subb_u32 s5, s3, s1
	s_delay_alu instid0(SALU_CYCLE_1)
	v_cmpx_gt_i64_e64 s[4:5], v[0:1]
	s_cbranch_execz .LBB170_139
; %bb.130:
	s_sub_u32 s8, s0, s46
	s_subb_u32 s9, s1, 0
	s_and_b32 s6, s4, 7
	s_sub_u32 s0, s0, s2
	s_subb_u32 s1, s1, s3
	s_mov_b32 s7, 0
	v_cmp_lt_u64_e64 s12, s[0:1], -7
	s_and_b32 s2, s4, -8
	s_cmp_lg_u64 s[6:7], 0
	s_mov_b32 s3, s5
	s_cselect_b32 s13, -1, 0
	s_mov_b32 s14, s7
	s_branch .LBB170_132
.LBB170_131:                            ;   in Loop: Header=BB170_132 Depth=1
	v_lshlrev_b32_e32 v6, 4, v0
	s_waitcnt lgkmcnt(0)
	v_add_co_u32 v2, vcc_lo, v2, s46
	v_lshlrev_b64 v[10:11], 3, v[4:5]
	v_add_co_ci_u32_e32 v3, vcc_lo, 0, v3, vcc_lo
	v_add3_u32 v6, 0, v6, 0x40000
	v_add_co_u32 v0, vcc_lo, 0x400, v0
	v_add_co_ci_u32_e32 v1, vcc_lo, 0, v1, vcc_lo
	ds_load_2addr_b64 v[6:9], v6 offset1:1
	v_lshlrev_b64 v[4:5], 4, v[4:5]
	v_add_co_u32 v10, vcc_lo, s48, v10
	v_add_co_ci_u32_e32 v11, vcc_lo, s49, v11, vcc_lo
	v_cmp_le_i64_e32 vcc_lo, s[4:5], v[0:1]
	s_delay_alu instid0(VALU_DEP_4) | instskip(NEXT) | instid1(VALU_DEP_1)
	v_add_co_u32 v4, s0, s50, v4
	v_add_co_ci_u32_e64 v5, s0, s51, v5, s0
	global_store_b64 v[10:11], v[2:3], off
	s_waitcnt lgkmcnt(0)
	global_store_b128 v[4:5], v[6:9], off
	s_or_b32 s14, vcc_lo, s14
	s_delay_alu instid0(SALU_CYCLE_1)
	s_and_not1_b32 exec_lo, exec_lo, s14
	s_cbranch_execz .LBB170_139
.LBB170_132:                            ; =>This Loop Header: Depth=1
                                        ;     Child Loop BB170_134 Depth 2
                                        ;     Child Loop BB170_138 Depth 2
	v_lshl_add_u32 v2, v0, 3, 0
	v_dual_mov_b32 v4, s8 :: v_dual_mov_b32 v5, s9
	s_and_not1_b32 vcc_lo, exec_lo, s12
	s_mov_b64 s[0:1], 0
	ds_load_b64 v[2:3], v2
	s_cbranch_vccnz .LBB170_136
; %bb.133:                              ;   in Loop: Header=BB170_132 Depth=1
	v_dual_mov_b32 v4, s8 :: v_dual_mov_b32 v5, s9
	s_mov_b64 s[10:11], 0
	s_mov_b32 s1, 0
.LBB170_134:                            ;   Parent Loop BB170_132 Depth=1
                                        ; =>  This Inner Loop Header: Depth=2
	s_delay_alu instid0(SALU_CYCLE_1)
	v_mov_b32_e32 v18, s1
	s_add_u32 s10, s10, 8
	s_addc_u32 s11, s11, 0
	s_add_i32 s1, s1, 64
	s_cmp_eq_u64 s[2:3], s[10:11]
	ds_load_2addr_b64 v[6:9], v18 offset1:1
	ds_load_2addr_b64 v[10:13], v18 offset0:2 offset1:3
	ds_load_2addr_b64 v[14:17], v18 offset0:4 offset1:5
	;; [unrolled: 1-line block ×3, first 2 shown]
	s_waitcnt lgkmcnt(3)
	v_cmp_gt_i64_e32 vcc_lo, v[2:3], v[6:7]
	v_cndmask_b32_e64 v6, 0, 1, vcc_lo
	v_cmp_gt_i64_e32 vcc_lo, v[2:3], v[8:9]
	v_cndmask_b32_e64 v7, 0, 1, vcc_lo
	s_waitcnt lgkmcnt(2)
	v_cmp_gt_i64_e32 vcc_lo, v[2:3], v[10:11]
	v_cndmask_b32_e64 v8, 0, 1, vcc_lo
	v_cmp_gt_i64_e32 vcc_lo, v[2:3], v[12:13]
	v_cndmask_b32_e64 v9, 0, 1, vcc_lo
	s_waitcnt lgkmcnt(1)
	v_cmp_gt_i64_e32 vcc_lo, v[2:3], v[14:15]
	v_cndmask_b32_e64 v10, 0, 1, vcc_lo
	v_add_co_u32 v4, vcc_lo, v4, v6
	v_add_co_ci_u32_e32 v5, vcc_lo, 0, v5, vcc_lo
	v_cmp_gt_i64_e32 vcc_lo, v[2:3], v[16:17]
	s_delay_alu instid0(VALU_DEP_3) | instskip(NEXT) | instid1(VALU_DEP_1)
	v_add_co_u32 v4, s0, v4, v7
	v_add_co_ci_u32_e64 v5, s0, 0, v5, s0
	v_cndmask_b32_e64 v6, 0, 1, vcc_lo
	s_delay_alu instid0(VALU_DEP_3) | instskip(NEXT) | instid1(VALU_DEP_3)
	v_add_co_u32 v4, vcc_lo, v4, v8
	v_add_co_ci_u32_e32 v5, vcc_lo, 0, v5, vcc_lo
	s_waitcnt lgkmcnt(0)
	v_cmp_gt_i64_e32 vcc_lo, v[2:3], v[18:19]
	s_delay_alu instid0(VALU_DEP_3) | instskip(NEXT) | instid1(VALU_DEP_1)
	v_add_co_u32 v4, s0, v4, v9
	v_add_co_ci_u32_e64 v5, s0, 0, v5, s0
	v_cndmask_b32_e64 v7, 0, 1, vcc_lo
	s_delay_alu instid0(VALU_DEP_3) | instskip(NEXT) | instid1(VALU_DEP_3)
	v_add_co_u32 v4, vcc_lo, v4, v10
	v_add_co_ci_u32_e32 v5, vcc_lo, 0, v5, vcc_lo
	v_cmp_gt_i64_e32 vcc_lo, v[2:3], v[20:21]
	s_delay_alu instid0(VALU_DEP_3) | instskip(NEXT) | instid1(VALU_DEP_1)
	v_add_co_u32 v4, s0, v4, v6
	v_add_co_ci_u32_e64 v5, s0, 0, v5, s0
	v_cndmask_b32_e64 v6, 0, 1, vcc_lo
	s_delay_alu instid0(VALU_DEP_3) | instskip(NEXT) | instid1(VALU_DEP_3)
	v_add_co_u32 v4, vcc_lo, v4, v7
	v_add_co_ci_u32_e32 v5, vcc_lo, 0, v5, vcc_lo
	s_delay_alu instid0(VALU_DEP_2) | instskip(NEXT) | instid1(VALU_DEP_2)
	v_add_co_u32 v4, vcc_lo, v4, v6
	v_add_co_ci_u32_e32 v5, vcc_lo, 0, v5, vcc_lo
	s_cbranch_scc0 .LBB170_134
; %bb.135:                              ;   in Loop: Header=BB170_132 Depth=1
	s_mov_b64 s[0:1], s[2:3]
.LBB170_136:                            ;   in Loop: Header=BB170_132 Depth=1
	s_and_not1_b32 vcc_lo, exec_lo, s13
	s_cbranch_vccnz .LBB170_131
; %bb.137:                              ;   in Loop: Header=BB170_132 Depth=1
	s_lshl_b32 s0, s0, 3
	s_delay_alu instid0(SALU_CYCLE_1)
	s_add_i32 s10, s0, 0
	s_mov_b64 s[0:1], s[6:7]
.LBB170_138:                            ;   Parent Loop BB170_132 Depth=1
                                        ; =>  This Inner Loop Header: Depth=2
	v_mov_b32_e32 v6, s10
	s_add_i32 s10, s10, 8
	s_add_u32 s0, s0, -1
	s_addc_u32 s1, s1, -1
	s_delay_alu instid0(SALU_CYCLE_1) | instskip(SKIP_4) | instid1(VALU_DEP_1)
	s_cmp_lg_u64 s[0:1], 0
	ds_load_b64 v[6:7], v6
	s_waitcnt lgkmcnt(0)
	v_cmp_gt_i64_e32 vcc_lo, v[2:3], v[6:7]
	v_cndmask_b32_e64 v6, 0, 1, vcc_lo
	v_add_co_u32 v4, vcc_lo, v4, v6
	v_add_co_ci_u32_e32 v5, vcc_lo, 0, v5, vcc_lo
	s_cbranch_scc1 .LBB170_138
	s_branch .LBB170_131
.LBB170_139:
	s_nop 0
	s_sendmsg sendmsg(MSG_DEALLOC_VGPRS)
	s_endpgm
	.section	.rodata,"a",@progbits
	.p2align	6, 0x0
	.amdhsa_kernel _ZN9rocsparseL26csrgemm_fill_block_per_rowILj1024ELj64ELj32768ELj137ELj32Ell21rocsparse_complex_numIdEEEvT5_PKS3_S5_NS_24const_host_device_scalarIT6_EEPKT4_S5_PKS7_SB_S5_SD_S8_SB_S5_SD_SB_PS3_PS7_21rocsparse_index_base_SG_SG_SG_bbb
		.amdhsa_group_segment_fixed_size 0
		.amdhsa_private_segment_fixed_size 40
		.amdhsa_kernarg_size 172
		.amdhsa_user_sgpr_count 15
		.amdhsa_user_sgpr_dispatch_ptr 0
		.amdhsa_user_sgpr_queue_ptr 0
		.amdhsa_user_sgpr_kernarg_segment_ptr 1
		.amdhsa_user_sgpr_dispatch_id 0
		.amdhsa_user_sgpr_private_segment_size 0
		.amdhsa_wavefront_size32 1
		.amdhsa_uses_dynamic_stack 0
		.amdhsa_enable_private_segment 1
		.amdhsa_system_sgpr_workgroup_id_x 1
		.amdhsa_system_sgpr_workgroup_id_y 0
		.amdhsa_system_sgpr_workgroup_id_z 0
		.amdhsa_system_sgpr_workgroup_info 0
		.amdhsa_system_vgpr_workitem_id 0
		.amdhsa_next_free_vgpr 36
		.amdhsa_next_free_sgpr 78
		.amdhsa_reserve_vcc 1
		.amdhsa_float_round_mode_32 0
		.amdhsa_float_round_mode_16_64 0
		.amdhsa_float_denorm_mode_32 3
		.amdhsa_float_denorm_mode_16_64 3
		.amdhsa_dx10_clamp 1
		.amdhsa_ieee_mode 1
		.amdhsa_fp16_overflow 0
		.amdhsa_workgroup_processor_mode 1
		.amdhsa_memory_ordered 1
		.amdhsa_forward_progress 0
		.amdhsa_shared_vgpr_count 0
		.amdhsa_exception_fp_ieee_invalid_op 0
		.amdhsa_exception_fp_denorm_src 0
		.amdhsa_exception_fp_ieee_div_zero 0
		.amdhsa_exception_fp_ieee_overflow 0
		.amdhsa_exception_fp_ieee_underflow 0
		.amdhsa_exception_fp_ieee_inexact 0
		.amdhsa_exception_int_div_zero 0
	.end_amdhsa_kernel
	.section	.text._ZN9rocsparseL26csrgemm_fill_block_per_rowILj1024ELj64ELj32768ELj137ELj32Ell21rocsparse_complex_numIdEEEvT5_PKS3_S5_NS_24const_host_device_scalarIT6_EEPKT4_S5_PKS7_SB_S5_SD_S8_SB_S5_SD_SB_PS3_PS7_21rocsparse_index_base_SG_SG_SG_bbb,"axG",@progbits,_ZN9rocsparseL26csrgemm_fill_block_per_rowILj1024ELj64ELj32768ELj137ELj32Ell21rocsparse_complex_numIdEEEvT5_PKS3_S5_NS_24const_host_device_scalarIT6_EEPKT4_S5_PKS7_SB_S5_SD_S8_SB_S5_SD_SB_PS3_PS7_21rocsparse_index_base_SG_SG_SG_bbb,comdat
.Lfunc_end170:
	.size	_ZN9rocsparseL26csrgemm_fill_block_per_rowILj1024ELj64ELj32768ELj137ELj32Ell21rocsparse_complex_numIdEEEvT5_PKS3_S5_NS_24const_host_device_scalarIT6_EEPKT4_S5_PKS7_SB_S5_SD_S8_SB_S5_SD_SB_PS3_PS7_21rocsparse_index_base_SG_SG_SG_bbb, .Lfunc_end170-_ZN9rocsparseL26csrgemm_fill_block_per_rowILj1024ELj64ELj32768ELj137ELj32Ell21rocsparse_complex_numIdEEEvT5_PKS3_S5_NS_24const_host_device_scalarIT6_EEPKT4_S5_PKS7_SB_S5_SD_S8_SB_S5_SD_SB_PS3_PS7_21rocsparse_index_base_SG_SG_SG_bbb
                                        ; -- End function
	.section	.AMDGPU.csdata,"",@progbits
; Kernel info:
; codeLenInByte = 5716
; NumSgprs: 80
; NumVgprs: 36
; ScratchSize: 40
; MemoryBound: 0
; FloatMode: 240
; IeeeMode: 1
; LDSByteSize: 0 bytes/workgroup (compile time only)
; SGPRBlocks: 9
; VGPRBlocks: 4
; NumSGPRsForWavesPerEU: 80
; NumVGPRsForWavesPerEU: 36
; Occupancy: 16
; WaveLimiterHint : 1
; COMPUTE_PGM_RSRC2:SCRATCH_EN: 1
; COMPUTE_PGM_RSRC2:USER_SGPR: 15
; COMPUTE_PGM_RSRC2:TRAP_HANDLER: 0
; COMPUTE_PGM_RSRC2:TGID_X_EN: 1
; COMPUTE_PGM_RSRC2:TGID_Y_EN: 0
; COMPUTE_PGM_RSRC2:TGID_Z_EN: 0
; COMPUTE_PGM_RSRC2:TIDIG_COMP_CNT: 0
	.section	.text._ZN9rocsparseL26csrgemm_fill_block_per_rowILj1024ELj64ELj32768ELj137ELj64Ell21rocsparse_complex_numIdEEEvT5_PKS3_S5_NS_24const_host_device_scalarIT6_EEPKT4_S5_PKS7_SB_S5_SD_S8_SB_S5_SD_SB_PS3_PS7_21rocsparse_index_base_SG_SG_SG_bbb,"axG",@progbits,_ZN9rocsparseL26csrgemm_fill_block_per_rowILj1024ELj64ELj32768ELj137ELj64Ell21rocsparse_complex_numIdEEEvT5_PKS3_S5_NS_24const_host_device_scalarIT6_EEPKT4_S5_PKS7_SB_S5_SD_S8_SB_S5_SD_SB_PS3_PS7_21rocsparse_index_base_SG_SG_SG_bbb,comdat
	.globl	_ZN9rocsparseL26csrgemm_fill_block_per_rowILj1024ELj64ELj32768ELj137ELj64Ell21rocsparse_complex_numIdEEEvT5_PKS3_S5_NS_24const_host_device_scalarIT6_EEPKT4_S5_PKS7_SB_S5_SD_S8_SB_S5_SD_SB_PS3_PS7_21rocsparse_index_base_SG_SG_SG_bbb ; -- Begin function _ZN9rocsparseL26csrgemm_fill_block_per_rowILj1024ELj64ELj32768ELj137ELj64Ell21rocsparse_complex_numIdEEEvT5_PKS3_S5_NS_24const_host_device_scalarIT6_EEPKT4_S5_PKS7_SB_S5_SD_S8_SB_S5_SD_SB_PS3_PS7_21rocsparse_index_base_SG_SG_SG_bbb
	.p2align	8
	.type	_ZN9rocsparseL26csrgemm_fill_block_per_rowILj1024ELj64ELj32768ELj137ELj64Ell21rocsparse_complex_numIdEEEvT5_PKS3_S5_NS_24const_host_device_scalarIT6_EEPKT4_S5_PKS7_SB_S5_SD_S8_SB_S5_SD_SB_PS3_PS7_21rocsparse_index_base_SG_SG_SG_bbb,@function
_ZN9rocsparseL26csrgemm_fill_block_per_rowILj1024ELj64ELj32768ELj137ELj64Ell21rocsparse_complex_numIdEEEvT5_PKS3_S5_NS_24const_host_device_scalarIT6_EEPKT4_S5_PKS7_SB_S5_SD_S8_SB_S5_SD_SB_PS3_PS7_21rocsparse_index_base_SG_SG_SG_bbb: ; @_ZN9rocsparseL26csrgemm_fill_block_per_rowILj1024ELj64ELj32768ELj137ELj64Ell21rocsparse_complex_numIdEEEvT5_PKS3_S5_NS_24const_host_device_scalarIT6_EEPKT4_S5_PKS7_SB_S5_SD_S8_SB_S5_SD_SB_PS3_PS7_21rocsparse_index_base_SG_SG_SG_bbb
; %bb.0:
	s_clause 0x3
	s_load_b32 s35, s[0:1], 0xa8
	s_load_b128 s[4:7], s[0:1], 0x18
	s_load_b128 s[36:39], s[0:1], 0x58
	s_load_b128 s[20:23], s[0:1], 0x98
	v_mov_b32_e32 v1, 0
	v_mov_b32_e32 v2, 0
	s_mov_b32 s44, s15
	s_waitcnt lgkmcnt(0)
	s_bitcmp1_b32 s35, 0
	v_mov_b32_e32 v3, s4
	s_cselect_b32 s33, -1, 0
	s_bitcmp1_b32 s35, 16
	v_dual_mov_b32 v6, v2 :: v_dual_mov_b32 v5, v1
	s_cselect_b32 s2, -1, 0
	v_mov_b32_e32 v4, s5
	s_xor_b32 s34, s2, -1
	v_dual_mov_b32 v9, s36 :: v_dual_mov_b32 v10, s37
	v_cndmask_b32_e64 v7, 0, 1, s34
	s_bitcmp0_b32 s35, 0
	s_clause 0x1
	scratch_store_b64 off, v[3:4], off offset:16
	scratch_store_b64 off, v[9:10], off offset:24
	v_cmp_ne_u32_e32 vcc_lo, 1, v7
	v_dual_mov_b32 v8, v2 :: v_dual_mov_b32 v7, v1
	s_cbranch_scc1 .LBB171_3
; %bb.1:
	s_mov_b64 s[8:9], src_private_base
	s_and_b32 s3, s2, exec_lo
	s_cselect_b32 s3, s9, s5
	s_delay_alu instid0(SALU_CYCLE_1) | instskip(SKIP_2) | instid1(VALU_DEP_2)
	v_dual_mov_b32 v3, 16 :: v_dual_mov_b32 v4, s3
	v_dual_mov_b32 v8, s7 :: v_dual_mov_b32 v7, s6
	s_and_b32 vcc_lo, exec_lo, vcc_lo
	v_cndmask_b32_e64 v3, s4, v3, s2
	flat_load_b64 v[5:6], v[3:4]
	s_cbranch_vccnz .LBB171_3
; %bb.2:
	v_dual_mov_b32 v3, s4 :: v_dual_mov_b32 v4, s5
	flat_load_b64 v[7:8], v[3:4] offset:8
.LBB171_3:
	s_clause 0x4
	s_load_b128 s[24:27], s[0:1], 0x88
	s_load_b256 s[12:19], s[0:1], 0x68
	s_load_b128 s[28:31], s[0:1], 0x48
	s_load_b128 s[40:43], s[0:1], 0x8
	s_load_b256 s[4:11], s[0:1], 0x28
	s_bitcmp1_b32 s35, 8
	v_dual_mov_b32 v4, v2 :: v_dual_mov_b32 v3, v1
	s_cselect_b32 s3, -1, 0
	s_bfe_u32 s35, s35, 0x10008
	s_delay_alu instid0(SALU_CYCLE_1)
	s_cmp_eq_u32 s35, 0
	s_cbranch_scc1 .LBB171_6
; %bb.4:
	s_mov_b64 s[46:47], src_private_base
	s_and_b32 s35, s2, exec_lo
	s_cselect_b32 s35, s47, s37
	s_delay_alu instid0(SALU_CYCLE_1) | instskip(SKIP_1) | instid1(VALU_DEP_1)
	v_dual_mov_b32 v1, 24 :: v_dual_mov_b32 v2, s35
	s_and_not1_b32 vcc_lo, exec_lo, s34
	v_cndmask_b32_e64 v1, s36, v1, s2
	flat_load_b64 v[3:4], v[1:2]
	v_dual_mov_b32 v1, s38 :: v_dual_mov_b32 v2, s39
	s_cbranch_vccnz .LBB171_6
; %bb.5:
	v_dual_mov_b32 v1, s36 :: v_dual_mov_b32 v2, s37
	flat_load_b64 v[1:2], v[1:2] offset:8
.LBB171_6:
	s_load_b64 s[34:35], s[0:1], 0x0
	s_mov_b32 s0, 0
	v_or_b32_e32 v27, 0xfffffc00, v0
	v_lshl_add_u32 v28, v0, 3, 0
	s_mov_b32 s1, s0
	s_delay_alu instid0(SALU_CYCLE_1)
	v_dual_mov_b32 v10, s1 :: v_dual_lshlrev_b32 v29, 4, v0
	s_mov_b32 s36, s0
	s_mov_b32 s37, s0
	v_dual_mov_b32 v11, s36 :: v_dual_mov_b32 v16, v28
	v_dual_mov_b32 v9, s0 :: v_dual_mov_b32 v12, s37
	v_add3_u32 v15, v29, 0, 0x40008
	v_mov_b32_e32 v17, v27
	s_waitcnt lgkmcnt(0)
	v_dual_mov_b32 v13, s34 :: v_dual_mov_b32 v14, s35
.LBB171_7:                              ; =>This Inner Loop Header: Depth=1
	s_delay_alu instid0(VALU_DEP_2)
	v_add_nc_u32_e32 v17, 0x400, v17
	ds_store_b64 v16, v[13:14]
	v_add_nc_u32_e32 v18, -8, v15
	v_add_nc_u32_e32 v15, 0x4000, v15
	v_add_nc_u32_e32 v16, 0x2000, v16
	v_cmp_lt_u32_e32 vcc_lo, 0x7bff, v17
	ds_store_2addr_b64 v18, v[9:10], v[11:12] offset1:1
	s_or_b32 s0, vcc_lo, s0
	s_delay_alu instid0(SALU_CYCLE_1)
	s_and_not1_b32 exec_lo, exec_lo, s0
	s_cbranch_execnz .LBB171_7
; %bb.8:
	s_or_b32 exec_lo, exec_lo, s0
	s_waitcnt vmcnt(0) lgkmcnt(0)
	s_waitcnt_vscnt null, 0x0
	s_barrier
	buffer_gl0_inv
	s_load_b64 s[0:1], s[40:41], 0x0
	s_mov_b32 s45, 0
	v_lshrrev_b32_e32 v30, 6, v0
	s_waitcnt lgkmcnt(0)
	s_lshl_b64 s[0:1], s[0:1], 3
	s_delay_alu instid0(SALU_CYCLE_1) | instskip(SKIP_2) | instid1(SALU_CYCLE_1)
	s_add_u32 s2, s42, s0
	s_addc_u32 s36, s43, s1
	s_lshl_b64 s[0:1], s[44:45], 3
	s_add_u32 s0, s2, s0
	s_addc_u32 s1, s36, s1
	s_and_b32 vcc_lo, exec_lo, s33
	s_load_b64 s[36:37], s[0:1], 0x0
	s_cbranch_vccz .LBB171_36
; %bb.9:
	s_waitcnt lgkmcnt(0)
	s_lshl_b64 s[0:1], s[36:37], 3
	s_mov_b32 s2, exec_lo
	s_add_u32 s0, s4, s0
	s_addc_u32 s1, s5, s1
	s_load_b128 s[40:43], s[0:1], 0x0
	v_sub_co_u32 v9, s0, v30, s20
	s_delay_alu instid0(VALU_DEP_1) | instskip(SKIP_1) | instid1(VALU_DEP_2)
	v_sub_co_ci_u32_e64 v10, null, 0, 0, s0
	s_waitcnt lgkmcnt(0)
	v_add_co_u32 v9, vcc_lo, s40, v9
	s_delay_alu instid0(VALU_DEP_2)
	v_add_co_ci_u32_e32 v10, vcc_lo, s41, v10, vcc_lo
	s_sub_u32 s0, s42, s20
	s_subb_u32 s1, s43, 0
	s_delay_alu instid0(VALU_DEP_1) | instid1(SALU_CYCLE_1)
	v_cmpx_gt_i64_e64 s[0:1], v[9:10]
	s_cbranch_execz .LBB171_35
; %bb.10:
	v_and_b32_e32 v11, 63, v0
	s_mov_b32 s5, s21
	s_delay_alu instid0(VALU_DEP_1) | instskip(NEXT) | instid1(VALU_DEP_1)
	v_sub_co_u32 v31, s4, v11, s21
	v_sub_co_ci_u32_e64 v32, null, 0, 0, s4
	s_mov_b32 s4, 0
	s_branch .LBB171_12
.LBB171_11:                             ;   in Loop: Header=BB171_12 Depth=1
	s_or_b32 exec_lo, exec_lo, s21
	v_add_co_u32 v9, vcc_lo, v9, 16
	v_add_co_ci_u32_e32 v10, vcc_lo, 0, v10, vcc_lo
	s_delay_alu instid0(VALU_DEP_1) | instskip(SKIP_1) | instid1(SALU_CYCLE_1)
	v_cmp_le_i64_e32 vcc_lo, s[0:1], v[9:10]
	s_or_b32 s4, vcc_lo, s4
	s_and_not1_b32 exec_lo, exec_lo, s4
	s_cbranch_execz .LBB171_35
.LBB171_12:                             ; =>This Loop Header: Depth=1
                                        ;     Child Loop BB171_15 Depth 2
                                        ;       Child Loop BB171_17 Depth 3
                                        ;         Child Loop BB171_23 Depth 4
                                        ;         Child Loop BB171_25 Depth 4
                                        ;         Child Loop BB171_31 Depth 4
                                        ;         Child Loop BB171_33 Depth 4
	v_lshlrev_b64 v[11:12], 3, v[9:10]
	s_mov_b32 s21, exec_lo
	s_delay_alu instid0(VALU_DEP_1) | instskip(NEXT) | instid1(VALU_DEP_2)
	v_add_co_u32 v11, vcc_lo, s6, v11
	v_add_co_ci_u32_e32 v12, vcc_lo, s7, v12, vcc_lo
	global_load_b64 v[11:12], v[11:12], off
	s_waitcnt vmcnt(0)
	v_sub_co_u32 v11, vcc_lo, v11, s20
	v_subrev_co_ci_u32_e32 v12, vcc_lo, 0, v12, vcc_lo
	s_delay_alu instid0(VALU_DEP_1) | instskip(NEXT) | instid1(VALU_DEP_1)
	v_lshlrev_b64 v[11:12], 3, v[11:12]
	v_add_co_u32 v11, vcc_lo, s10, v11
	s_delay_alu instid0(VALU_DEP_2)
	v_add_co_ci_u32_e32 v12, vcc_lo, s11, v12, vcc_lo
	global_load_b128 v[13:16], v[11:12], off
	s_waitcnt vmcnt(0)
	v_sub_co_u32 v11, vcc_lo, v15, s5
	v_subrev_co_ci_u32_e32 v12, vcc_lo, 0, v16, vcc_lo
	v_add_co_u32 v13, vcc_lo, v13, v31
	v_add_co_ci_u32_e32 v14, vcc_lo, v14, v32, vcc_lo
	s_delay_alu instid0(VALU_DEP_1)
	v_cmpx_lt_i64_e64 v[13:14], v[11:12]
	s_cbranch_execz .LBB171_11
; %bb.13:                               ;   in Loop: Header=BB171_12 Depth=1
	v_lshlrev_b64 v[15:16], 4, v[9:10]
	s_mov_b32 s33, 0
	s_delay_alu instid0(VALU_DEP_1) | instskip(NEXT) | instid1(VALU_DEP_2)
	v_add_co_u32 v15, vcc_lo, s8, v15
	v_add_co_ci_u32_e32 v16, vcc_lo, s9, v16, vcc_lo
	global_load_b128 v[17:20], v[15:16], off
	s_waitcnt vmcnt(0)
	v_mul_f64 v[15:16], v[19:20], -v[7:8]
	v_mul_f64 v[19:20], v[5:6], v[19:20]
	s_delay_alu instid0(VALU_DEP_2) | instskip(NEXT) | instid1(VALU_DEP_2)
	v_fma_f64 v[15:16], v[5:6], v[17:18], v[15:16]
	v_fma_f64 v[17:18], v[7:8], v[17:18], v[19:20]
	s_branch .LBB171_15
.LBB171_14:                             ;   in Loop: Header=BB171_15 Depth=2
	s_or_b32 exec_lo, exec_lo, s38
	v_add_co_u32 v13, vcc_lo, v13, 64
	v_add_co_ci_u32_e32 v14, vcc_lo, 0, v14, vcc_lo
	s_delay_alu instid0(VALU_DEP_1) | instskip(SKIP_1) | instid1(SALU_CYCLE_1)
	v_cmp_ge_i64_e32 vcc_lo, v[13:14], v[11:12]
	s_or_b32 s33, vcc_lo, s33
	s_and_not1_b32 exec_lo, exec_lo, s33
	s_cbranch_execz .LBB171_11
.LBB171_15:                             ;   Parent Loop BB171_12 Depth=1
                                        ; =>  This Loop Header: Depth=2
                                        ;       Child Loop BB171_17 Depth 3
                                        ;         Child Loop BB171_23 Depth 4
                                        ;         Child Loop BB171_25 Depth 4
	;; [unrolled: 1-line block ×4, first 2 shown]
	v_lshlrev_b64 v[19:20], 4, v[13:14]
	s_mov_b32 s38, 0
	s_delay_alu instid0(VALU_DEP_1) | instskip(NEXT) | instid1(VALU_DEP_2)
	v_add_co_u32 v19, vcc_lo, s30, v19
	v_add_co_ci_u32_e32 v20, vcc_lo, s31, v20, vcc_lo
	global_load_b128 v[21:24], v[19:20], off
	v_lshlrev_b64 v[19:20], 3, v[13:14]
	s_delay_alu instid0(VALU_DEP_1) | instskip(NEXT) | instid1(VALU_DEP_2)
	v_add_co_u32 v19, vcc_lo, s28, v19
	v_add_co_ci_u32_e32 v20, vcc_lo, s29, v20, vcc_lo
	global_load_b64 v[25:26], v[19:20], off
	s_waitcnt vmcnt(1)
	v_mul_f64 v[19:20], v[23:24], -v[17:18]
	v_mul_f64 v[23:24], v[15:16], v[23:24]
	s_delay_alu instid0(VALU_DEP_2) | instskip(NEXT) | instid1(VALU_DEP_2)
	v_fma_f64 v[19:20], v[15:16], v[21:22], v[19:20]
	v_fma_f64 v[21:22], v[17:18], v[21:22], v[23:24]
	s_waitcnt vmcnt(0)
	v_sub_co_u32 v23, vcc_lo, v25, s5
	v_subrev_co_ci_u32_e32 v24, vcc_lo, 0, v26, vcc_lo
	s_delay_alu instid0(VALU_DEP_2) | instskip(NEXT) | instid1(VALU_DEP_1)
	v_mul_lo_u32 v25, 0x89, v23
	v_and_b32_e32 v33, 0x7fff, v25
	s_branch .LBB171_17
.LBB171_16:                             ;   in Loop: Header=BB171_17 Depth=3
	s_or_b32 exec_lo, exec_lo, s39
	s_xor_b32 s39, s40, -1
	s_delay_alu instid0(SALU_CYCLE_1) | instskip(NEXT) | instid1(SALU_CYCLE_1)
	s_and_b32 s39, exec_lo, s39
	s_or_b32 s38, s39, s38
	s_delay_alu instid0(SALU_CYCLE_1)
	s_and_not1_b32 exec_lo, exec_lo, s38
	s_cbranch_execz .LBB171_14
.LBB171_17:                             ;   Parent Loop BB171_12 Depth=1
                                        ;     Parent Loop BB171_15 Depth=2
                                        ; =>    This Loop Header: Depth=3
                                        ;         Child Loop BB171_23 Depth 4
                                        ;         Child Loop BB171_25 Depth 4
	;; [unrolled: 1-line block ×4, first 2 shown]
	s_delay_alu instid0(VALU_DEP_1)
	v_lshl_add_u32 v34, v33, 3, 0
	s_mov_b32 s39, exec_lo
                                        ; implicit-def: $sgpr40
	ds_load_b64 v[25:26], v34
	s_waitcnt lgkmcnt(0)
	v_cmpx_ne_u64_e64 v[25:26], v[23:24]
	s_xor_b32 s39, exec_lo, s39
	s_cbranch_execz .LBB171_29
; %bb.18:                               ;   in Loop: Header=BB171_17 Depth=3
	s_mov_b32 s41, exec_lo
                                        ; implicit-def: $sgpr40
	v_cmpx_ne_u64_e64 s[34:35], v[25:26]
	s_xor_b32 s41, exec_lo, s41
; %bb.19:                               ;   in Loop: Header=BB171_17 Depth=3
	v_add_nc_u32_e32 v25, 1, v33
	s_mov_b32 s40, -1
                                        ; implicit-def: $vgpr34
	s_delay_alu instid0(VALU_DEP_1)
	v_and_b32_e32 v33, 0x7fff, v25
; %bb.20:                               ;   in Loop: Header=BB171_17 Depth=3
	s_and_not1_saveexec_b32 s41, s41
	s_cbranch_execz .LBB171_28
; %bb.21:                               ;   in Loop: Header=BB171_17 Depth=3
	v_dual_mov_b32 v25, s34 :: v_dual_mov_b32 v26, s35
	s_mov_b32 s43, -1
	s_mov_b32 s42, exec_lo
	ds_cmpstore_rtn_b64 v[25:26], v34, v[23:24], v[25:26]
	s_waitcnt lgkmcnt(0)
	v_cmpx_eq_u64_e64 s[34:35], v[25:26]
	s_cbranch_execz .LBB171_27
; %bb.22:                               ;   in Loop: Header=BB171_17 Depth=3
	v_lshlrev_b32_e32 v25, 4, v33
	s_mov_b32 s43, 0
	s_delay_alu instid0(VALU_DEP_1)
	v_add3_u32 v34, 0, v25, 0x40000
	ds_load_b64 v[25:26], v34
.LBB171_23:                             ;   Parent Loop BB171_12 Depth=1
                                        ;     Parent Loop BB171_15 Depth=2
                                        ;       Parent Loop BB171_17 Depth=3
                                        ; =>      This Inner Loop Header: Depth=4
	s_waitcnt lgkmcnt(0)
	v_add_f64 v[35:36], v[25:26], v[19:20]
	ds_cmpstore_rtn_b64 v[35:36], v34, v[35:36], v[25:26]
	s_waitcnt lgkmcnt(0)
	v_cmp_eq_u64_e32 vcc_lo, v[35:36], v[25:26]
	v_dual_mov_b32 v25, v35 :: v_dual_mov_b32 v26, v36
	s_or_b32 s43, vcc_lo, s43
	s_delay_alu instid0(SALU_CYCLE_1)
	s_and_not1_b32 exec_lo, exec_lo, s43
	s_cbranch_execnz .LBB171_23
; %bb.24:                               ;   in Loop: Header=BB171_17 Depth=3
	s_or_b32 exec_lo, exec_lo, s43
	ds_load_b64 v[25:26], v34 offset:8
	s_mov_b32 s43, 0
.LBB171_25:                             ;   Parent Loop BB171_12 Depth=1
                                        ;     Parent Loop BB171_15 Depth=2
                                        ;       Parent Loop BB171_17 Depth=3
                                        ; =>      This Inner Loop Header: Depth=4
	s_waitcnt lgkmcnt(0)
	v_add_f64 v[35:36], v[25:26], v[21:22]
	ds_cmpstore_rtn_b64 v[35:36], v34, v[35:36], v[25:26] offset:8
	s_waitcnt lgkmcnt(0)
	v_cmp_eq_u64_e32 vcc_lo, v[35:36], v[25:26]
	v_dual_mov_b32 v25, v35 :: v_dual_mov_b32 v26, v36
	s_or_b32 s43, vcc_lo, s43
	s_delay_alu instid0(SALU_CYCLE_1)
	s_and_not1_b32 exec_lo, exec_lo, s43
	s_cbranch_execnz .LBB171_25
; %bb.26:                               ;   in Loop: Header=BB171_17 Depth=3
	s_or_b32 exec_lo, exec_lo, s43
	s_delay_alu instid0(SALU_CYCLE_1)
	s_xor_b32 s43, exec_lo, -1
.LBB171_27:                             ;   in Loop: Header=BB171_17 Depth=3
	s_or_b32 exec_lo, exec_lo, s42
	s_delay_alu instid0(SALU_CYCLE_1) | instskip(SKIP_1) | instid1(SALU_CYCLE_1)
	s_and_not1_b32 s40, s40, exec_lo
	s_and_b32 s42, s43, exec_lo
	s_or_b32 s40, s40, s42
.LBB171_28:                             ;   in Loop: Header=BB171_17 Depth=3
	s_or_b32 exec_lo, exec_lo, s41
	s_delay_alu instid0(SALU_CYCLE_1)
	s_and_b32 s40, s40, exec_lo
.LBB171_29:                             ;   in Loop: Header=BB171_17 Depth=3
	s_and_not1_saveexec_b32 s39, s39
	s_cbranch_execz .LBB171_16
; %bb.30:                               ;   in Loop: Header=BB171_17 Depth=3
	v_lshlrev_b32_e32 v25, 4, v33
	s_mov_b32 s41, 0
	s_delay_alu instid0(VALU_DEP_1)
	v_add3_u32 v34, 0, v25, 0x40000
	ds_load_b64 v[25:26], v34
.LBB171_31:                             ;   Parent Loop BB171_12 Depth=1
                                        ;     Parent Loop BB171_15 Depth=2
                                        ;       Parent Loop BB171_17 Depth=3
                                        ; =>      This Inner Loop Header: Depth=4
	s_waitcnt lgkmcnt(0)
	v_add_f64 v[35:36], v[25:26], v[19:20]
	ds_cmpstore_rtn_b64 v[35:36], v34, v[35:36], v[25:26]
	s_waitcnt lgkmcnt(0)
	v_cmp_eq_u64_e32 vcc_lo, v[35:36], v[25:26]
	v_dual_mov_b32 v25, v35 :: v_dual_mov_b32 v26, v36
	s_or_b32 s41, vcc_lo, s41
	s_delay_alu instid0(SALU_CYCLE_1)
	s_and_not1_b32 exec_lo, exec_lo, s41
	s_cbranch_execnz .LBB171_31
; %bb.32:                               ;   in Loop: Header=BB171_17 Depth=3
	s_or_b32 exec_lo, exec_lo, s41
	ds_load_b64 v[25:26], v34 offset:8
	s_mov_b32 s41, 0
.LBB171_33:                             ;   Parent Loop BB171_12 Depth=1
                                        ;     Parent Loop BB171_15 Depth=2
                                        ;       Parent Loop BB171_17 Depth=3
                                        ; =>      This Inner Loop Header: Depth=4
	s_waitcnt lgkmcnt(0)
	v_add_f64 v[35:36], v[25:26], v[21:22]
	ds_cmpstore_rtn_b64 v[35:36], v34, v[35:36], v[25:26] offset:8
	s_waitcnt lgkmcnt(0)
	v_cmp_eq_u64_e32 vcc_lo, v[35:36], v[25:26]
	v_dual_mov_b32 v25, v35 :: v_dual_mov_b32 v26, v36
	s_or_b32 s41, vcc_lo, s41
	s_delay_alu instid0(SALU_CYCLE_1)
	s_and_not1_b32 exec_lo, exec_lo, s41
	s_cbranch_execnz .LBB171_33
; %bb.34:                               ;   in Loop: Header=BB171_17 Depth=3
	s_or_b32 exec_lo, exec_lo, s41
	s_delay_alu instid0(SALU_CYCLE_1)
	s_and_not1_b32 s40, s40, exec_lo
	s_branch .LBB171_16
.LBB171_35:
	s_or_b32 exec_lo, exec_lo, s2
.LBB171_36:
	s_delay_alu instid0(SALU_CYCLE_1)
	s_and_not1_b32 vcc_lo, exec_lo, s3
	s_cbranch_vccnz .LBB171_61
; %bb.37:
	s_waitcnt lgkmcnt(0)
	s_lshl_b64 s[0:1], s[36:37], 3
	v_sub_co_u32 v5, s4, v0, s23
	s_add_u32 s0, s12, s0
	s_addc_u32 s1, s13, s1
	v_sub_co_ci_u32_e64 v6, null, 0, 0, s4
	s_load_b128 s[0:3], s[0:1], 0x0
	s_waitcnt lgkmcnt(0)
	v_add_co_u32 v5, vcc_lo, s0, v5
	s_delay_alu instid0(VALU_DEP_2)
	v_add_co_ci_u32_e32 v6, vcc_lo, s1, v6, vcc_lo
	s_sub_u32 s0, s2, s23
	s_subb_u32 s1, s3, 0
	s_mov_b32 s2, 0
	s_mov_b32 s3, exec_lo
	v_cmpx_gt_i64_e64 s[0:1], v[5:6]
	s_cbranch_execz .LBB171_60
; %bb.38:
	s_mov_b32 s4, s23
	s_branch .LBB171_40
.LBB171_39:                             ;   in Loop: Header=BB171_40 Depth=1
	s_or_b32 exec_lo, exec_lo, s5
	v_add_co_u32 v5, vcc_lo, 0x400, v5
	v_add_co_ci_u32_e32 v6, vcc_lo, 0, v6, vcc_lo
	s_delay_alu instid0(VALU_DEP_1) | instskip(SKIP_1) | instid1(SALU_CYCLE_1)
	v_cmp_le_i64_e32 vcc_lo, s[0:1], v[5:6]
	s_or_b32 s2, vcc_lo, s2
	s_and_not1_b32 exec_lo, exec_lo, s2
	s_cbranch_execz .LBB171_60
.LBB171_40:                             ; =>This Loop Header: Depth=1
                                        ;     Child Loop BB171_42 Depth 2
                                        ;       Child Loop BB171_48 Depth 3
                                        ;       Child Loop BB171_50 Depth 3
	;; [unrolled: 1-line block ×4, first 2 shown]
	v_lshlrev_b64 v[7:8], 4, v[5:6]
	s_mov_b32 s5, 0
	s_delay_alu instid0(VALU_DEP_1) | instskip(NEXT) | instid1(VALU_DEP_2)
	v_add_co_u32 v7, vcc_lo, s16, v7
	v_add_co_ci_u32_e32 v8, vcc_lo, s17, v8, vcc_lo
	global_load_b128 v[9:12], v[7:8], off
	v_lshlrev_b64 v[7:8], 3, v[5:6]
	s_delay_alu instid0(VALU_DEP_1) | instskip(NEXT) | instid1(VALU_DEP_2)
	v_add_co_u32 v7, vcc_lo, s14, v7
	v_add_co_ci_u32_e32 v8, vcc_lo, s15, v8, vcc_lo
	global_load_b64 v[13:14], v[7:8], off
	s_waitcnt vmcnt(1)
	v_mul_f64 v[7:8], v[11:12], -v[1:2]
	v_mul_f64 v[11:12], v[3:4], v[11:12]
	s_delay_alu instid0(VALU_DEP_2) | instskip(NEXT) | instid1(VALU_DEP_2)
	v_fma_f64 v[7:8], v[3:4], v[9:10], v[7:8]
	v_fma_f64 v[9:10], v[1:2], v[9:10], v[11:12]
	s_waitcnt vmcnt(0)
	v_sub_co_u32 v11, vcc_lo, v13, s4
	v_subrev_co_ci_u32_e32 v12, vcc_lo, 0, v14, vcc_lo
	s_delay_alu instid0(VALU_DEP_2) | instskip(NEXT) | instid1(VALU_DEP_1)
	v_mul_lo_u32 v13, 0x89, v11
	v_and_b32_e32 v15, 0x7fff, v13
	s_branch .LBB171_42
.LBB171_41:                             ;   in Loop: Header=BB171_42 Depth=2
	s_or_b32 exec_lo, exec_lo, s6
	s_xor_b32 s6, s7, -1
	s_delay_alu instid0(SALU_CYCLE_1) | instskip(NEXT) | instid1(SALU_CYCLE_1)
	s_and_b32 s6, exec_lo, s6
	s_or_b32 s5, s6, s5
	s_delay_alu instid0(SALU_CYCLE_1)
	s_and_not1_b32 exec_lo, exec_lo, s5
	s_cbranch_execz .LBB171_39
.LBB171_42:                             ;   Parent Loop BB171_40 Depth=1
                                        ; =>  This Loop Header: Depth=2
                                        ;       Child Loop BB171_48 Depth 3
                                        ;       Child Loop BB171_50 Depth 3
	;; [unrolled: 1-line block ×4, first 2 shown]
	s_delay_alu instid0(VALU_DEP_1)
	v_lshl_add_u32 v16, v15, 3, 0
	s_mov_b32 s6, exec_lo
                                        ; implicit-def: $sgpr7
	ds_load_b64 v[13:14], v16
	s_waitcnt lgkmcnt(0)
	v_cmpx_ne_u64_e64 v[13:14], v[11:12]
	s_xor_b32 s6, exec_lo, s6
	s_cbranch_execz .LBB171_54
; %bb.43:                               ;   in Loop: Header=BB171_42 Depth=2
	s_mov_b32 s8, exec_lo
                                        ; implicit-def: $sgpr7
	v_cmpx_ne_u64_e64 s[34:35], v[13:14]
	s_xor_b32 s8, exec_lo, s8
; %bb.44:                               ;   in Loop: Header=BB171_42 Depth=2
	v_add_nc_u32_e32 v13, 1, v15
	s_mov_b32 s7, -1
                                        ; implicit-def: $vgpr16
	s_delay_alu instid0(VALU_DEP_1)
	v_and_b32_e32 v15, 0x7fff, v13
; %bb.45:                               ;   in Loop: Header=BB171_42 Depth=2
	s_and_not1_saveexec_b32 s8, s8
	s_cbranch_execz .LBB171_53
; %bb.46:                               ;   in Loop: Header=BB171_42 Depth=2
	v_dual_mov_b32 v13, s34 :: v_dual_mov_b32 v14, s35
	s_mov_b32 s10, -1
	s_mov_b32 s9, exec_lo
	ds_cmpstore_rtn_b64 v[13:14], v16, v[11:12], v[13:14]
	s_waitcnt lgkmcnt(0)
	v_cmpx_eq_u64_e64 s[34:35], v[13:14]
	s_cbranch_execz .LBB171_52
; %bb.47:                               ;   in Loop: Header=BB171_42 Depth=2
	v_lshlrev_b32_e32 v13, 4, v15
	s_mov_b32 s10, 0
	s_delay_alu instid0(VALU_DEP_1)
	v_add3_u32 v16, 0, v13, 0x40000
	ds_load_b64 v[13:14], v16
.LBB171_48:                             ;   Parent Loop BB171_40 Depth=1
                                        ;     Parent Loop BB171_42 Depth=2
                                        ; =>    This Inner Loop Header: Depth=3
	s_waitcnt lgkmcnt(0)
	v_add_f64 v[17:18], v[13:14], v[7:8]
	ds_cmpstore_rtn_b64 v[17:18], v16, v[17:18], v[13:14]
	s_waitcnt lgkmcnt(0)
	v_cmp_eq_u64_e32 vcc_lo, v[17:18], v[13:14]
	v_dual_mov_b32 v13, v17 :: v_dual_mov_b32 v14, v18
	s_or_b32 s10, vcc_lo, s10
	s_delay_alu instid0(SALU_CYCLE_1)
	s_and_not1_b32 exec_lo, exec_lo, s10
	s_cbranch_execnz .LBB171_48
; %bb.49:                               ;   in Loop: Header=BB171_42 Depth=2
	s_or_b32 exec_lo, exec_lo, s10
	ds_load_b64 v[13:14], v16 offset:8
	s_mov_b32 s10, 0
.LBB171_50:                             ;   Parent Loop BB171_40 Depth=1
                                        ;     Parent Loop BB171_42 Depth=2
                                        ; =>    This Inner Loop Header: Depth=3
	s_waitcnt lgkmcnt(0)
	v_add_f64 v[17:18], v[13:14], v[9:10]
	ds_cmpstore_rtn_b64 v[17:18], v16, v[17:18], v[13:14] offset:8
	s_waitcnt lgkmcnt(0)
	v_cmp_eq_u64_e32 vcc_lo, v[17:18], v[13:14]
	v_dual_mov_b32 v13, v17 :: v_dual_mov_b32 v14, v18
	s_or_b32 s10, vcc_lo, s10
	s_delay_alu instid0(SALU_CYCLE_1)
	s_and_not1_b32 exec_lo, exec_lo, s10
	s_cbranch_execnz .LBB171_50
; %bb.51:                               ;   in Loop: Header=BB171_42 Depth=2
	s_or_b32 exec_lo, exec_lo, s10
	s_delay_alu instid0(SALU_CYCLE_1)
	s_xor_b32 s10, exec_lo, -1
.LBB171_52:                             ;   in Loop: Header=BB171_42 Depth=2
	s_or_b32 exec_lo, exec_lo, s9
	s_delay_alu instid0(SALU_CYCLE_1) | instskip(SKIP_1) | instid1(SALU_CYCLE_1)
	s_and_not1_b32 s7, s7, exec_lo
	s_and_b32 s9, s10, exec_lo
	s_or_b32 s7, s7, s9
.LBB171_53:                             ;   in Loop: Header=BB171_42 Depth=2
	s_or_b32 exec_lo, exec_lo, s8
	s_delay_alu instid0(SALU_CYCLE_1)
	s_and_b32 s7, s7, exec_lo
.LBB171_54:                             ;   in Loop: Header=BB171_42 Depth=2
	s_and_not1_saveexec_b32 s6, s6
	s_cbranch_execz .LBB171_41
; %bb.55:                               ;   in Loop: Header=BB171_42 Depth=2
	v_lshlrev_b32_e32 v13, 4, v15
	s_mov_b32 s8, 0
	s_delay_alu instid0(VALU_DEP_1)
	v_add3_u32 v16, 0, v13, 0x40000
	ds_load_b64 v[13:14], v16
.LBB171_56:                             ;   Parent Loop BB171_40 Depth=1
                                        ;     Parent Loop BB171_42 Depth=2
                                        ; =>    This Inner Loop Header: Depth=3
	s_waitcnt lgkmcnt(0)
	v_add_f64 v[17:18], v[13:14], v[7:8]
	ds_cmpstore_rtn_b64 v[17:18], v16, v[17:18], v[13:14]
	s_waitcnt lgkmcnt(0)
	v_cmp_eq_u64_e32 vcc_lo, v[17:18], v[13:14]
	v_dual_mov_b32 v13, v17 :: v_dual_mov_b32 v14, v18
	s_or_b32 s8, vcc_lo, s8
	s_delay_alu instid0(SALU_CYCLE_1)
	s_and_not1_b32 exec_lo, exec_lo, s8
	s_cbranch_execnz .LBB171_56
; %bb.57:                               ;   in Loop: Header=BB171_42 Depth=2
	s_or_b32 exec_lo, exec_lo, s8
	ds_load_b64 v[13:14], v16 offset:8
	s_mov_b32 s8, 0
.LBB171_58:                             ;   Parent Loop BB171_40 Depth=1
                                        ;     Parent Loop BB171_42 Depth=2
                                        ; =>    This Inner Loop Header: Depth=3
	s_waitcnt lgkmcnt(0)
	v_add_f64 v[17:18], v[13:14], v[9:10]
	ds_cmpstore_rtn_b64 v[17:18], v16, v[17:18], v[13:14] offset:8
	s_waitcnt lgkmcnt(0)
	v_cmp_eq_u64_e32 vcc_lo, v[17:18], v[13:14]
	v_dual_mov_b32 v13, v17 :: v_dual_mov_b32 v14, v18
	s_or_b32 s8, vcc_lo, s8
	s_delay_alu instid0(SALU_CYCLE_1)
	s_and_not1_b32 exec_lo, exec_lo, s8
	s_cbranch_execnz .LBB171_58
; %bb.59:                               ;   in Loop: Header=BB171_42 Depth=2
	s_or_b32 exec_lo, exec_lo, s8
	s_delay_alu instid0(SALU_CYCLE_1)
	s_and_not1_b32 s7, s7, exec_lo
	s_branch .LBB171_41
.LBB171_60:
	s_or_b32 exec_lo, exec_lo, s3
.LBB171_61:
	v_mbcnt_lo_u32_b32 v1, -1, 0
	v_dual_mov_b32 v5, 0 :: v_dual_lshlrev_b32 v2, 3, v30
	s_add_i32 s41, 0, 0xc0078
	v_cmp_eq_u32_e32 vcc_lo, 0x3ff, v0
	s_delay_alu instid0(VALU_DEP_3) | instskip(NEXT) | instid1(VALU_DEP_3)
	v_xor_b32_e32 v1, 63, v1
	v_add3_u32 v10, 0, 0xc0000, v2
	v_cmp_lt_u32_e64 s0, 63, v0
	v_cmp_lt_u32_e64 s1, 0x7f, v0
	;; [unrolled: 1-line block ×3, first 2 shown]
	v_lshrrev_b64 v[1:2], v1, -1
	v_mov_b32_e32 v2, 0
	v_cmp_lt_u32_e64 s3, 0xff, v0
	v_cmp_lt_u32_e64 s4, 0x13f, v0
	;; [unrolled: 1-line block ×12, first 2 shown]
	v_add3_u32 v11, v29, 0, 0x40000
	v_dual_mov_b32 v3, 0 :: v_dual_mov_b32 v12, s41
	s_mov_b32 s17, 0
	s_add_i32 s20, 0, 0xc0000
	s_add_i32 s21, 0, 0xc0008
	s_add_i32 s23, 0, 0xc0010
	s_add_i32 s28, 0, 0xc0018
	s_add_i32 s29, 0, 0xc0020
	s_add_i32 s30, 0, 0xc0028
	s_add_i32 s31, 0, 0xc0030
	s_add_i32 s33, 0, 0xc0038
	s_add_i32 s38, 0, 0xc0040
	s_add_i32 s39, 0, 0xc0048
	s_add_i32 s40, 0, 0xc0050
	s_add_i32 s42, 0, 0xc0058
	s_add_i32 s43, 0, 0xc0060
	s_add_i32 s44, 0, 0xc0068
	s_add_i32 s45, 0, 0xc0070
	s_waitcnt lgkmcnt(0)
	s_barrier
	buffer_gl0_inv
	s_branch .LBB171_63
.LBB171_62:                             ;   in Loop: Header=BB171_63 Depth=1
	s_or_b32 exec_lo, exec_lo, s15
	s_waitcnt lgkmcnt(0)
	s_barrier
	buffer_gl0_inv
	ds_load_b64 v[6:7], v12
	v_add_nc_u32_e32 v27, 0x400, v27
	v_add_nc_u32_e32 v11, 0x4000, v11
	;; [unrolled: 1-line block ×3, first 2 shown]
	s_delay_alu instid0(VALU_DEP_3) | instskip(NEXT) | instid1(VALU_DEP_1)
	v_cmp_lt_u32_e64 s15, 0x7bff, v27
	s_or_b32 s17, s15, s17
	s_waitcnt lgkmcnt(0)
	v_add_co_u32 v2, s16, v6, v2
	s_delay_alu instid0(VALU_DEP_1)
	v_add_co_ci_u32_e64 v3, s16, v7, v3, s16
	s_and_not1_b32 exec_lo, exec_lo, s17
	s_cbranch_execz .LBB171_97
.LBB171_63:                             ; =>This Inner Loop Header: Depth=1
	ds_load_b64 v[6:7], v28
	ds_load_2addr_b64 v[13:16], v11 offset1:1
	s_waitcnt lgkmcnt(1)
	v_cmp_gt_i64_e64 s15, s[34:35], v[6:7]
	s_waitcnt lgkmcnt(0)
	scratch_store_b128 off, v[13:16], off
	s_waitcnt_vscnt null, 0x0
	s_barrier
	buffer_gl0_inv
	v_and_b32_e32 v8, s15, v1
	s_bcnt1_i32_b32 s16, s15
	s_delay_alu instid0(SALU_CYCLE_1) | instskip(NEXT) | instid1(VALU_DEP_2)
	v_mov_b32_e32 v4, s16
	v_bcnt_u32_b32 v8, v8, 0
	ds_store_b64 v10, v[4:5]
	s_waitcnt lgkmcnt(0)
	s_barrier
	buffer_gl0_inv
	s_and_saveexec_b32 s16, s0
	s_cbranch_execnz .LBB171_80
; %bb.64:                               ;   in Loop: Header=BB171_63 Depth=1
	s_or_b32 exec_lo, exec_lo, s16
	s_and_saveexec_b32 s16, s1
	s_cbranch_execnz .LBB171_81
.LBB171_65:                             ;   in Loop: Header=BB171_63 Depth=1
	s_or_b32 exec_lo, exec_lo, s16
	s_and_saveexec_b32 s16, s2
	s_cbranch_execnz .LBB171_82
.LBB171_66:                             ;   in Loop: Header=BB171_63 Depth=1
	s_or_b32 exec_lo, exec_lo, s16
	s_and_saveexec_b32 s16, s3
	s_cbranch_execnz .LBB171_83
.LBB171_67:                             ;   in Loop: Header=BB171_63 Depth=1
	s_or_b32 exec_lo, exec_lo, s16
	s_and_saveexec_b32 s16, s4
	s_cbranch_execnz .LBB171_84
.LBB171_68:                             ;   in Loop: Header=BB171_63 Depth=1
	s_or_b32 exec_lo, exec_lo, s16
	s_and_saveexec_b32 s16, s5
	s_cbranch_execnz .LBB171_85
.LBB171_69:                             ;   in Loop: Header=BB171_63 Depth=1
	s_or_b32 exec_lo, exec_lo, s16
	s_and_saveexec_b32 s16, s6
	s_cbranch_execnz .LBB171_86
.LBB171_70:                             ;   in Loop: Header=BB171_63 Depth=1
	s_or_b32 exec_lo, exec_lo, s16
	s_and_saveexec_b32 s16, s7
	s_cbranch_execnz .LBB171_87
.LBB171_71:                             ;   in Loop: Header=BB171_63 Depth=1
	s_or_b32 exec_lo, exec_lo, s16
	s_and_saveexec_b32 s16, s8
	s_cbranch_execnz .LBB171_88
.LBB171_72:                             ;   in Loop: Header=BB171_63 Depth=1
	s_or_b32 exec_lo, exec_lo, s16
	s_and_saveexec_b32 s16, s9
	s_cbranch_execnz .LBB171_89
.LBB171_73:                             ;   in Loop: Header=BB171_63 Depth=1
	s_or_b32 exec_lo, exec_lo, s16
	s_and_saveexec_b32 s16, s10
	s_cbranch_execnz .LBB171_90
.LBB171_74:                             ;   in Loop: Header=BB171_63 Depth=1
	s_or_b32 exec_lo, exec_lo, s16
	s_and_saveexec_b32 s16, s11
	s_cbranch_execnz .LBB171_91
.LBB171_75:                             ;   in Loop: Header=BB171_63 Depth=1
	s_or_b32 exec_lo, exec_lo, s16
	s_and_saveexec_b32 s16, s12
	s_cbranch_execnz .LBB171_92
.LBB171_76:                             ;   in Loop: Header=BB171_63 Depth=1
	s_or_b32 exec_lo, exec_lo, s16
	s_and_saveexec_b32 s16, s13
	s_cbranch_execnz .LBB171_93
.LBB171_77:                             ;   in Loop: Header=BB171_63 Depth=1
	s_or_b32 exec_lo, exec_lo, s16
	s_and_saveexec_b32 s16, s14
	s_cbranch_execnz .LBB171_94
.LBB171_78:                             ;   in Loop: Header=BB171_63 Depth=1
	s_or_b32 exec_lo, exec_lo, s16
	v_ashrrev_i32_e32 v9, 31, v8
	s_and_saveexec_b32 s16, s15
	s_cbranch_execnz .LBB171_95
.LBB171_79:                             ;   in Loop: Header=BB171_63 Depth=1
	s_or_b32 exec_lo, exec_lo, s16
	s_and_saveexec_b32 s15, vcc_lo
	s_cbranch_execz .LBB171_62
	s_branch .LBB171_96
.LBB171_80:                             ;   in Loop: Header=BB171_63 Depth=1
	v_mov_b32_e32 v4, s20
	ds_load_b32 v4, v4
	s_waitcnt lgkmcnt(0)
	v_add_nc_u32_e32 v8, v4, v8
	s_or_b32 exec_lo, exec_lo, s16
	s_and_saveexec_b32 s16, s1
	s_cbranch_execz .LBB171_65
.LBB171_81:                             ;   in Loop: Header=BB171_63 Depth=1
	v_mov_b32_e32 v4, s21
	ds_load_b32 v4, v4
	s_waitcnt lgkmcnt(0)
	v_add_nc_u32_e32 v8, v8, v4
	s_or_b32 exec_lo, exec_lo, s16
	s_and_saveexec_b32 s16, s2
	s_cbranch_execz .LBB171_66
.LBB171_82:                             ;   in Loop: Header=BB171_63 Depth=1
	v_mov_b32_e32 v4, s23
	ds_load_b32 v4, v4
	s_waitcnt lgkmcnt(0)
	v_add_nc_u32_e32 v8, v8, v4
	s_or_b32 exec_lo, exec_lo, s16
	s_and_saveexec_b32 s16, s3
	s_cbranch_execz .LBB171_67
.LBB171_83:                             ;   in Loop: Header=BB171_63 Depth=1
	v_mov_b32_e32 v4, s28
	ds_load_b32 v4, v4
	s_waitcnt lgkmcnt(0)
	v_add_nc_u32_e32 v8, v8, v4
	s_or_b32 exec_lo, exec_lo, s16
	s_and_saveexec_b32 s16, s4
	s_cbranch_execz .LBB171_68
.LBB171_84:                             ;   in Loop: Header=BB171_63 Depth=1
	v_mov_b32_e32 v4, s29
	ds_load_b32 v4, v4
	s_waitcnt lgkmcnt(0)
	v_add_nc_u32_e32 v8, v8, v4
	s_or_b32 exec_lo, exec_lo, s16
	s_and_saveexec_b32 s16, s5
	s_cbranch_execz .LBB171_69
.LBB171_85:                             ;   in Loop: Header=BB171_63 Depth=1
	v_mov_b32_e32 v4, s30
	ds_load_b32 v4, v4
	s_waitcnt lgkmcnt(0)
	v_add_nc_u32_e32 v8, v8, v4
	s_or_b32 exec_lo, exec_lo, s16
	s_and_saveexec_b32 s16, s6
	s_cbranch_execz .LBB171_70
.LBB171_86:                             ;   in Loop: Header=BB171_63 Depth=1
	v_mov_b32_e32 v4, s31
	ds_load_b32 v4, v4
	s_waitcnt lgkmcnt(0)
	v_add_nc_u32_e32 v8, v8, v4
	s_or_b32 exec_lo, exec_lo, s16
	s_and_saveexec_b32 s16, s7
	s_cbranch_execz .LBB171_71
.LBB171_87:                             ;   in Loop: Header=BB171_63 Depth=1
	v_mov_b32_e32 v4, s33
	ds_load_b32 v4, v4
	s_waitcnt lgkmcnt(0)
	v_add_nc_u32_e32 v8, v8, v4
	s_or_b32 exec_lo, exec_lo, s16
	s_and_saveexec_b32 s16, s8
	s_cbranch_execz .LBB171_72
.LBB171_88:                             ;   in Loop: Header=BB171_63 Depth=1
	v_mov_b32_e32 v4, s38
	ds_load_b32 v4, v4
	s_waitcnt lgkmcnt(0)
	v_add_nc_u32_e32 v8, v8, v4
	s_or_b32 exec_lo, exec_lo, s16
	s_and_saveexec_b32 s16, s9
	s_cbranch_execz .LBB171_73
.LBB171_89:                             ;   in Loop: Header=BB171_63 Depth=1
	v_mov_b32_e32 v4, s39
	ds_load_b32 v4, v4
	s_waitcnt lgkmcnt(0)
	v_add_nc_u32_e32 v8, v8, v4
	s_or_b32 exec_lo, exec_lo, s16
	s_and_saveexec_b32 s16, s10
	s_cbranch_execz .LBB171_74
.LBB171_90:                             ;   in Loop: Header=BB171_63 Depth=1
	v_mov_b32_e32 v4, s40
	ds_load_b32 v4, v4
	s_waitcnt lgkmcnt(0)
	v_add_nc_u32_e32 v8, v8, v4
	s_or_b32 exec_lo, exec_lo, s16
	s_and_saveexec_b32 s16, s11
	s_cbranch_execz .LBB171_75
.LBB171_91:                             ;   in Loop: Header=BB171_63 Depth=1
	v_mov_b32_e32 v4, s42
	ds_load_b32 v4, v4
	s_waitcnt lgkmcnt(0)
	v_add_nc_u32_e32 v8, v8, v4
	s_or_b32 exec_lo, exec_lo, s16
	s_and_saveexec_b32 s16, s12
	s_cbranch_execz .LBB171_76
.LBB171_92:                             ;   in Loop: Header=BB171_63 Depth=1
	v_mov_b32_e32 v4, s43
	ds_load_b32 v4, v4
	s_waitcnt lgkmcnt(0)
	v_add_nc_u32_e32 v8, v8, v4
	s_or_b32 exec_lo, exec_lo, s16
	s_and_saveexec_b32 s16, s13
	s_cbranch_execz .LBB171_77
.LBB171_93:                             ;   in Loop: Header=BB171_63 Depth=1
	v_mov_b32_e32 v4, s44
	ds_load_b32 v4, v4
	s_waitcnt lgkmcnt(0)
	v_add_nc_u32_e32 v8, v8, v4
	s_or_b32 exec_lo, exec_lo, s16
	s_and_saveexec_b32 s16, s14
	s_cbranch_execz .LBB171_78
.LBB171_94:                             ;   in Loop: Header=BB171_63 Depth=1
	v_mov_b32_e32 v4, s45
	ds_load_b32 v4, v4
	s_waitcnt lgkmcnt(0)
	v_add_nc_u32_e32 v8, v8, v4
	s_or_b32 exec_lo, exec_lo, s16
	s_delay_alu instid0(VALU_DEP_1)
	v_ashrrev_i32_e32 v9, 31, v8
	s_and_saveexec_b32 s16, s15
	s_cbranch_execz .LBB171_79
.LBB171_95:                             ;   in Loop: Header=BB171_63 Depth=1
	scratch_load_b128 v[13:16], off, off
	v_add3_u32 v4, v2, -1, v8
	s_delay_alu instid0(VALU_DEP_1) | instskip(SKIP_1) | instid1(VALU_DEP_2)
	v_lshlrev_b32_e32 v17, 4, v4
	v_lshl_add_u32 v4, v4, 3, 0
	v_add3_u32 v17, 0, v17, 0x40000
	ds_store_b64 v4, v[6:7]
	s_waitcnt vmcnt(0)
	ds_store_2addr_b64 v17, v[13:14], v[15:16] offset1:1
	s_or_b32 exec_lo, exec_lo, s16
	s_and_saveexec_b32 s15, vcc_lo
	s_cbranch_execz .LBB171_62
.LBB171_96:                             ;   in Loop: Header=BB171_63 Depth=1
	v_mov_b32_e32 v4, s41
	ds_store_b64 v4, v[8:9]
	s_branch .LBB171_62
.LBB171_97:
	s_or_b32 exec_lo, exec_lo, s17
	s_lshl_b64 s[0:1], s[36:37], 3
	v_mov_b32_e32 v1, 0
	s_add_u32 s0, s18, s0
	s_addc_u32 s1, s19, s1
	s_mov_b32 s6, exec_lo
	s_load_b128 s[0:3], s[0:1], 0x0
	s_waitcnt lgkmcnt(0)
	s_sub_u32 s4, s2, s0
	s_subb_u32 s5, s3, s1
	s_delay_alu instid0(SALU_CYCLE_1)
	v_cmpx_gt_i64_e64 s[4:5], v[0:1]
	s_cbranch_execz .LBB171_107
; %bb.98:
	s_sub_u32 s8, s0, s22
	s_subb_u32 s9, s1, 0
	s_and_b32 s6, s4, 7
	s_sub_u32 s0, s0, s2
	s_subb_u32 s1, s1, s3
	s_mov_b32 s7, 0
	v_cmp_lt_u64_e64 s12, s[0:1], -7
	s_and_b32 s2, s4, -8
	s_cmp_lg_u64 s[6:7], 0
	s_mov_b32 s3, s5
	s_cselect_b32 s13, -1, 0
	s_mov_b32 s14, s7
	s_branch .LBB171_100
.LBB171_99:                             ;   in Loop: Header=BB171_100 Depth=1
	v_lshlrev_b32_e32 v6, 4, v0
	s_waitcnt lgkmcnt(0)
	v_add_co_u32 v2, vcc_lo, v2, s22
	v_lshlrev_b64 v[10:11], 3, v[4:5]
	v_add_co_ci_u32_e32 v3, vcc_lo, 0, v3, vcc_lo
	v_add3_u32 v6, 0, v6, 0x40000
	v_add_co_u32 v0, vcc_lo, 0x400, v0
	v_add_co_ci_u32_e32 v1, vcc_lo, 0, v1, vcc_lo
	ds_load_2addr_b64 v[6:9], v6 offset1:1
	v_lshlrev_b64 v[4:5], 4, v[4:5]
	v_add_co_u32 v10, vcc_lo, s24, v10
	v_add_co_ci_u32_e32 v11, vcc_lo, s25, v11, vcc_lo
	v_cmp_le_i64_e32 vcc_lo, s[4:5], v[0:1]
	s_delay_alu instid0(VALU_DEP_4) | instskip(NEXT) | instid1(VALU_DEP_1)
	v_add_co_u32 v4, s0, s26, v4
	v_add_co_ci_u32_e64 v5, s0, s27, v5, s0
	global_store_b64 v[10:11], v[2:3], off
	s_waitcnt lgkmcnt(0)
	global_store_b128 v[4:5], v[6:9], off
	s_or_b32 s14, vcc_lo, s14
	s_delay_alu instid0(SALU_CYCLE_1)
	s_and_not1_b32 exec_lo, exec_lo, s14
	s_cbranch_execz .LBB171_107
.LBB171_100:                            ; =>This Loop Header: Depth=1
                                        ;     Child Loop BB171_102 Depth 2
                                        ;     Child Loop BB171_106 Depth 2
	v_lshl_add_u32 v2, v0, 3, 0
	v_dual_mov_b32 v4, s8 :: v_dual_mov_b32 v5, s9
	s_and_not1_b32 vcc_lo, exec_lo, s12
	s_mov_b64 s[0:1], 0
	ds_load_b64 v[2:3], v2
	s_cbranch_vccnz .LBB171_104
; %bb.101:                              ;   in Loop: Header=BB171_100 Depth=1
	v_dual_mov_b32 v4, s8 :: v_dual_mov_b32 v5, s9
	s_mov_b64 s[10:11], 0
	s_mov_b32 s1, 0
.LBB171_102:                            ;   Parent Loop BB171_100 Depth=1
                                        ; =>  This Inner Loop Header: Depth=2
	s_delay_alu instid0(SALU_CYCLE_1)
	v_mov_b32_e32 v18, s1
	s_add_u32 s10, s10, 8
	s_addc_u32 s11, s11, 0
	s_add_i32 s1, s1, 64
	s_cmp_eq_u64 s[2:3], s[10:11]
	ds_load_2addr_b64 v[6:9], v18 offset1:1
	ds_load_2addr_b64 v[10:13], v18 offset0:2 offset1:3
	ds_load_2addr_b64 v[14:17], v18 offset0:4 offset1:5
	;; [unrolled: 1-line block ×3, first 2 shown]
	s_waitcnt lgkmcnt(3)
	v_cmp_gt_i64_e32 vcc_lo, v[2:3], v[6:7]
	v_cndmask_b32_e64 v6, 0, 1, vcc_lo
	v_cmp_gt_i64_e32 vcc_lo, v[2:3], v[8:9]
	v_cndmask_b32_e64 v7, 0, 1, vcc_lo
	s_waitcnt lgkmcnt(2)
	v_cmp_gt_i64_e32 vcc_lo, v[2:3], v[10:11]
	v_cndmask_b32_e64 v8, 0, 1, vcc_lo
	v_cmp_gt_i64_e32 vcc_lo, v[2:3], v[12:13]
	v_cndmask_b32_e64 v9, 0, 1, vcc_lo
	s_waitcnt lgkmcnt(1)
	v_cmp_gt_i64_e32 vcc_lo, v[2:3], v[14:15]
	v_cndmask_b32_e64 v10, 0, 1, vcc_lo
	v_add_co_u32 v4, vcc_lo, v4, v6
	v_add_co_ci_u32_e32 v5, vcc_lo, 0, v5, vcc_lo
	v_cmp_gt_i64_e32 vcc_lo, v[2:3], v[16:17]
	s_delay_alu instid0(VALU_DEP_3) | instskip(NEXT) | instid1(VALU_DEP_1)
	v_add_co_u32 v4, s0, v4, v7
	v_add_co_ci_u32_e64 v5, s0, 0, v5, s0
	v_cndmask_b32_e64 v6, 0, 1, vcc_lo
	s_delay_alu instid0(VALU_DEP_3) | instskip(NEXT) | instid1(VALU_DEP_3)
	v_add_co_u32 v4, vcc_lo, v4, v8
	v_add_co_ci_u32_e32 v5, vcc_lo, 0, v5, vcc_lo
	s_waitcnt lgkmcnt(0)
	v_cmp_gt_i64_e32 vcc_lo, v[2:3], v[18:19]
	s_delay_alu instid0(VALU_DEP_3) | instskip(NEXT) | instid1(VALU_DEP_1)
	v_add_co_u32 v4, s0, v4, v9
	v_add_co_ci_u32_e64 v5, s0, 0, v5, s0
	v_cndmask_b32_e64 v7, 0, 1, vcc_lo
	s_delay_alu instid0(VALU_DEP_3) | instskip(NEXT) | instid1(VALU_DEP_3)
	v_add_co_u32 v4, vcc_lo, v4, v10
	v_add_co_ci_u32_e32 v5, vcc_lo, 0, v5, vcc_lo
	v_cmp_gt_i64_e32 vcc_lo, v[2:3], v[20:21]
	s_delay_alu instid0(VALU_DEP_3) | instskip(NEXT) | instid1(VALU_DEP_1)
	v_add_co_u32 v4, s0, v4, v6
	v_add_co_ci_u32_e64 v5, s0, 0, v5, s0
	v_cndmask_b32_e64 v6, 0, 1, vcc_lo
	s_delay_alu instid0(VALU_DEP_3) | instskip(NEXT) | instid1(VALU_DEP_3)
	v_add_co_u32 v4, vcc_lo, v4, v7
	v_add_co_ci_u32_e32 v5, vcc_lo, 0, v5, vcc_lo
	s_delay_alu instid0(VALU_DEP_2) | instskip(NEXT) | instid1(VALU_DEP_2)
	v_add_co_u32 v4, vcc_lo, v4, v6
	v_add_co_ci_u32_e32 v5, vcc_lo, 0, v5, vcc_lo
	s_cbranch_scc0 .LBB171_102
; %bb.103:                              ;   in Loop: Header=BB171_100 Depth=1
	s_mov_b64 s[0:1], s[2:3]
.LBB171_104:                            ;   in Loop: Header=BB171_100 Depth=1
	s_and_not1_b32 vcc_lo, exec_lo, s13
	s_cbranch_vccnz .LBB171_99
; %bb.105:                              ;   in Loop: Header=BB171_100 Depth=1
	s_lshl_b32 s0, s0, 3
	s_delay_alu instid0(SALU_CYCLE_1)
	s_add_i32 s10, s0, 0
	s_mov_b64 s[0:1], s[6:7]
.LBB171_106:                            ;   Parent Loop BB171_100 Depth=1
                                        ; =>  This Inner Loop Header: Depth=2
	v_mov_b32_e32 v6, s10
	s_add_i32 s10, s10, 8
	s_add_u32 s0, s0, -1
	s_addc_u32 s1, s1, -1
	s_delay_alu instid0(SALU_CYCLE_1) | instskip(SKIP_4) | instid1(VALU_DEP_1)
	s_cmp_lg_u64 s[0:1], 0
	ds_load_b64 v[6:7], v6
	s_waitcnt lgkmcnt(0)
	v_cmp_gt_i64_e32 vcc_lo, v[2:3], v[6:7]
	v_cndmask_b32_e64 v6, 0, 1, vcc_lo
	v_add_co_u32 v4, vcc_lo, v4, v6
	v_add_co_ci_u32_e32 v5, vcc_lo, 0, v5, vcc_lo
	s_cbranch_scc1 .LBB171_106
	s_branch .LBB171_99
.LBB171_107:
	s_nop 0
	s_sendmsg sendmsg(MSG_DEALLOC_VGPRS)
	s_endpgm
	.section	.rodata,"a",@progbits
	.p2align	6, 0x0
	.amdhsa_kernel _ZN9rocsparseL26csrgemm_fill_block_per_rowILj1024ELj64ELj32768ELj137ELj64Ell21rocsparse_complex_numIdEEEvT5_PKS3_S5_NS_24const_host_device_scalarIT6_EEPKT4_S5_PKS7_SB_S5_SD_S8_SB_S5_SD_SB_PS3_PS7_21rocsparse_index_base_SG_SG_SG_bbb
		.amdhsa_group_segment_fixed_size 0
		.amdhsa_private_segment_fixed_size 40
		.amdhsa_kernarg_size 172
		.amdhsa_user_sgpr_count 15
		.amdhsa_user_sgpr_dispatch_ptr 0
		.amdhsa_user_sgpr_queue_ptr 0
		.amdhsa_user_sgpr_kernarg_segment_ptr 1
		.amdhsa_user_sgpr_dispatch_id 0
		.amdhsa_user_sgpr_private_segment_size 0
		.amdhsa_wavefront_size32 1
		.amdhsa_uses_dynamic_stack 0
		.amdhsa_enable_private_segment 1
		.amdhsa_system_sgpr_workgroup_id_x 1
		.amdhsa_system_sgpr_workgroup_id_y 0
		.amdhsa_system_sgpr_workgroup_id_z 0
		.amdhsa_system_sgpr_workgroup_info 0
		.amdhsa_system_vgpr_workitem_id 0
		.amdhsa_next_free_vgpr 37
		.amdhsa_next_free_sgpr 48
		.amdhsa_reserve_vcc 1
		.amdhsa_float_round_mode_32 0
		.amdhsa_float_round_mode_16_64 0
		.amdhsa_float_denorm_mode_32 3
		.amdhsa_float_denorm_mode_16_64 3
		.amdhsa_dx10_clamp 1
		.amdhsa_ieee_mode 1
		.amdhsa_fp16_overflow 0
		.amdhsa_workgroup_processor_mode 1
		.amdhsa_memory_ordered 1
		.amdhsa_forward_progress 0
		.amdhsa_shared_vgpr_count 0
		.amdhsa_exception_fp_ieee_invalid_op 0
		.amdhsa_exception_fp_denorm_src 0
		.amdhsa_exception_fp_ieee_div_zero 0
		.amdhsa_exception_fp_ieee_overflow 0
		.amdhsa_exception_fp_ieee_underflow 0
		.amdhsa_exception_fp_ieee_inexact 0
		.amdhsa_exception_int_div_zero 0
	.end_amdhsa_kernel
	.section	.text._ZN9rocsparseL26csrgemm_fill_block_per_rowILj1024ELj64ELj32768ELj137ELj64Ell21rocsparse_complex_numIdEEEvT5_PKS3_S5_NS_24const_host_device_scalarIT6_EEPKT4_S5_PKS7_SB_S5_SD_S8_SB_S5_SD_SB_PS3_PS7_21rocsparse_index_base_SG_SG_SG_bbb,"axG",@progbits,_ZN9rocsparseL26csrgemm_fill_block_per_rowILj1024ELj64ELj32768ELj137ELj64Ell21rocsparse_complex_numIdEEEvT5_PKS3_S5_NS_24const_host_device_scalarIT6_EEPKT4_S5_PKS7_SB_S5_SD_S8_SB_S5_SD_SB_PS3_PS7_21rocsparse_index_base_SG_SG_SG_bbb,comdat
.Lfunc_end171:
	.size	_ZN9rocsparseL26csrgemm_fill_block_per_rowILj1024ELj64ELj32768ELj137ELj64Ell21rocsparse_complex_numIdEEEvT5_PKS3_S5_NS_24const_host_device_scalarIT6_EEPKT4_S5_PKS7_SB_S5_SD_S8_SB_S5_SD_SB_PS3_PS7_21rocsparse_index_base_SG_SG_SG_bbb, .Lfunc_end171-_ZN9rocsparseL26csrgemm_fill_block_per_rowILj1024ELj64ELj32768ELj137ELj64Ell21rocsparse_complex_numIdEEEvT5_PKS3_S5_NS_24const_host_device_scalarIT6_EEPKT4_S5_PKS7_SB_S5_SD_S8_SB_S5_SD_SB_PS3_PS7_21rocsparse_index_base_SG_SG_SG_bbb
                                        ; -- End function
	.section	.AMDGPU.csdata,"",@progbits
; Kernel info:
; codeLenInByte = 4688
; NumSgprs: 50
; NumVgprs: 37
; ScratchSize: 40
; MemoryBound: 0
; FloatMode: 240
; IeeeMode: 1
; LDSByteSize: 0 bytes/workgroup (compile time only)
; SGPRBlocks: 6
; VGPRBlocks: 4
; NumSGPRsForWavesPerEU: 50
; NumVGPRsForWavesPerEU: 37
; Occupancy: 16
; WaveLimiterHint : 1
; COMPUTE_PGM_RSRC2:SCRATCH_EN: 1
; COMPUTE_PGM_RSRC2:USER_SGPR: 15
; COMPUTE_PGM_RSRC2:TRAP_HANDLER: 0
; COMPUTE_PGM_RSRC2:TGID_X_EN: 1
; COMPUTE_PGM_RSRC2:TGID_Y_EN: 0
; COMPUTE_PGM_RSRC2:TGID_Z_EN: 0
; COMPUTE_PGM_RSRC2:TIDIG_COMP_CNT: 0
	.section	.text._ZN9rocsparseL36csrgemm_fill_block_per_row_multipassILj512ELj16ELj2048ELj32Ell21rocsparse_complex_numIdEEEvT4_PKS3_S5_NS_24const_host_device_scalarIT5_EEPKT3_S5_PKS7_SB_S5_SD_S8_SB_S5_SD_SB_PS3_PS7_PS9_21rocsparse_index_base_SH_SH_SH_bbb,"axG",@progbits,_ZN9rocsparseL36csrgemm_fill_block_per_row_multipassILj512ELj16ELj2048ELj32Ell21rocsparse_complex_numIdEEEvT4_PKS3_S5_NS_24const_host_device_scalarIT5_EEPKT3_S5_PKS7_SB_S5_SD_S8_SB_S5_SD_SB_PS3_PS7_PS9_21rocsparse_index_base_SH_SH_SH_bbb,comdat
	.globl	_ZN9rocsparseL36csrgemm_fill_block_per_row_multipassILj512ELj16ELj2048ELj32Ell21rocsparse_complex_numIdEEEvT4_PKS3_S5_NS_24const_host_device_scalarIT5_EEPKT3_S5_PKS7_SB_S5_SD_S8_SB_S5_SD_SB_PS3_PS7_PS9_21rocsparse_index_base_SH_SH_SH_bbb ; -- Begin function _ZN9rocsparseL36csrgemm_fill_block_per_row_multipassILj512ELj16ELj2048ELj32Ell21rocsparse_complex_numIdEEEvT4_PKS3_S5_NS_24const_host_device_scalarIT5_EEPKT3_S5_PKS7_SB_S5_SD_S8_SB_S5_SD_SB_PS3_PS7_PS9_21rocsparse_index_base_SH_SH_SH_bbb
	.p2align	8
	.type	_ZN9rocsparseL36csrgemm_fill_block_per_row_multipassILj512ELj16ELj2048ELj32Ell21rocsparse_complex_numIdEEEvT4_PKS3_S5_NS_24const_host_device_scalarIT5_EEPKT3_S5_PKS7_SB_S5_SD_S8_SB_S5_SD_SB_PS3_PS7_PS9_21rocsparse_index_base_SH_SH_SH_bbb,@function
_ZN9rocsparseL36csrgemm_fill_block_per_row_multipassILj512ELj16ELj2048ELj32Ell21rocsparse_complex_numIdEEEvT4_PKS3_S5_NS_24const_host_device_scalarIT5_EEPKT3_S5_PKS7_SB_S5_SD_S8_SB_S5_SD_SB_PS3_PS7_PS9_21rocsparse_index_base_SH_SH_SH_bbb: ; @_ZN9rocsparseL36csrgemm_fill_block_per_row_multipassILj512ELj16ELj2048ELj32Ell21rocsparse_complex_numIdEEEvT4_PKS3_S5_NS_24const_host_device_scalarIT5_EEPKT3_S5_PKS7_SB_S5_SD_S8_SB_S5_SD_SB_PS3_PS7_PS9_21rocsparse_index_base_SH_SH_SH_bbb
; %bb.0:
	s_mov_b32 s20, s15
	s_clause 0x3
	s_load_b32 s5, s[2:3], 0xb0
	s_load_b256 s[8:15], s[2:3], 0x8
	s_load_b128 s[16:19], s[2:3], 0x58
	s_load_b128 s[28:31], s[2:3], 0xa0
	v_mov_b32_e32 v8, 0
	v_mov_b32_e32 v9, 0
	s_waitcnt lgkmcnt(0)
	s_bitcmp1_b32 s5, 0
	v_dual_mov_b32 v1, s12 :: v_dual_mov_b32 v2, s13
	s_cselect_b32 s55, -1, 0
	s_bitcmp1_b32 s5, 16
	v_dual_mov_b32 v11, v9 :: v_dual_mov_b32 v10, v8
	s_cselect_b32 s4, -1, 0
	v_dual_mov_b32 v13, v9 :: v_dual_mov_b32 v12, v8
	v_dual_mov_b32 v3, s16 :: v_dual_mov_b32 v4, s17
	s_xor_b32 s21, s4, -1
	s_bitcmp0_b32 s5, 0
	s_clause 0x1
	scratch_store_b64 off, v[1:2], off
	scratch_store_b64 off, v[3:4], off offset:8
	s_cbranch_scc1 .LBB172_3
; %bb.1:
	s_mov_b64 s[6:7], src_private_base
	s_and_b32 s6, s4, exec_lo
	s_cselect_b32 s6, s7, s13
	s_delay_alu instid0(SALU_CYCLE_1) | instskip(SKIP_2) | instid1(VALU_DEP_2)
	v_dual_mov_b32 v1, 0 :: v_dual_mov_b32 v2, s6
	v_dual_mov_b32 v12, s14 :: v_dual_mov_b32 v13, s15
	s_and_not1_b32 vcc_lo, exec_lo, s21
	v_cndmask_b32_e64 v1, s12, v1, s4
	flat_load_b64 v[10:11], v[1:2]
	s_cbranch_vccnz .LBB172_3
; %bb.2:
	v_dual_mov_b32 v1, s12 :: v_dual_mov_b32 v2, s13
	flat_load_b64 v[12:13], v[1:2] offset:8
.LBB172_3:
	s_load_b64 s[12:13], s[2:3], 0x28
	s_bitcmp1_b32 s5, 8
	v_dual_mov_b32 v15, v9 :: v_dual_mov_b32 v14, v8
	s_cselect_b32 s33, -1, 0
	s_bfe_u32 s5, s5, 0x10008
	s_mov_b64 s[6:7], 0
	s_cmp_eq_u32 s5, 0
	s_cbranch_scc1 .LBB172_6
; %bb.4:
	s_mov_b64 s[14:15], src_private_base
	s_and_b32 s5, s4, exec_lo
	s_cselect_b32 s5, s15, s17
	s_delay_alu instid0(SALU_CYCLE_1) | instskip(SKIP_2) | instid1(VALU_DEP_2)
	v_dual_mov_b32 v1, 8 :: v_dual_mov_b32 v2, s5
	v_dual_mov_b32 v8, s18 :: v_dual_mov_b32 v9, s19
	s_and_not1_b32 vcc_lo, exec_lo, s21
	v_cndmask_b32_e64 v1, s16, v1, s4
	flat_load_b64 v[14:15], v[1:2]
	s_cbranch_vccnz .LBB172_6
; %bb.5:
	v_dual_mov_b32 v1, s16 :: v_dual_mov_b32 v2, s17
	flat_load_b64 v[8:9], v[1:2] offset:8
.LBB172_6:
	s_load_b64 s[4:5], s[8:9], 0x0
	s_mov_b32 s21, 0
	s_waitcnt lgkmcnt(0)
	s_lshl_b64 s[4:5], s[4:5], 3
	s_delay_alu instid0(SALU_CYCLE_1) | instskip(SKIP_2) | instid1(SALU_CYCLE_1)
	s_add_u32 s8, s10, s4
	s_addc_u32 s9, s11, s5
	s_lshl_b64 s[4:5], s[20:21], 3
	s_add_u32 s4, s8, s4
	s_addc_u32 s5, s9, s5
	s_and_not1_b32 vcc_lo, exec_lo, s55
	s_load_b64 s[4:5], s[4:5], 0x0
	s_cbranch_vccz .LBB172_9
; %bb.7:
	s_and_not1_b32 vcc_lo, exec_lo, s55
	s_mov_b64 s[34:35], 0
	s_cbranch_vccz .LBB172_10
.LBB172_8:
	s_load_b64 s[48:49], s[2:3], 0x0
	s_waitcnt lgkmcnt(0)
	v_cmp_lt_i64_e64 s8, s[48:49], 1
	s_delay_alu instid0(VALU_DEP_1)
	s_and_b32 vcc_lo, exec_lo, s8
	s_cbranch_vccz .LBB172_11
	s_branch .LBB172_73
.LBB172_9:
	s_waitcnt lgkmcnt(0)
	s_lshl_b64 s[6:7], s[4:5], 3
	s_delay_alu instid0(SALU_CYCLE_1)
	s_add_u32 s6, s12, s6
	s_addc_u32 s7, s13, s7
	s_load_b64 s[6:7], s[6:7], 0x0
	s_waitcnt lgkmcnt(0)
	s_sub_u32 s6, s6, s28
	s_subb_u32 s7, s7, 0
	s_and_not1_b32 vcc_lo, exec_lo, s55
	s_mov_b64 s[34:35], 0
	s_cbranch_vccnz .LBB172_8
.LBB172_10:
	s_waitcnt lgkmcnt(0)
	s_lshl_b64 s[8:9], s[4:5], 3
	s_delay_alu instid0(SALU_CYCLE_1)
	s_add_u32 s8, s12, s8
	s_addc_u32 s9, s13, s9
	s_load_b64 s[8:9], s[8:9], 0x8
	s_waitcnt lgkmcnt(0)
	s_sub_u32 s34, s8, s28
	s_subb_u32 s35, s9, 0
	s_load_b64 s[48:49], s[2:3], 0x0
	s_waitcnt lgkmcnt(0)
	v_cmp_lt_i64_e64 s8, s[48:49], 1
	s_delay_alu instid0(VALU_DEP_1)
	s_and_b32 vcc_lo, exec_lo, s8
	s_cbranch_vccnz .LBB172_73
.LBB172_11:
	s_load_b64 s[0:1], s[0:1], 0x4
	s_clause 0x4
	s_load_b256 s[20:27], s[2:3], 0x68
	s_load_b64 s[50:51], s[2:3], 0x98
	s_load_b128 s[44:47], s[2:3], 0x88
	s_load_b64 s[52:53], s[2:3], 0x50
	s_load_b256 s[36:43], s[2:3], 0x30
	s_lshl_b64 s[2:3], s[4:5], 3
	v_and_b32_e32 v1, 0x3ff, v0
	v_bfe_u32 v2, v0, 10, 10
	v_mbcnt_lo_u32_b32 v4, -1, 0
	v_bfe_u32 v3, v0, 20, 10
	v_mov_b32_e32 v0, 0
	v_lshrrev_b32_e32 v5, 4, v1
	v_and_b32_e32 v47, 15, v1
	v_xor_b32_e32 v6, 8, v4
	v_xor_b32_e32 v7, 4, v4
	;; [unrolled: 1-line block ×3, first 2 shown]
	s_mov_b32 s54, s31
	v_sub_co_u32 v48, s9, v1, s31
	s_waitcnt lgkmcnt(0)
	s_lshr_b32 s8, s0, 16
	s_add_u32 s4, s26, s2
	s_addc_u32 s5, s27, s3
	s_mul_i32 s8, s8, s1
	s_load_b64 s[4:5], s[4:5], 0x0
	v_mul_lo_u32 v19, s8, v1
	v_mul_u32_u24_e32 v2, s1, v2
	v_cmp_gt_i32_e32 vcc_lo, 32, v6
	v_add_co_u32 v16, s1, s6, v5
	s_delay_alu instid0(VALU_DEP_1) | instskip(SKIP_3) | instid1(VALU_DEP_4)
	v_add_co_ci_u32_e64 v17, null, s7, 0, s1
	v_cndmask_b32_e32 v5, v4, v6, vcc_lo
	v_add3_u32 v2, v19, v2, v3
	v_xor_b32_e32 v3, 1, v4
	v_cmp_gt_i64_e32 vcc_lo, s[34:35], v[16:17]
	v_lshrrev_b32_e32 v6, 3, v1
	v_dual_mov_b32 v21, 0 :: v_dual_lshlrev_b32 v50, 2, v5
	v_lshl_add_u32 v51, v2, 4, 0x8808
	v_add_co_u32 v58, s26, v1, s30
	v_cmp_eq_u32_e64 s0, 0, v1
	v_sub_co_ci_u32_e64 v49, null, 0, 0, s9
	s_waitcnt lgkmcnt(0)
	s_sub_u32 s18, s4, s30
	s_subb_u32 s19, s5, 0
	s_add_u32 s20, s20, s2
	v_cmp_gt_i32_e64 s2, 32, v7
	s_addc_u32 s21, s21, s3
	s_and_b32 s31, s55, vcc_lo
	s_add_u32 s55, s40, 8
	v_and_b32_e32 v55, 60, v6
	v_cndmask_b32_e64 v2, v4, v7, s2
	v_cmp_gt_i32_e64 s2, 32, v18
	s_addc_u32 s56, s41, 0
	v_mov_b32_e32 v23, 0x800
	v_cmp_gt_u32_e64 s3, 32, v1
	v_lshlrev_b32_e32 v52, 2, v2
	v_cndmask_b32_e64 v5, v4, v18, s2
	v_cmp_gt_i32_e64 s2, 32, v3
	v_cmp_gt_u32_e64 s4, 64, v1
	v_cmp_gt_u32_e64 s5, 0x60, v1
	;; [unrolled: 1-line block ×3, first 2 shown]
	v_dual_mov_b32 v24, 0 :: v_dual_lshlrev_b32 v53, 2, v5
	v_cndmask_b32_e64 v3, v4, v3, s2
	v_xor_b32_e32 v4, 63, v4
	v_cmp_eq_u32_e64 s2, 0x1ff, v1
	v_cmp_gt_u32_e64 s7, 0xa0, v1
	v_cmp_gt_u32_e64 s8, 0xc0, v1
	v_lshlrev_b32_e32 v54, 2, v3
	v_lshrrev_b64 v[18:19], v4, -1
	v_mov_b32_e32 v20, s19
	v_cmp_gt_u32_e64 s9, 0xe0, v1
	v_cmp_gt_u32_e64 s10, 0x100, v1
	;; [unrolled: 1-line block ×9, first 2 shown]
	s_add_u32 s44, s44, -8
	v_or_b32_e32 v56, 0xfffffe00, v1
	v_dual_mov_b32 v2, v0 :: v_dual_lshlrev_b32 v57, 4, v1
	v_add_co_ci_u32_e64 v59, null, 0, 0, s26
	v_mov_b32_e32 v22, 0
	v_cmp_eq_u32_e64 s1, 15, v47
	v_dual_mov_b32 v19, s18 :: v_dual_mov_b32 v60, 1
	v_mov_b32_e32 v1, v0
	v_mov_b32_e32 v3, v0
	s_addc_u32 s30, s45, -1
	s_add_u32 s45, s46, -16
	s_addc_u32 s46, s47, -1
	s_branch .LBB172_13
.LBB172_12:                             ;   in Loop: Header=BB172_13 Depth=1
	s_or_b32 exec_lo, exec_lo, s19
	ds_load_b64 v[21:22], v0 offset:34816
	s_waitcnt lgkmcnt(0)
	s_barrier
	buffer_gl0_inv
	v_cmp_le_i64_e32 vcc_lo, s[48:49], v[21:22]
	v_add_co_u32 v23, s18, 0x800, v21
	s_delay_alu instid0(VALU_DEP_1)
	v_add_co_ci_u32_e64 v24, s18, 0, v22, s18
	s_cbranch_vccnz .LBB172_73
.LBB172_13:                             ; =>This Loop Header: Depth=1
                                        ;     Child Loop BB172_14 Depth 2
                                        ;     Child Loop BB172_20 Depth 2
                                        ;       Child Loop BB172_28 Depth 3
                                        ;         Child Loop BB172_32 Depth 4
                                        ;         Child Loop BB172_34 Depth 4
                                        ;     Child Loop BB172_48 Depth 2
                                        ;       Child Loop BB172_52 Depth 3
                                        ;       Child Loop BB172_54 Depth 3
                                        ;     Child Loop BB172_64 Depth 2
                                        ;     Child Loop BB172_69 Depth 2
	v_dual_mov_b32 v4, v57 :: v_dual_mov_b32 v5, v56
	s_mov_b32 s18, 0
.LBB172_14:                             ;   Parent Loop BB172_13 Depth=1
                                        ; =>  This Inner Loop Header: Depth=2
	ds_store_b8 v5, v0 offset:33280
	v_add_nc_u32_e32 v5, 0x200, v5
	ds_store_b128 v4, v[0:3]
	v_add_nc_u32_e32 v4, 0x2000, v4
	v_cmp_lt_u32_e32 vcc_lo, 0x5ff, v5
	s_or_b32 s18, vcc_lo, s18
	s_delay_alu instid0(SALU_CYCLE_1)
	s_and_not1_b32 exec_lo, exec_lo, s18
	s_cbranch_execnz .LBB172_14
; %bb.15:                               ;   in Loop: Header=BB172_13 Depth=1
	s_or_b32 exec_lo, exec_lo, s18
	s_and_saveexec_b32 s18, s0
	s_cbranch_execz .LBB172_17
; %bb.16:                               ;   in Loop: Header=BB172_13 Depth=1
	v_dual_mov_b32 v4, s48 :: v_dual_mov_b32 v5, s49
	ds_store_b64 v0, v[4:5] offset:34816
.LBB172_17:                             ;   in Loop: Header=BB172_13 Depth=1
	s_or_b32 exec_lo, exec_lo, s18
	v_dual_mov_b32 v25, s48 :: v_dual_mov_b32 v26, s49
	s_waitcnt vmcnt(0) lgkmcnt(0)
	s_waitcnt_vscnt null, 0x0
	s_barrier
	buffer_gl0_inv
	s_and_saveexec_b32 s26, s31
	s_cbranch_execz .LBB172_44
; %bb.18:                               ;   in Loop: Header=BB172_13 Depth=1
	v_cmp_ne_u64_e64 s18, 0, v[21:22]
	v_dual_mov_b32 v25, s48 :: v_dual_mov_b32 v26, s49
	v_dual_mov_b32 v28, v17 :: v_dual_mov_b32 v27, v16
	s_mov_b32 s27, 0
	s_branch .LBB172_20
.LBB172_19:                             ;   in Loop: Header=BB172_20 Depth=2
	s_or_b32 exec_lo, exec_lo, s47
	v_add_co_u32 v27, vcc_lo, v27, 32
	v_add_co_ci_u32_e32 v28, vcc_lo, 0, v28, vcc_lo
	s_delay_alu instid0(VALU_DEP_1) | instskip(SKIP_1) | instid1(SALU_CYCLE_1)
	v_cmp_le_i64_e32 vcc_lo, s[34:35], v[27:28]
	s_or_b32 s27, vcc_lo, s27
	s_and_not1_b32 exec_lo, exec_lo, s27
	s_cbranch_execz .LBB172_43
.LBB172_20:                             ;   Parent Loop BB172_13 Depth=1
                                        ; =>  This Loop Header: Depth=2
                                        ;       Child Loop BB172_28 Depth 3
                                        ;         Child Loop BB172_32 Depth 4
                                        ;         Child Loop BB172_34 Depth 4
	s_delay_alu instid0(VALU_DEP_1) | instskip(SKIP_2) | instid1(VALU_DEP_2)
	v_lshlrev_b64 v[29:30], 3, v[27:28]
	v_lshlrev_b64 v[4:5], 4, v[27:28]
	s_waitcnt lgkmcnt(0)
	v_add_co_u32 v6, vcc_lo, s36, v29
	s_delay_alu instid0(VALU_DEP_3) | instskip(NEXT) | instid1(VALU_DEP_3)
	v_add_co_ci_u32_e32 v7, vcc_lo, s37, v30, vcc_lo
	v_add_co_u32 v4, vcc_lo, s38, v4
	s_delay_alu instid0(VALU_DEP_4)
	v_add_co_ci_u32_e32 v5, vcc_lo, s39, v5, vcc_lo
	s_and_b32 vcc_lo, exec_lo, s18
	global_load_b64 v[33:34], v[6:7], off
	global_load_b128 v[4:7], v[4:5], off
	s_cbranch_vccz .LBB172_22
; %bb.21:                               ;   in Loop: Header=BB172_20 Depth=2
	v_add_co_u32 v31, vcc_lo, s50, v29
	v_add_co_ci_u32_e32 v32, vcc_lo, s51, v30, vcc_lo
	s_mov_b32 s19, 0
	global_load_b64 v[31:32], v[31:32], off
	s_branch .LBB172_23
.LBB172_22:                             ;   in Loop: Header=BB172_20 Depth=2
	s_mov_b32 s19, -1
                                        ; implicit-def: $vgpr31_vgpr32
.LBB172_23:                             ;   in Loop: Header=BB172_20 Depth=2
	s_waitcnt vmcnt(1)
	v_sub_co_u32 v33, vcc_lo, v33, s28
	v_subrev_co_ci_u32_e32 v34, vcc_lo, 0, v34, vcc_lo
	s_and_not1_b32 vcc_lo, exec_lo, s19
	s_delay_alu instid0(VALU_DEP_1)
	v_lshlrev_b64 v[33:34], 3, v[33:34]
	s_cbranch_vccnz .LBB172_25
; %bb.24:                               ;   in Loop: Header=BB172_20 Depth=2
	s_waitcnt vmcnt(0)
	s_delay_alu instid0(VALU_DEP_1) | instskip(NEXT) | instid1(VALU_DEP_2)
	v_add_co_u32 v31, vcc_lo, s40, v33
	v_add_co_ci_u32_e32 v32, vcc_lo, s41, v34, vcc_lo
	global_load_b64 v[31:32], v[31:32], off
	s_waitcnt vmcnt(0)
	v_sub_co_u32 v31, vcc_lo, v31, s29
	v_subrev_co_ci_u32_e32 v32, vcc_lo, 0, v32, vcc_lo
.LBB172_25:                             ;   in Loop: Header=BB172_20 Depth=2
	s_delay_alu instid0(VALU_DEP_1) | instskip(NEXT) | instid1(VALU_DEP_2)
	v_add_co_u32 v33, vcc_lo, s55, v33
	v_add_co_ci_u32_e32 v34, vcc_lo, s56, v34, vcc_lo
	s_mov_b32 s47, exec_lo
	global_load_b64 v[33:34], v[33:34], off
	s_waitcnt vmcnt(0)
	v_sub_co_u32 v33, vcc_lo, v33, s29
	v_subrev_co_ci_u32_e32 v34, vcc_lo, 0, v34, vcc_lo
	v_add_co_u32 v31, vcc_lo, v31, v47
	v_add_co_ci_u32_e32 v32, vcc_lo, 0, v32, vcc_lo
	s_delay_alu instid0(VALU_DEP_1)
	v_cmpx_lt_i64_e64 v[31:32], v[33:34]
	s_cbranch_execz .LBB172_41
; %bb.26:                               ;   in Loop: Header=BB172_20 Depth=2
	v_mul_f64 v[35:36], v[6:7], -v[12:13]
	v_mul_f64 v[6:7], v[10:11], v[6:7]
	v_dual_mov_b32 v42, v32 :: v_dual_mov_b32 v41, v31
	s_mov_b32 s58, 0
                                        ; implicit-def: $sgpr57
                                        ; implicit-def: $sgpr59
	s_delay_alu instid0(VALU_DEP_3) | instskip(NEXT) | instid1(VALU_DEP_3)
	v_fma_f64 v[35:36], v[10:11], v[4:5], v[35:36]
	v_fma_f64 v[37:38], v[12:13], v[4:5], v[6:7]
	s_branch .LBB172_28
.LBB172_27:                             ;   in Loop: Header=BB172_28 Depth=3
	s_or_b32 exec_lo, exec_lo, s60
	s_delay_alu instid0(SALU_CYCLE_1) | instskip(SKIP_4) | instid1(SALU_CYCLE_1)
	s_and_b32 s19, exec_lo, s61
	v_dual_mov_b32 v42, v7 :: v_dual_mov_b32 v41, v6
	s_or_b32 s58, s19, s58
	s_and_not1_b32 s19, s57, exec_lo
	s_and_b32 s57, s59, exec_lo
	s_or_b32 s57, s19, s57
	s_and_not1_b32 exec_lo, exec_lo, s58
	s_cbranch_execz .LBB172_38
.LBB172_28:                             ;   Parent Loop BB172_13 Depth=1
                                        ;     Parent Loop BB172_20 Depth=2
                                        ; =>    This Loop Header: Depth=3
                                        ;         Child Loop BB172_32 Depth 4
                                        ;         Child Loop BB172_34 Depth 4
	v_lshlrev_b64 v[4:5], 3, v[41:42]
	s_delay_alu instid0(VALU_DEP_1) | instskip(NEXT) | instid1(VALU_DEP_2)
	v_add_co_u32 v4, vcc_lo, s42, v4
	v_add_co_ci_u32_e32 v5, vcc_lo, s43, v5, vcc_lo
	global_load_b64 v[4:5], v[4:5], off
	s_waitcnt vmcnt(0)
	v_sub_co_u32 v39, vcc_lo, v4, s29
	v_subrev_co_ci_u32_e32 v40, vcc_lo, 0, v5, vcc_lo
	s_delay_alu instid0(VALU_DEP_1)
	v_cmp_lt_i64_e32 vcc_lo, v[39:40], v[23:24]
	v_cmp_lt_i64_e64 s19, v[39:40], v[21:22]
	s_xor_b32 s60, vcc_lo, -1
	s_delay_alu instid0(VALU_DEP_1) | instid1(SALU_CYCLE_1)
	s_or_b32 s61, s19, s60
	s_mov_b32 s19, 0
                                        ; implicit-def: $sgpr60
	s_and_saveexec_b32 s62, s61
	s_delay_alu instid0(SALU_CYCLE_1)
	s_xor_b32 s61, exec_lo, s62
; %bb.29:                               ;   in Loop: Header=BB172_28 Depth=3
	s_mov_b32 s60, -1
	s_and_b32 s19, vcc_lo, exec_lo
; %bb.30:                               ;   in Loop: Header=BB172_28 Depth=3
	s_and_not1_saveexec_b32 s61, s61
	s_cbranch_execz .LBB172_36
; %bb.31:                               ;   in Loop: Header=BB172_28 Depth=3
	v_lshlrev_b64 v[4:5], 4, v[41:42]
	v_sub_nc_u32_e32 v45, v39, v21
	s_mov_b32 s62, 0
	s_delay_alu instid0(VALU_DEP_1) | instskip(NEXT) | instid1(VALU_DEP_3)
	v_lshlrev_b32_e32 v61, 4, v45
	v_add_co_u32 v4, vcc_lo, s52, v4
	s_delay_alu instid0(VALU_DEP_4)
	v_add_co_ci_u32_e32 v5, vcc_lo, s53, v5, vcc_lo
	ds_store_b8 v45, v60 offset:32768
	ds_load_b64 v[45:46], v61
	global_load_b128 v[4:7], v[4:5], off
	s_waitcnt vmcnt(0)
	v_mul_f64 v[43:44], v[6:7], -v[37:38]
	s_delay_alu instid0(VALU_DEP_1)
	v_fma_f64 v[43:44], v[35:36], v[4:5], v[43:44]
.LBB172_32:                             ;   Parent Loop BB172_13 Depth=1
                                        ;     Parent Loop BB172_20 Depth=2
                                        ;       Parent Loop BB172_28 Depth=3
                                        ; =>      This Inner Loop Header: Depth=4
	s_waitcnt lgkmcnt(0)
	s_delay_alu instid0(VALU_DEP_1)
	v_add_f64 v[62:63], v[45:46], v[43:44]
	ds_cmpstore_rtn_b64 v[62:63], v61, v[62:63], v[45:46]
	s_waitcnt lgkmcnt(0)
	v_cmp_eq_u64_e32 vcc_lo, v[62:63], v[45:46]
	v_dual_mov_b32 v45, v62 :: v_dual_mov_b32 v46, v63
	s_or_b32 s62, vcc_lo, s62
	s_delay_alu instid0(SALU_CYCLE_1)
	s_and_not1_b32 exec_lo, exec_lo, s62
	s_cbranch_execnz .LBB172_32
; %bb.33:                               ;   in Loop: Header=BB172_28 Depth=3
	s_or_b32 exec_lo, exec_lo, s62
	v_mul_f64 v[6:7], v[35:36], v[6:7]
	s_mov_b32 s62, 0
	s_delay_alu instid0(VALU_DEP_1)
	v_fma_f64 v[4:5], v[37:38], v[4:5], v[6:7]
	ds_load_b64 v[6:7], v61 offset:8
.LBB172_34:                             ;   Parent Loop BB172_13 Depth=1
                                        ;     Parent Loop BB172_20 Depth=2
                                        ;       Parent Loop BB172_28 Depth=3
                                        ; =>      This Inner Loop Header: Depth=4
	s_waitcnt lgkmcnt(0)
	v_add_f64 v[43:44], v[6:7], v[4:5]
	ds_cmpstore_rtn_b64 v[43:44], v61, v[43:44], v[6:7] offset:8
	s_waitcnt lgkmcnt(0)
	v_cmp_eq_u64_e32 vcc_lo, v[43:44], v[6:7]
	v_dual_mov_b32 v6, v43 :: v_dual_mov_b32 v7, v44
	s_or_b32 s62, vcc_lo, s62
	s_delay_alu instid0(SALU_CYCLE_1)
	s_and_not1_b32 exec_lo, exec_lo, s62
	s_cbranch_execnz .LBB172_34
; %bb.35:                               ;   in Loop: Header=BB172_28 Depth=3
	s_or_b32 exec_lo, exec_lo, s62
	s_delay_alu instid0(SALU_CYCLE_1)
	s_or_b32 s19, s19, exec_lo
.LBB172_36:                             ;   in Loop: Header=BB172_28 Depth=3
	s_or_b32 exec_lo, exec_lo, s61
	v_dual_mov_b32 v4, v41 :: v_dual_mov_b32 v5, v42
	s_and_not1_b32 s59, s59, exec_lo
	s_and_b32 s60, s60, exec_lo
	s_mov_b32 s61, -1
	s_or_b32 s59, s59, s60
                                        ; implicit-def: $vgpr6_vgpr7
	s_and_saveexec_b32 s60, s19
	s_cbranch_execz .LBB172_27
; %bb.37:                               ;   in Loop: Header=BB172_28 Depth=3
	v_add_co_u32 v6, vcc_lo, v41, 16
	v_add_co_ci_u32_e32 v7, vcc_lo, 0, v42, vcc_lo
	v_dual_mov_b32 v4, v41 :: v_dual_mov_b32 v5, v42
	s_and_not1_b32 s59, s59, exec_lo
	s_delay_alu instid0(VALU_DEP_2)
	v_cmp_ge_i64_e32 vcc_lo, v[6:7], v[33:34]
	s_or_not1_b32 s61, vcc_lo, exec_lo
	s_branch .LBB172_27
.LBB172_38:                             ;   in Loop: Header=BB172_20 Depth=2
	s_or_b32 exec_lo, exec_lo, s58
	s_and_saveexec_b32 s19, s57
	s_delay_alu instid0(SALU_CYCLE_1)
	s_xor_b32 s19, exec_lo, s19
; %bb.39:                               ;   in Loop: Header=BB172_20 Depth=2
	v_cmp_lt_i64_e32 vcc_lo, v[39:40], v[25:26]
	v_dual_mov_b32 v32, v5 :: v_dual_mov_b32 v31, v4
	v_dual_cndmask_b32 v26, v26, v40 :: v_dual_cndmask_b32 v25, v25, v39
; %bb.40:                               ;   in Loop: Header=BB172_20 Depth=2
	s_or_b32 exec_lo, exec_lo, s19
.LBB172_41:                             ;   in Loop: Header=BB172_20 Depth=2
	s_delay_alu instid0(SALU_CYCLE_1)
	s_or_b32 exec_lo, exec_lo, s47
	ds_bpermute_b32 v4, v50, v31
	ds_bpermute_b32 v5, v50, v32
	s_waitcnt lgkmcnt(0)
	v_cmp_lt_i64_e32 vcc_lo, v[4:5], v[31:32]
	v_dual_cndmask_b32 v5, v32, v5 :: v_dual_cndmask_b32 v4, v31, v4
	ds_bpermute_b32 v7, v52, v5
	ds_bpermute_b32 v6, v52, v4
	s_waitcnt lgkmcnt(0)
	v_cmp_lt_i64_e32 vcc_lo, v[6:7], v[4:5]
	v_dual_cndmask_b32 v5, v5, v7 :: v_dual_cndmask_b32 v4, v4, v6
	;; [unrolled: 5-line block ×3, first 2 shown]
	ds_bpermute_b32 v7, v54, v5
	ds_bpermute_b32 v6, v54, v4
	s_and_saveexec_b32 s47, s1
	s_cbranch_execz .LBB172_19
; %bb.42:                               ;   in Loop: Header=BB172_20 Depth=2
	s_waitcnt lgkmcnt(0)
	v_cmp_lt_i64_e32 vcc_lo, v[6:7], v[4:5]
	v_add_co_u32 v29, s19, s50, v29
	s_delay_alu instid0(VALU_DEP_1)
	v_add_co_ci_u32_e64 v30, s19, s51, v30, s19
	v_dual_cndmask_b32 v5, v5, v7 :: v_dual_cndmask_b32 v4, v4, v6
	global_store_b64 v[29:30], v[4:5], off
	s_branch .LBB172_19
.LBB172_43:                             ;   in Loop: Header=BB172_13 Depth=1
	s_or_b32 exec_lo, exec_lo, s27
.LBB172_44:                             ;   in Loop: Header=BB172_13 Depth=1
	s_delay_alu instid0(SALU_CYCLE_1) | instskip(NEXT) | instid1(SALU_CYCLE_1)
	s_or_b32 exec_lo, exec_lo, s26
	s_and_not1_b32 vcc_lo, exec_lo, s33
	s_cbranch_vccnz .LBB172_62
; %bb.45:                               ;   in Loop: Header=BB172_13 Depth=1
	s_load_b128 s[60:63], s[20:21], 0x0
	s_mov_b32 s19, exec_lo
	s_waitcnt lgkmcnt(0)
	v_add_co_u32 v27, vcc_lo, s60, v48
	v_add_co_ci_u32_e32 v28, vcc_lo, s61, v49, vcc_lo
	s_sub_u32 s26, s62, s54
	s_subb_u32 s27, s63, 0
	s_delay_alu instid0(VALU_DEP_1) | instid1(SALU_CYCLE_1)
	v_cmpx_gt_i64_e64 s[26:27], v[27:28]
	s_cbranch_execz .LBB172_61
; %bb.46:                               ;   in Loop: Header=BB172_13 Depth=1
	s_mov_b32 s47, 0
                                        ; implicit-def: $sgpr57
                                        ; implicit-def: $sgpr58
	s_branch .LBB172_48
.LBB172_47:                             ;   in Loop: Header=BB172_48 Depth=2
	s_or_b32 exec_lo, exec_lo, s60
	s_delay_alu instid0(SALU_CYCLE_1) | instskip(NEXT) | instid1(SALU_CYCLE_1)
	s_and_b32 s18, exec_lo, s59
	s_or_b32 s47, s18, s47
	s_and_not1_b32 s18, s57, exec_lo
	s_and_b32 s57, s58, exec_lo
	s_delay_alu instid0(SALU_CYCLE_1)
	s_or_b32 s57, s18, s57
	s_and_not1_b32 exec_lo, exec_lo, s47
	s_cbranch_execz .LBB172_58
.LBB172_48:                             ;   Parent Loop BB172_13 Depth=1
                                        ; =>  This Loop Header: Depth=2
                                        ;       Child Loop BB172_52 Depth 3
                                        ;       Child Loop BB172_54 Depth 3
	v_lshlrev_b64 v[4:5], 3, v[27:28]
	s_delay_alu instid0(VALU_DEP_1) | instskip(NEXT) | instid1(VALU_DEP_2)
	v_add_co_u32 v4, vcc_lo, s22, v4
	v_add_co_ci_u32_e32 v5, vcc_lo, s23, v5, vcc_lo
	global_load_b64 v[4:5], v[4:5], off
	s_waitcnt vmcnt(0)
	v_sub_co_u32 v29, vcc_lo, v4, s54
	v_subrev_co_ci_u32_e32 v30, vcc_lo, 0, v5, vcc_lo
	s_delay_alu instid0(VALU_DEP_1)
	v_cmp_lt_i64_e32 vcc_lo, v[29:30], v[23:24]
	v_cmp_lt_i64_e64 s18, v[29:30], v[21:22]
	s_xor_b32 s59, vcc_lo, -1
	s_delay_alu instid0(VALU_DEP_1) | instid1(SALU_CYCLE_1)
	s_or_b32 s60, s18, s59
	s_mov_b32 s18, 0
                                        ; implicit-def: $sgpr59
	s_and_saveexec_b32 s61, s60
	s_delay_alu instid0(SALU_CYCLE_1)
	s_xor_b32 s60, exec_lo, s61
; %bb.49:                               ;   in Loop: Header=BB172_48 Depth=2
	s_mov_b32 s59, -1
	s_and_b32 s18, vcc_lo, exec_lo
; %bb.50:                               ;   in Loop: Header=BB172_48 Depth=2
	s_and_not1_saveexec_b32 s60, s60
	s_cbranch_execz .LBB172_56
; %bb.51:                               ;   in Loop: Header=BB172_48 Depth=2
	v_lshlrev_b64 v[4:5], 4, v[27:28]
	v_sub_nc_u32_e32 v33, v29, v21
	s_mov_b32 s61, 0
	s_delay_alu instid0(VALU_DEP_1) | instskip(NEXT) | instid1(VALU_DEP_3)
	v_lshlrev_b32_e32 v35, 4, v33
	v_add_co_u32 v4, vcc_lo, s24, v4
	s_delay_alu instid0(VALU_DEP_4)
	v_add_co_ci_u32_e32 v5, vcc_lo, s25, v5, vcc_lo
	ds_store_b8 v33, v60 offset:32768
	ds_load_b64 v[33:34], v35
	global_load_b128 v[4:7], v[4:5], off
	s_waitcnt vmcnt(0)
	v_mul_f64 v[31:32], v[6:7], -v[8:9]
	s_delay_alu instid0(VALU_DEP_1)
	v_fma_f64 v[31:32], v[14:15], v[4:5], v[31:32]
.LBB172_52:                             ;   Parent Loop BB172_13 Depth=1
                                        ;     Parent Loop BB172_48 Depth=2
                                        ; =>    This Inner Loop Header: Depth=3
	s_waitcnt lgkmcnt(0)
	s_delay_alu instid0(VALU_DEP_1)
	v_add_f64 v[36:37], v[33:34], v[31:32]
	ds_cmpstore_rtn_b64 v[36:37], v35, v[36:37], v[33:34]
	s_waitcnt lgkmcnt(0)
	v_cmp_eq_u64_e32 vcc_lo, v[36:37], v[33:34]
	v_dual_mov_b32 v33, v36 :: v_dual_mov_b32 v34, v37
	s_or_b32 s61, vcc_lo, s61
	s_delay_alu instid0(SALU_CYCLE_1)
	s_and_not1_b32 exec_lo, exec_lo, s61
	s_cbranch_execnz .LBB172_52
; %bb.53:                               ;   in Loop: Header=BB172_48 Depth=2
	s_or_b32 exec_lo, exec_lo, s61
	v_mul_f64 v[6:7], v[14:15], v[6:7]
	s_mov_b32 s61, 0
	s_delay_alu instid0(VALU_DEP_1)
	v_fma_f64 v[4:5], v[8:9], v[4:5], v[6:7]
	ds_load_b64 v[6:7], v35 offset:8
.LBB172_54:                             ;   Parent Loop BB172_13 Depth=1
                                        ;     Parent Loop BB172_48 Depth=2
                                        ; =>    This Inner Loop Header: Depth=3
	s_waitcnt lgkmcnt(0)
	v_add_f64 v[31:32], v[6:7], v[4:5]
	ds_cmpstore_rtn_b64 v[31:32], v35, v[31:32], v[6:7] offset:8
	s_waitcnt lgkmcnt(0)
	v_cmp_eq_u64_e32 vcc_lo, v[31:32], v[6:7]
	v_dual_mov_b32 v6, v31 :: v_dual_mov_b32 v7, v32
	s_or_b32 s61, vcc_lo, s61
	s_delay_alu instid0(SALU_CYCLE_1)
	s_and_not1_b32 exec_lo, exec_lo, s61
	s_cbranch_execnz .LBB172_54
; %bb.55:                               ;   in Loop: Header=BB172_48 Depth=2
	s_or_b32 exec_lo, exec_lo, s61
	s_delay_alu instid0(SALU_CYCLE_1)
	s_or_b32 s18, s18, exec_lo
.LBB172_56:                             ;   in Loop: Header=BB172_48 Depth=2
	s_or_b32 exec_lo, exec_lo, s60
	s_delay_alu instid0(SALU_CYCLE_1)
	s_and_not1_b32 s58, s58, exec_lo
	s_and_b32 s60, s59, exec_lo
	s_mov_b32 s59, -1
	s_or_b32 s58, s58, s60
	s_and_saveexec_b32 s60, s18
	s_cbranch_execz .LBB172_47
; %bb.57:                               ;   in Loop: Header=BB172_48 Depth=2
	v_add_co_u32 v27, vcc_lo, 0x200, v27
	v_add_co_ci_u32_e32 v28, vcc_lo, 0, v28, vcc_lo
	s_and_not1_b32 s58, s58, exec_lo
	s_delay_alu instid0(VALU_DEP_1)
	v_cmp_le_i64_e32 vcc_lo, s[26:27], v[27:28]
	s_or_not1_b32 s59, vcc_lo, exec_lo
	s_branch .LBB172_47
.LBB172_58:                             ;   in Loop: Header=BB172_13 Depth=1
	s_or_b32 exec_lo, exec_lo, s47
	s_and_saveexec_b32 s18, s57
	s_delay_alu instid0(SALU_CYCLE_1)
	s_xor_b32 s18, exec_lo, s18
; %bb.59:                               ;   in Loop: Header=BB172_13 Depth=1
	v_cmp_lt_i64_e32 vcc_lo, v[29:30], v[25:26]
	v_dual_cndmask_b32 v26, v26, v30 :: v_dual_cndmask_b32 v25, v25, v29
; %bb.60:                               ;   in Loop: Header=BB172_13 Depth=1
	s_or_b32 exec_lo, exec_lo, s18
.LBB172_61:                             ;   in Loop: Header=BB172_13 Depth=1
	s_delay_alu instid0(SALU_CYCLE_1)
	s_or_b32 exec_lo, exec_lo, s19
.LBB172_62:                             ;   in Loop: Header=BB172_13 Depth=1
	ds_bpermute_b32 v4, v50, v25
	ds_bpermute_b32 v5, v50, v26
	s_waitcnt lgkmcnt(0)
	v_cmp_lt_i64_e32 vcc_lo, v[4:5], v[25:26]
	v_dual_cndmask_b32 v5, v26, v5 :: v_dual_cndmask_b32 v4, v25, v4
	ds_bpermute_b32 v7, v52, v5
	ds_bpermute_b32 v6, v52, v4
	s_waitcnt lgkmcnt(0)
	v_cmp_lt_i64_e32 vcc_lo, v[6:7], v[4:5]
	v_dual_cndmask_b32 v5, v5, v7 :: v_dual_cndmask_b32 v4, v4, v6
	;; [unrolled: 5-line block ×3, first 2 shown]
	ds_bpermute_b32 v7, v54, v5
	ds_bpermute_b32 v6, v54, v4
	s_and_saveexec_b32 s26, s1
	s_cbranch_execz .LBB172_67
; %bb.63:                               ;   in Loop: Header=BB172_13 Depth=1
	s_waitcnt lgkmcnt(0)
	v_cmp_lt_i64_e32 vcc_lo, v[6:7], v[4:5]
	s_mov_b32 s27, exec_lo
	s_mov_b64 s[18:19], -1
	v_dual_cndmask_b32 v5, v5, v7 :: v_dual_cndmask_b32 v4, v4, v6
.LBB172_64:                             ;   Parent Loop BB172_13 Depth=1
                                        ; =>  This Inner Loop Header: Depth=2
	s_ctz_i32_b32 s47, s27
	s_delay_alu instid0(VALU_DEP_1) | instid1(SALU_CYCLE_1)
	v_readlane_b32 s59, v5, s47
	s_delay_alu instid0(VALU_DEP_2) | instskip(NEXT) | instid1(VALU_DEP_1)
	v_readlane_b32 s58, v4, s47
	v_cmp_lt_u64_e64 s57, s[18:19], s[58:59]
	s_delay_alu instid0(VALU_DEP_1) | instskip(SKIP_3) | instid1(SALU_CYCLE_1)
	s_and_b32 s57, s57, exec_lo
	s_cselect_b32 s19, s19, s59
	s_cselect_b32 s18, s18, s58
	s_lshl_b32 s47, 1, s47
	s_and_not1_b32 s27, s27, s47
	s_delay_alu instid0(SALU_CYCLE_1)
	s_cmp_lg_u32 s27, 0
	s_cbranch_scc1 .LBB172_64
; %bb.65:                               ;   in Loop: Header=BB172_13 Depth=1
	v_mbcnt_lo_u32_b32 v4, exec_lo, 0
	s_mov_b32 s27, exec_lo
	s_delay_alu instid0(VALU_DEP_1)
	v_cmpx_eq_u32_e32 0, v4
	s_xor_b32 s27, exec_lo, s27
	s_cbranch_execz .LBB172_67
; %bb.66:                               ;   in Loop: Header=BB172_13 Depth=1
	v_dual_mov_b32 v4, s18 :: v_dual_mov_b32 v5, s19
	ds_min_u64 v0, v[4:5] offset:34816
.LBB172_67:                             ;   in Loop: Header=BB172_13 Depth=1
	s_or_b32 exec_lo, exec_lo, s26
	v_add_co_u32 v4, vcc_lo, v58, v21
	v_add_co_ci_u32_e32 v5, vcc_lo, v59, v22, vcc_lo
	s_waitcnt lgkmcnt(0)
	v_dual_mov_b32 v6, v57 :: v_dual_mov_b32 v7, v56
	s_mov_b32 s19, 0
	s_waitcnt_vscnt null, 0x0
	s_barrier
	buffer_gl0_inv
	s_branch .LBB172_69
.LBB172_68:                             ;   in Loop: Header=BB172_69 Depth=2
	s_or_b32 exec_lo, exec_lo, s18
	s_waitcnt lgkmcnt(0)
	s_waitcnt_vscnt null, 0x0
	s_barrier
	buffer_gl0_inv
	ds_load_b32 v21, v0 offset:60
	v_add_nc_u32_e32 v7, 0x200, v7
	v_add_co_u32 v4, vcc_lo, 0x200, v4
	v_add_co_ci_u32_e32 v5, vcc_lo, 0, v5, vcc_lo
	s_delay_alu instid0(VALU_DEP_3)
	v_cmp_lt_u32_e32 vcc_lo, 0x5ff, v7
	v_add_nc_u32_e32 v6, 0x2000, v6
	s_or_b32 s19, vcc_lo, s19
	s_waitcnt lgkmcnt(0)
	v_ashrrev_i32_e32 v22, 31, v21
	v_add_co_u32 v19, s18, v19, v21
	s_delay_alu instid0(VALU_DEP_1)
	v_add_co_ci_u32_e64 v20, s18, v20, v22, s18
	s_and_not1_b32 exec_lo, exec_lo, s19
	s_cbranch_execz .LBB172_12
.LBB172_69:                             ;   Parent Loop BB172_13 Depth=1
                                        ; =>  This Inner Loop Header: Depth=2
	ds_load_u8 v33, v7 offset:33280
	ds_load_2addr_b64 v[21:24], v6 offset1:1
	s_waitcnt lgkmcnt(1)
	v_cmp_ne_u16_e32 vcc_lo, 0, v33
	s_waitcnt lgkmcnt(0)
	ds_store_2addr_b64 v51, v[21:22], v[23:24] offset1:1
	s_waitcnt lgkmcnt(0)
	s_barrier
	buffer_gl0_inv
	s_bcnt1_i32_b32 s18, vcc_lo
	s_delay_alu instid0(SALU_CYCLE_1)
	v_dual_mov_b32 v25, s18 :: v_dual_and_b32 v34, vcc_lo, v18
	s_mov_b32 s18, exec_lo
	ds_store_b32 v55, v25
	s_waitcnt lgkmcnt(0)
	s_barrier
	buffer_gl0_inv
	ds_load_b128 v[21:24], v0
	ds_load_b128 v[25:28], v0 offset:16
	ds_load_b128 v[29:32], v0 offset:32
	s_waitcnt lgkmcnt(2)
	v_cndmask_b32_e64 v21, v21, 0, s3
	v_cndmask_b32_e64 v35, v22, 0, s4
	;; [unrolled: 1-line block ×4, first 2 shown]
	s_waitcnt lgkmcnt(1)
	v_cndmask_b32_e64 v25, v25, 0, s7
	v_bcnt_u32_b32 v34, v34, v21
	ds_load_b96 v[21:23], v0 offset:48
	v_cndmask_b32_e64 v26, v26, 0, s8
	v_cndmask_b32_e64 v27, v27, 0, s9
	v_add3_u32 v34, v34, v35, v36
	s_delay_alu instid0(VALU_DEP_1) | instskip(SKIP_3) | instid1(VALU_DEP_3)
	v_add3_u32 v24, v34, v24, v25
	v_cndmask_b32_e64 v25, v28, 0, s10
	s_waitcnt lgkmcnt(1)
	v_cndmask_b32_e64 v28, v29, 0, s11
	v_add3_u32 v24, v24, v26, v27
	v_cndmask_b32_e64 v26, v30, 0, s12
	v_cndmask_b32_e64 v27, v31, 0, s13
	s_delay_alu instid0(VALU_DEP_3)
	v_add3_u32 v24, v24, v25, v28
	v_cndmask_b32_e64 v25, v32, 0, s14
	s_waitcnt lgkmcnt(0)
	v_cndmask_b32_e64 v21, v21, 0, s15
	v_cndmask_b32_e64 v22, v22, 0, s16
	;; [unrolled: 1-line block ×3, first 2 shown]
	v_add3_u32 v24, v24, v26, v27
	s_delay_alu instid0(VALU_DEP_1) | instskip(SKIP_1) | instid1(VALU_DEP_2)
	v_add3_u32 v21, v24, v25, v21
	v_and_b32_e32 v24, 1, v33
	v_add3_u32 v21, v21, v22, v23
	s_delay_alu instid0(VALU_DEP_2)
	v_cmpx_eq_u32_e32 1, v24
	s_cbranch_execz .LBB172_71
; %bb.70:                               ;   in Loop: Header=BB172_69 Depth=2
	s_delay_alu instid0(VALU_DEP_2) | instskip(SKIP_1) | instid1(VALU_DEP_2)
	v_ashrrev_i32_e32 v22, 31, v21
	v_add_co_u32 v26, vcc_lo, v19, v21
	v_add_co_ci_u32_e32 v27, vcc_lo, v20, v22, vcc_lo
	ds_load_2addr_b64 v[22:25], v51 offset1:1
	v_lshlrev_b64 v[28:29], 3, v[26:27]
	v_lshlrev_b64 v[26:27], 4, v[26:27]
	s_delay_alu instid0(VALU_DEP_2) | instskip(NEXT) | instid1(VALU_DEP_3)
	v_add_co_u32 v28, vcc_lo, s44, v28
	v_add_co_ci_u32_e32 v29, vcc_lo, s30, v29, vcc_lo
	s_delay_alu instid0(VALU_DEP_3) | instskip(NEXT) | instid1(VALU_DEP_4)
	v_add_co_u32 v26, vcc_lo, s45, v26
	v_add_co_ci_u32_e32 v27, vcc_lo, s46, v27, vcc_lo
	global_store_b64 v[28:29], v[4:5], off
	s_waitcnt lgkmcnt(0)
	global_store_b128 v[26:27], v[22:25], off
.LBB172_71:                             ;   in Loop: Header=BB172_69 Depth=2
	s_or_b32 exec_lo, exec_lo, s18
	s_and_saveexec_b32 s18, s2
	s_cbranch_execz .LBB172_68
; %bb.72:                               ;   in Loop: Header=BB172_69 Depth=2
	ds_store_b32 v0, v21 offset:60
	s_branch .LBB172_68
.LBB172_73:
	s_endpgm
	.section	.rodata,"a",@progbits
	.p2align	6, 0x0
	.amdhsa_kernel _ZN9rocsparseL36csrgemm_fill_block_per_row_multipassILj512ELj16ELj2048ELj32Ell21rocsparse_complex_numIdEEEvT4_PKS3_S5_NS_24const_host_device_scalarIT5_EEPKT3_S5_PKS7_SB_S5_SD_S8_SB_S5_SD_SB_PS3_PS7_PS9_21rocsparse_index_base_SH_SH_SH_bbb
		.amdhsa_group_segment_fixed_size 43016
		.amdhsa_private_segment_fixed_size 24
		.amdhsa_kernarg_size 180
		.amdhsa_user_sgpr_count 15
		.amdhsa_user_sgpr_dispatch_ptr 1
		.amdhsa_user_sgpr_queue_ptr 0
		.amdhsa_user_sgpr_kernarg_segment_ptr 1
		.amdhsa_user_sgpr_dispatch_id 0
		.amdhsa_user_sgpr_private_segment_size 0
		.amdhsa_wavefront_size32 1
		.amdhsa_uses_dynamic_stack 0
		.amdhsa_enable_private_segment 1
		.amdhsa_system_sgpr_workgroup_id_x 1
		.amdhsa_system_sgpr_workgroup_id_y 0
		.amdhsa_system_sgpr_workgroup_id_z 0
		.amdhsa_system_sgpr_workgroup_info 0
		.amdhsa_system_vgpr_workitem_id 2
		.amdhsa_next_free_vgpr 64
		.amdhsa_next_free_sgpr 64
		.amdhsa_reserve_vcc 1
		.amdhsa_float_round_mode_32 0
		.amdhsa_float_round_mode_16_64 0
		.amdhsa_float_denorm_mode_32 3
		.amdhsa_float_denorm_mode_16_64 3
		.amdhsa_dx10_clamp 1
		.amdhsa_ieee_mode 1
		.amdhsa_fp16_overflow 0
		.amdhsa_workgroup_processor_mode 1
		.amdhsa_memory_ordered 1
		.amdhsa_forward_progress 0
		.amdhsa_shared_vgpr_count 0
		.amdhsa_exception_fp_ieee_invalid_op 0
		.amdhsa_exception_fp_denorm_src 0
		.amdhsa_exception_fp_ieee_div_zero 0
		.amdhsa_exception_fp_ieee_overflow 0
		.amdhsa_exception_fp_ieee_underflow 0
		.amdhsa_exception_fp_ieee_inexact 0
		.amdhsa_exception_int_div_zero 0
	.end_amdhsa_kernel
	.section	.text._ZN9rocsparseL36csrgemm_fill_block_per_row_multipassILj512ELj16ELj2048ELj32Ell21rocsparse_complex_numIdEEEvT4_PKS3_S5_NS_24const_host_device_scalarIT5_EEPKT3_S5_PKS7_SB_S5_SD_S8_SB_S5_SD_SB_PS3_PS7_PS9_21rocsparse_index_base_SH_SH_SH_bbb,"axG",@progbits,_ZN9rocsparseL36csrgemm_fill_block_per_row_multipassILj512ELj16ELj2048ELj32Ell21rocsparse_complex_numIdEEEvT4_PKS3_S5_NS_24const_host_device_scalarIT5_EEPKT3_S5_PKS7_SB_S5_SD_S8_SB_S5_SD_SB_PS3_PS7_PS9_21rocsparse_index_base_SH_SH_SH_bbb,comdat
.Lfunc_end172:
	.size	_ZN9rocsparseL36csrgemm_fill_block_per_row_multipassILj512ELj16ELj2048ELj32Ell21rocsparse_complex_numIdEEEvT4_PKS3_S5_NS_24const_host_device_scalarIT5_EEPKT3_S5_PKS7_SB_S5_SD_S8_SB_S5_SD_SB_PS3_PS7_PS9_21rocsparse_index_base_SH_SH_SH_bbb, .Lfunc_end172-_ZN9rocsparseL36csrgemm_fill_block_per_row_multipassILj512ELj16ELj2048ELj32Ell21rocsparse_complex_numIdEEEvT4_PKS3_S5_NS_24const_host_device_scalarIT5_EEPKT3_S5_PKS7_SB_S5_SD_S8_SB_S5_SD_SB_PS3_PS7_PS9_21rocsparse_index_base_SH_SH_SH_bbb
                                        ; -- End function
	.section	.AMDGPU.csdata,"",@progbits
; Kernel info:
; codeLenInByte = 3944
; NumSgprs: 66
; NumVgprs: 64
; ScratchSize: 24
; MemoryBound: 0
; FloatMode: 240
; IeeeMode: 1
; LDSByteSize: 43016 bytes/workgroup (compile time only)
; SGPRBlocks: 8
; VGPRBlocks: 7
; NumSGPRsForWavesPerEU: 66
; NumVGPRsForWavesPerEU: 64
; Occupancy: 12
; WaveLimiterHint : 1
; COMPUTE_PGM_RSRC2:SCRATCH_EN: 1
; COMPUTE_PGM_RSRC2:USER_SGPR: 15
; COMPUTE_PGM_RSRC2:TRAP_HANDLER: 0
; COMPUTE_PGM_RSRC2:TGID_X_EN: 1
; COMPUTE_PGM_RSRC2:TGID_Y_EN: 0
; COMPUTE_PGM_RSRC2:TGID_Z_EN: 0
; COMPUTE_PGM_RSRC2:TIDIG_COMP_CNT: 2
	.section	.text._ZN9rocsparseL36csrgemm_fill_block_per_row_multipassILj512ELj16ELj2048ELj64Ell21rocsparse_complex_numIdEEEvT4_PKS3_S5_NS_24const_host_device_scalarIT5_EEPKT3_S5_PKS7_SB_S5_SD_S8_SB_S5_SD_SB_PS3_PS7_PS9_21rocsparse_index_base_SH_SH_SH_bbb,"axG",@progbits,_ZN9rocsparseL36csrgemm_fill_block_per_row_multipassILj512ELj16ELj2048ELj64Ell21rocsparse_complex_numIdEEEvT4_PKS3_S5_NS_24const_host_device_scalarIT5_EEPKT3_S5_PKS7_SB_S5_SD_S8_SB_S5_SD_SB_PS3_PS7_PS9_21rocsparse_index_base_SH_SH_SH_bbb,comdat
	.globl	_ZN9rocsparseL36csrgemm_fill_block_per_row_multipassILj512ELj16ELj2048ELj64Ell21rocsparse_complex_numIdEEEvT4_PKS3_S5_NS_24const_host_device_scalarIT5_EEPKT3_S5_PKS7_SB_S5_SD_S8_SB_S5_SD_SB_PS3_PS7_PS9_21rocsparse_index_base_SH_SH_SH_bbb ; -- Begin function _ZN9rocsparseL36csrgemm_fill_block_per_row_multipassILj512ELj16ELj2048ELj64Ell21rocsparse_complex_numIdEEEvT4_PKS3_S5_NS_24const_host_device_scalarIT5_EEPKT3_S5_PKS7_SB_S5_SD_S8_SB_S5_SD_SB_PS3_PS7_PS9_21rocsparse_index_base_SH_SH_SH_bbb
	.p2align	8
	.type	_ZN9rocsparseL36csrgemm_fill_block_per_row_multipassILj512ELj16ELj2048ELj64Ell21rocsparse_complex_numIdEEEvT4_PKS3_S5_NS_24const_host_device_scalarIT5_EEPKT3_S5_PKS7_SB_S5_SD_S8_SB_S5_SD_SB_PS3_PS7_PS9_21rocsparse_index_base_SH_SH_SH_bbb,@function
_ZN9rocsparseL36csrgemm_fill_block_per_row_multipassILj512ELj16ELj2048ELj64Ell21rocsparse_complex_numIdEEEvT4_PKS3_S5_NS_24const_host_device_scalarIT5_EEPKT3_S5_PKS7_SB_S5_SD_S8_SB_S5_SD_SB_PS3_PS7_PS9_21rocsparse_index_base_SH_SH_SH_bbb: ; @_ZN9rocsparseL36csrgemm_fill_block_per_row_multipassILj512ELj16ELj2048ELj64Ell21rocsparse_complex_numIdEEEvT4_PKS3_S5_NS_24const_host_device_scalarIT5_EEPKT3_S5_PKS7_SB_S5_SD_S8_SB_S5_SD_SB_PS3_PS7_PS9_21rocsparse_index_base_SH_SH_SH_bbb
; %bb.0:
	s_mov_b32 s20, s15
	s_clause 0x3
	s_load_b32 s5, s[2:3], 0xb0
	s_load_b256 s[8:15], s[2:3], 0x8
	s_load_b128 s[16:19], s[2:3], 0x58
	s_load_b128 s[28:31], s[2:3], 0xa0
	v_mov_b32_e32 v8, 0
	v_mov_b32_e32 v9, 0
	s_waitcnt lgkmcnt(0)
	s_bitcmp1_b32 s5, 0
	v_dual_mov_b32 v1, s12 :: v_dual_mov_b32 v2, s13
	s_cselect_b32 s47, -1, 0
	s_bitcmp1_b32 s5, 16
	v_dual_mov_b32 v11, v9 :: v_dual_mov_b32 v10, v8
	s_cselect_b32 s4, -1, 0
	v_dual_mov_b32 v13, v9 :: v_dual_mov_b32 v12, v8
	v_dual_mov_b32 v3, s16 :: v_dual_mov_b32 v4, s17
	s_xor_b32 s21, s4, -1
	s_bitcmp0_b32 s5, 0
	s_clause 0x1
	scratch_store_b64 off, v[1:2], off
	scratch_store_b64 off, v[3:4], off offset:8
	s_cbranch_scc1 .LBB173_3
; %bb.1:
	s_mov_b64 s[6:7], src_private_base
	s_and_b32 s6, s4, exec_lo
	s_cselect_b32 s6, s7, s13
	s_delay_alu instid0(SALU_CYCLE_1) | instskip(SKIP_2) | instid1(VALU_DEP_2)
	v_dual_mov_b32 v1, 0 :: v_dual_mov_b32 v2, s6
	v_dual_mov_b32 v12, s14 :: v_dual_mov_b32 v13, s15
	s_and_not1_b32 vcc_lo, exec_lo, s21
	v_cndmask_b32_e64 v1, s12, v1, s4
	flat_load_b64 v[10:11], v[1:2]
	s_cbranch_vccnz .LBB173_3
; %bb.2:
	v_dual_mov_b32 v1, s12 :: v_dual_mov_b32 v2, s13
	flat_load_b64 v[12:13], v[1:2] offset:8
.LBB173_3:
	s_load_b64 s[12:13], s[2:3], 0x28
	s_bitcmp1_b32 s5, 8
	v_dual_mov_b32 v15, v9 :: v_dual_mov_b32 v14, v8
	s_cselect_b32 s33, -1, 0
	s_bfe_u32 s5, s5, 0x10008
	s_mov_b64 s[6:7], 0
	s_cmp_eq_u32 s5, 0
	s_cbranch_scc1 .LBB173_6
; %bb.4:
	s_mov_b64 s[14:15], src_private_base
	s_and_b32 s5, s4, exec_lo
	s_cselect_b32 s5, s15, s17
	s_delay_alu instid0(SALU_CYCLE_1) | instskip(SKIP_2) | instid1(VALU_DEP_2)
	v_dual_mov_b32 v1, 8 :: v_dual_mov_b32 v2, s5
	v_dual_mov_b32 v8, s18 :: v_dual_mov_b32 v9, s19
	s_and_not1_b32 vcc_lo, exec_lo, s21
	v_cndmask_b32_e64 v1, s16, v1, s4
	flat_load_b64 v[14:15], v[1:2]
	s_cbranch_vccnz .LBB173_6
; %bb.5:
	v_dual_mov_b32 v1, s16 :: v_dual_mov_b32 v2, s17
	flat_load_b64 v[8:9], v[1:2] offset:8
.LBB173_6:
	s_load_b64 s[4:5], s[8:9], 0x0
	s_mov_b32 s21, 0
	s_waitcnt lgkmcnt(0)
	s_lshl_b64 s[4:5], s[4:5], 3
	s_delay_alu instid0(SALU_CYCLE_1) | instskip(SKIP_2) | instid1(SALU_CYCLE_1)
	s_add_u32 s8, s10, s4
	s_addc_u32 s9, s11, s5
	s_lshl_b64 s[4:5], s[20:21], 3
	s_add_u32 s4, s8, s4
	s_addc_u32 s5, s9, s5
	s_and_not1_b32 vcc_lo, exec_lo, s47
	s_load_b64 s[4:5], s[4:5], 0x0
	s_cbranch_vccz .LBB173_9
; %bb.7:
	s_and_not1_b32 vcc_lo, exec_lo, s47
	s_mov_b64 s[34:35], 0
	s_cbranch_vccz .LBB173_10
.LBB173_8:
	s_load_b64 s[40:41], s[2:3], 0x0
	s_waitcnt lgkmcnt(0)
	v_cmp_lt_i64_e64 s8, s[40:41], 1
	s_delay_alu instid0(VALU_DEP_1)
	s_and_b32 vcc_lo, exec_lo, s8
	s_cbranch_vccz .LBB173_11
	s_branch .LBB173_73
.LBB173_9:
	s_waitcnt lgkmcnt(0)
	s_lshl_b64 s[6:7], s[4:5], 3
	s_delay_alu instid0(SALU_CYCLE_1)
	s_add_u32 s6, s12, s6
	s_addc_u32 s7, s13, s7
	s_load_b64 s[6:7], s[6:7], 0x0
	s_waitcnt lgkmcnt(0)
	s_sub_u32 s6, s6, s28
	s_subb_u32 s7, s7, 0
	s_and_not1_b32 vcc_lo, exec_lo, s47
	s_mov_b64 s[34:35], 0
	s_cbranch_vccnz .LBB173_8
.LBB173_10:
	s_waitcnt lgkmcnt(0)
	s_lshl_b64 s[8:9], s[4:5], 3
	s_delay_alu instid0(SALU_CYCLE_1)
	s_add_u32 s8, s12, s8
	s_addc_u32 s9, s13, s9
	s_load_b64 s[8:9], s[8:9], 0x8
	s_waitcnt lgkmcnt(0)
	s_sub_u32 s34, s8, s28
	s_subb_u32 s35, s9, 0
	s_load_b64 s[40:41], s[2:3], 0x0
	s_waitcnt lgkmcnt(0)
	v_cmp_lt_i64_e64 s8, s[40:41], 1
	s_delay_alu instid0(VALU_DEP_1)
	s_and_b32 vcc_lo, exec_lo, s8
	s_cbranch_vccnz .LBB173_73
.LBB173_11:
	s_load_b64 s[8:9], s[0:1], 0x4
	s_clause 0x4
	s_load_b256 s[12:19], s[2:3], 0x68
	s_load_b64 s[42:43], s[2:3], 0x98
	s_load_b128 s[36:39], s[2:3], 0x88
	s_load_b64 s[44:45], s[2:3], 0x50
	s_load_b256 s[20:27], s[2:3], 0x30
	s_lshl_b64 s[2:3], s[4:5], 3
	v_and_b32_e32 v1, 0x3ff, v0
	v_mbcnt_lo_u32_b32 v4, -1, 0
	v_bfe_u32 v2, v0, 10, 10
	v_bfe_u32 v3, v0, 20, 10
	v_mov_b32_e32 v0, 0
	v_lshrrev_b32_e32 v5, 4, v1
	v_xor_b32_e32 v6, 8, v4
	v_xor_b32_e32 v18, 2, v4
	;; [unrolled: 1-line block ×4, first 2 shown]
	s_mov_b32 s46, s31
	v_cmp_gt_i32_e32 vcc_lo, 32, v6
	v_dual_mov_b32 v23, 0x800 :: v_dual_mov_b32 v60, 1
	s_waitcnt lgkmcnt(0)
	s_lshr_b32 s1, s8, 16
	s_add_u32 s4, s18, s2
	s_addc_u32 s5, s19, s3
	s_mul_i32 s1, s1, s9
	s_load_b64 s[4:5], s[4:5], 0x0
	v_mul_lo_u32 v19, s1, v1
	v_mul_u32_u24_e32 v2, s9, v2
	v_add_co_u32 v16, s1, s6, v5
	s_delay_alu instid0(VALU_DEP_1) | instskip(SKIP_1) | instid1(VALU_DEP_4)
	v_add_co_ci_u32_e64 v17, null, s7, 0, s1
	v_sub_co_u32 v48, s8, v1, s31
	v_add3_u32 v2, v19, v2, v3
	v_cndmask_b32_e32 v3, v4, v6, vcc_lo
	v_cmp_gt_i32_e32 vcc_lo, 32, v7
	v_and_b32_e32 v47, 15, v1
	v_add_co_u32 v58, s18, v1, s30
	v_lshl_add_u32 v50, v2, 4, 0x8808
	v_cndmask_b32_e32 v6, v4, v7, vcc_lo
	v_cmp_gt_i64_e32 vcc_lo, s[34:35], v[16:17]
	v_mov_b32_e32 v21, 0
	v_cmp_eq_u32_e64 s0, 0, v1
	s_waitcnt lgkmcnt(0)
	s_sub_u32 s10, s4, s30
	s_subb_u32 s11, s5, 0
	s_add_u32 s12, s12, s2
	v_cmp_gt_i32_e64 s2, 32, v18
	s_addc_u32 s13, s13, s3
	s_and_b32 s31, s47, vcc_lo
	s_add_u32 s47, s24, 8
	v_lshlrev_b32_e32 v52, 2, v6
	v_cndmask_b32_e64 v2, v4, v18, s2
	v_cmp_gt_i32_e64 s2, 32, v20
	v_and_b32_e32 v55, 28, v5
	s_addc_u32 s48, s25, 0
	v_sub_co_ci_u32_e64 v49, null, 0, 0, s8
	s_delay_alu instid0(VALU_DEP_3) | instskip(SKIP_3) | instid1(VALU_DEP_4)
	v_cndmask_b32_e64 v7, v4, v20, s2
	v_xor_b32_e32 v4, 63, v4
	v_cmp_eq_u32_e64 s1, 15, v47
	v_dual_mov_b32 v24, 0 :: v_dual_lshlrev_b32 v53, 2, v2
	v_lshlrev_b32_e32 v54, 2, v7
	s_delay_alu instid0(VALU_DEP_4)
	v_lshrrev_b64 v[18:19], v4, -1
	v_dual_mov_b32 v20, s11 :: v_dual_lshlrev_b32 v51, 2, v3
	v_mov_b32_e32 v22, 0
	v_cmp_eq_u32_e64 s2, 0x1ff, v1
	v_cmp_gt_u32_e64 s3, 64, v1
	v_cmp_gt_u32_e64 s4, 0x80, v1
	;; [unrolled: 1-line block ×7, first 2 shown]
	s_add_u32 s36, s36, -8
	v_or_b32_e32 v56, 0xfffffe00, v1
	v_dual_mov_b32 v2, v0 :: v_dual_lshlrev_b32 v57, 4, v1
	v_add_co_ci_u32_e64 v59, null, 0, 0, s18
	v_mov_b32_e32 v19, s10
	v_mov_b32_e32 v1, v0
	;; [unrolled: 1-line block ×3, first 2 shown]
	s_addc_u32 s30, s37, -1
	s_add_u32 s37, s38, -16
	s_addc_u32 s38, s39, -1
	s_branch .LBB173_13
.LBB173_12:                             ;   in Loop: Header=BB173_13 Depth=1
	s_or_b32 exec_lo, exec_lo, s11
	ds_load_b64 v[21:22], v0 offset:34816
	s_waitcnt lgkmcnt(0)
	s_barrier
	buffer_gl0_inv
	v_cmp_le_i64_e32 vcc_lo, s[40:41], v[21:22]
	v_add_co_u32 v23, s10, 0x800, v21
	s_delay_alu instid0(VALU_DEP_1)
	v_add_co_ci_u32_e64 v24, s10, 0, v22, s10
	s_cbranch_vccnz .LBB173_73
.LBB173_13:                             ; =>This Loop Header: Depth=1
                                        ;     Child Loop BB173_14 Depth 2
                                        ;     Child Loop BB173_20 Depth 2
                                        ;       Child Loop BB173_28 Depth 3
                                        ;         Child Loop BB173_32 Depth 4
                                        ;         Child Loop BB173_34 Depth 4
                                        ;     Child Loop BB173_48 Depth 2
                                        ;       Child Loop BB173_52 Depth 3
                                        ;       Child Loop BB173_54 Depth 3
                                        ;     Child Loop BB173_64 Depth 2
                                        ;     Child Loop BB173_69 Depth 2
	v_dual_mov_b32 v4, v57 :: v_dual_mov_b32 v5, v56
	s_mov_b32 s10, 0
.LBB173_14:                             ;   Parent Loop BB173_13 Depth=1
                                        ; =>  This Inner Loop Header: Depth=2
	ds_store_b8 v5, v0 offset:33280
	v_add_nc_u32_e32 v5, 0x200, v5
	ds_store_b128 v4, v[0:3]
	v_add_nc_u32_e32 v4, 0x2000, v4
	v_cmp_lt_u32_e32 vcc_lo, 0x5ff, v5
	s_or_b32 s10, vcc_lo, s10
	s_delay_alu instid0(SALU_CYCLE_1)
	s_and_not1_b32 exec_lo, exec_lo, s10
	s_cbranch_execnz .LBB173_14
; %bb.15:                               ;   in Loop: Header=BB173_13 Depth=1
	s_or_b32 exec_lo, exec_lo, s10
	s_and_saveexec_b32 s10, s0
	s_cbranch_execz .LBB173_17
; %bb.16:                               ;   in Loop: Header=BB173_13 Depth=1
	v_dual_mov_b32 v4, s40 :: v_dual_mov_b32 v5, s41
	ds_store_b64 v0, v[4:5] offset:34816
.LBB173_17:                             ;   in Loop: Header=BB173_13 Depth=1
	s_or_b32 exec_lo, exec_lo, s10
	v_dual_mov_b32 v25, s40 :: v_dual_mov_b32 v26, s41
	s_waitcnt vmcnt(0) lgkmcnt(0)
	s_waitcnt_vscnt null, 0x0
	s_barrier
	buffer_gl0_inv
	s_and_saveexec_b32 s18, s31
	s_cbranch_execz .LBB173_44
; %bb.18:                               ;   in Loop: Header=BB173_13 Depth=1
	v_cmp_ne_u64_e64 s10, 0, v[21:22]
	v_dual_mov_b32 v25, s40 :: v_dual_mov_b32 v26, s41
	v_dual_mov_b32 v28, v17 :: v_dual_mov_b32 v27, v16
	s_mov_b32 s19, 0
	s_branch .LBB173_20
.LBB173_19:                             ;   in Loop: Header=BB173_20 Depth=2
	s_or_b32 exec_lo, exec_lo, s39
	v_add_co_u32 v27, vcc_lo, v27, 32
	v_add_co_ci_u32_e32 v28, vcc_lo, 0, v28, vcc_lo
	s_delay_alu instid0(VALU_DEP_1) | instskip(SKIP_1) | instid1(SALU_CYCLE_1)
	v_cmp_le_i64_e32 vcc_lo, s[34:35], v[27:28]
	s_or_b32 s19, vcc_lo, s19
	s_and_not1_b32 exec_lo, exec_lo, s19
	s_cbranch_execz .LBB173_43
.LBB173_20:                             ;   Parent Loop BB173_13 Depth=1
                                        ; =>  This Loop Header: Depth=2
                                        ;       Child Loop BB173_28 Depth 3
                                        ;         Child Loop BB173_32 Depth 4
                                        ;         Child Loop BB173_34 Depth 4
	s_delay_alu instid0(VALU_DEP_1) | instskip(SKIP_2) | instid1(VALU_DEP_2)
	v_lshlrev_b64 v[29:30], 3, v[27:28]
	v_lshlrev_b64 v[4:5], 4, v[27:28]
	s_waitcnt lgkmcnt(0)
	v_add_co_u32 v6, vcc_lo, s20, v29
	s_delay_alu instid0(VALU_DEP_3) | instskip(NEXT) | instid1(VALU_DEP_3)
	v_add_co_ci_u32_e32 v7, vcc_lo, s21, v30, vcc_lo
	v_add_co_u32 v4, vcc_lo, s22, v4
	s_delay_alu instid0(VALU_DEP_4)
	v_add_co_ci_u32_e32 v5, vcc_lo, s23, v5, vcc_lo
	s_and_b32 vcc_lo, exec_lo, s10
	global_load_b64 v[33:34], v[6:7], off
	global_load_b128 v[4:7], v[4:5], off
	s_cbranch_vccz .LBB173_22
; %bb.21:                               ;   in Loop: Header=BB173_20 Depth=2
	v_add_co_u32 v31, vcc_lo, s42, v29
	v_add_co_ci_u32_e32 v32, vcc_lo, s43, v30, vcc_lo
	s_mov_b32 s11, 0
	global_load_b64 v[31:32], v[31:32], off
	s_branch .LBB173_23
.LBB173_22:                             ;   in Loop: Header=BB173_20 Depth=2
	s_mov_b32 s11, -1
                                        ; implicit-def: $vgpr31_vgpr32
.LBB173_23:                             ;   in Loop: Header=BB173_20 Depth=2
	s_waitcnt vmcnt(1)
	v_sub_co_u32 v33, vcc_lo, v33, s28
	v_subrev_co_ci_u32_e32 v34, vcc_lo, 0, v34, vcc_lo
	s_and_not1_b32 vcc_lo, exec_lo, s11
	s_delay_alu instid0(VALU_DEP_1)
	v_lshlrev_b64 v[33:34], 3, v[33:34]
	s_cbranch_vccnz .LBB173_25
; %bb.24:                               ;   in Loop: Header=BB173_20 Depth=2
	s_waitcnt vmcnt(0)
	s_delay_alu instid0(VALU_DEP_1) | instskip(NEXT) | instid1(VALU_DEP_2)
	v_add_co_u32 v31, vcc_lo, s24, v33
	v_add_co_ci_u32_e32 v32, vcc_lo, s25, v34, vcc_lo
	global_load_b64 v[31:32], v[31:32], off
	s_waitcnt vmcnt(0)
	v_sub_co_u32 v31, vcc_lo, v31, s29
	v_subrev_co_ci_u32_e32 v32, vcc_lo, 0, v32, vcc_lo
.LBB173_25:                             ;   in Loop: Header=BB173_20 Depth=2
	s_delay_alu instid0(VALU_DEP_1) | instskip(NEXT) | instid1(VALU_DEP_2)
	v_add_co_u32 v33, vcc_lo, s47, v33
	v_add_co_ci_u32_e32 v34, vcc_lo, s48, v34, vcc_lo
	s_mov_b32 s39, exec_lo
	global_load_b64 v[33:34], v[33:34], off
	s_waitcnt vmcnt(0)
	v_sub_co_u32 v33, vcc_lo, v33, s29
	v_subrev_co_ci_u32_e32 v34, vcc_lo, 0, v34, vcc_lo
	v_add_co_u32 v31, vcc_lo, v31, v47
	v_add_co_ci_u32_e32 v32, vcc_lo, 0, v32, vcc_lo
	s_delay_alu instid0(VALU_DEP_1)
	v_cmpx_lt_i64_e64 v[31:32], v[33:34]
	s_cbranch_execz .LBB173_41
; %bb.26:                               ;   in Loop: Header=BB173_20 Depth=2
	v_mul_f64 v[35:36], v[6:7], -v[12:13]
	v_mul_f64 v[6:7], v[10:11], v[6:7]
	v_dual_mov_b32 v42, v32 :: v_dual_mov_b32 v41, v31
	s_mov_b32 s50, 0
                                        ; implicit-def: $sgpr49
                                        ; implicit-def: $sgpr51
	s_delay_alu instid0(VALU_DEP_3) | instskip(NEXT) | instid1(VALU_DEP_3)
	v_fma_f64 v[35:36], v[10:11], v[4:5], v[35:36]
	v_fma_f64 v[37:38], v[12:13], v[4:5], v[6:7]
	s_branch .LBB173_28
.LBB173_27:                             ;   in Loop: Header=BB173_28 Depth=3
	s_or_b32 exec_lo, exec_lo, s52
	s_delay_alu instid0(SALU_CYCLE_1) | instskip(SKIP_4) | instid1(SALU_CYCLE_1)
	s_and_b32 s11, exec_lo, s53
	v_dual_mov_b32 v42, v7 :: v_dual_mov_b32 v41, v6
	s_or_b32 s50, s11, s50
	s_and_not1_b32 s11, s49, exec_lo
	s_and_b32 s49, s51, exec_lo
	s_or_b32 s49, s11, s49
	s_and_not1_b32 exec_lo, exec_lo, s50
	s_cbranch_execz .LBB173_38
.LBB173_28:                             ;   Parent Loop BB173_13 Depth=1
                                        ;     Parent Loop BB173_20 Depth=2
                                        ; =>    This Loop Header: Depth=3
                                        ;         Child Loop BB173_32 Depth 4
                                        ;         Child Loop BB173_34 Depth 4
	v_lshlrev_b64 v[4:5], 3, v[41:42]
	s_delay_alu instid0(VALU_DEP_1) | instskip(NEXT) | instid1(VALU_DEP_2)
	v_add_co_u32 v4, vcc_lo, s26, v4
	v_add_co_ci_u32_e32 v5, vcc_lo, s27, v5, vcc_lo
	global_load_b64 v[4:5], v[4:5], off
	s_waitcnt vmcnt(0)
	v_sub_co_u32 v39, vcc_lo, v4, s29
	v_subrev_co_ci_u32_e32 v40, vcc_lo, 0, v5, vcc_lo
	s_delay_alu instid0(VALU_DEP_1)
	v_cmp_lt_i64_e32 vcc_lo, v[39:40], v[23:24]
	v_cmp_lt_i64_e64 s11, v[39:40], v[21:22]
	s_xor_b32 s52, vcc_lo, -1
	s_delay_alu instid0(VALU_DEP_1) | instid1(SALU_CYCLE_1)
	s_or_b32 s53, s11, s52
	s_mov_b32 s11, 0
                                        ; implicit-def: $sgpr52
	s_and_saveexec_b32 s54, s53
	s_delay_alu instid0(SALU_CYCLE_1)
	s_xor_b32 s53, exec_lo, s54
; %bb.29:                               ;   in Loop: Header=BB173_28 Depth=3
	s_mov_b32 s52, -1
	s_and_b32 s11, vcc_lo, exec_lo
; %bb.30:                               ;   in Loop: Header=BB173_28 Depth=3
	s_and_not1_saveexec_b32 s53, s53
	s_cbranch_execz .LBB173_36
; %bb.31:                               ;   in Loop: Header=BB173_28 Depth=3
	v_lshlrev_b64 v[4:5], 4, v[41:42]
	v_sub_nc_u32_e32 v45, v39, v21
	s_mov_b32 s54, 0
	s_delay_alu instid0(VALU_DEP_1) | instskip(NEXT) | instid1(VALU_DEP_3)
	v_lshlrev_b32_e32 v61, 4, v45
	v_add_co_u32 v4, vcc_lo, s44, v4
	s_delay_alu instid0(VALU_DEP_4)
	v_add_co_ci_u32_e32 v5, vcc_lo, s45, v5, vcc_lo
	ds_store_b8 v45, v60 offset:32768
	ds_load_b64 v[45:46], v61
	global_load_b128 v[4:7], v[4:5], off
	s_waitcnt vmcnt(0)
	v_mul_f64 v[43:44], v[6:7], -v[37:38]
	s_delay_alu instid0(VALU_DEP_1)
	v_fma_f64 v[43:44], v[35:36], v[4:5], v[43:44]
.LBB173_32:                             ;   Parent Loop BB173_13 Depth=1
                                        ;     Parent Loop BB173_20 Depth=2
                                        ;       Parent Loop BB173_28 Depth=3
                                        ; =>      This Inner Loop Header: Depth=4
	s_waitcnt lgkmcnt(0)
	s_delay_alu instid0(VALU_DEP_1)
	v_add_f64 v[62:63], v[45:46], v[43:44]
	ds_cmpstore_rtn_b64 v[62:63], v61, v[62:63], v[45:46]
	s_waitcnt lgkmcnt(0)
	v_cmp_eq_u64_e32 vcc_lo, v[62:63], v[45:46]
	v_dual_mov_b32 v45, v62 :: v_dual_mov_b32 v46, v63
	s_or_b32 s54, vcc_lo, s54
	s_delay_alu instid0(SALU_CYCLE_1)
	s_and_not1_b32 exec_lo, exec_lo, s54
	s_cbranch_execnz .LBB173_32
; %bb.33:                               ;   in Loop: Header=BB173_28 Depth=3
	s_or_b32 exec_lo, exec_lo, s54
	v_mul_f64 v[6:7], v[35:36], v[6:7]
	s_mov_b32 s54, 0
	s_delay_alu instid0(VALU_DEP_1)
	v_fma_f64 v[4:5], v[37:38], v[4:5], v[6:7]
	ds_load_b64 v[6:7], v61 offset:8
.LBB173_34:                             ;   Parent Loop BB173_13 Depth=1
                                        ;     Parent Loop BB173_20 Depth=2
                                        ;       Parent Loop BB173_28 Depth=3
                                        ; =>      This Inner Loop Header: Depth=4
	s_waitcnt lgkmcnt(0)
	v_add_f64 v[43:44], v[6:7], v[4:5]
	ds_cmpstore_rtn_b64 v[43:44], v61, v[43:44], v[6:7] offset:8
	s_waitcnt lgkmcnt(0)
	v_cmp_eq_u64_e32 vcc_lo, v[43:44], v[6:7]
	v_dual_mov_b32 v6, v43 :: v_dual_mov_b32 v7, v44
	s_or_b32 s54, vcc_lo, s54
	s_delay_alu instid0(SALU_CYCLE_1)
	s_and_not1_b32 exec_lo, exec_lo, s54
	s_cbranch_execnz .LBB173_34
; %bb.35:                               ;   in Loop: Header=BB173_28 Depth=3
	s_or_b32 exec_lo, exec_lo, s54
	s_delay_alu instid0(SALU_CYCLE_1)
	s_or_b32 s11, s11, exec_lo
.LBB173_36:                             ;   in Loop: Header=BB173_28 Depth=3
	s_or_b32 exec_lo, exec_lo, s53
	v_dual_mov_b32 v4, v41 :: v_dual_mov_b32 v5, v42
	s_and_not1_b32 s51, s51, exec_lo
	s_and_b32 s52, s52, exec_lo
	s_mov_b32 s53, -1
	s_or_b32 s51, s51, s52
                                        ; implicit-def: $vgpr6_vgpr7
	s_and_saveexec_b32 s52, s11
	s_cbranch_execz .LBB173_27
; %bb.37:                               ;   in Loop: Header=BB173_28 Depth=3
	v_add_co_u32 v6, vcc_lo, v41, 16
	v_add_co_ci_u32_e32 v7, vcc_lo, 0, v42, vcc_lo
	v_dual_mov_b32 v4, v41 :: v_dual_mov_b32 v5, v42
	s_and_not1_b32 s51, s51, exec_lo
	s_delay_alu instid0(VALU_DEP_2)
	v_cmp_ge_i64_e32 vcc_lo, v[6:7], v[33:34]
	s_or_not1_b32 s53, vcc_lo, exec_lo
	s_branch .LBB173_27
.LBB173_38:                             ;   in Loop: Header=BB173_20 Depth=2
	s_or_b32 exec_lo, exec_lo, s50
	s_and_saveexec_b32 s11, s49
	s_delay_alu instid0(SALU_CYCLE_1)
	s_xor_b32 s11, exec_lo, s11
; %bb.39:                               ;   in Loop: Header=BB173_20 Depth=2
	v_cmp_lt_i64_e32 vcc_lo, v[39:40], v[25:26]
	v_dual_mov_b32 v32, v5 :: v_dual_mov_b32 v31, v4
	v_dual_cndmask_b32 v26, v26, v40 :: v_dual_cndmask_b32 v25, v25, v39
; %bb.40:                               ;   in Loop: Header=BB173_20 Depth=2
	s_or_b32 exec_lo, exec_lo, s11
.LBB173_41:                             ;   in Loop: Header=BB173_20 Depth=2
	s_delay_alu instid0(SALU_CYCLE_1)
	s_or_b32 exec_lo, exec_lo, s39
	ds_bpermute_b32 v4, v51, v31
	ds_bpermute_b32 v5, v51, v32
	s_waitcnt lgkmcnt(0)
	v_cmp_lt_i64_e32 vcc_lo, v[4:5], v[31:32]
	v_dual_cndmask_b32 v5, v32, v5 :: v_dual_cndmask_b32 v4, v31, v4
	ds_bpermute_b32 v7, v52, v5
	ds_bpermute_b32 v6, v52, v4
	s_waitcnt lgkmcnt(0)
	v_cmp_lt_i64_e32 vcc_lo, v[6:7], v[4:5]
	v_dual_cndmask_b32 v5, v5, v7 :: v_dual_cndmask_b32 v4, v4, v6
	;; [unrolled: 5-line block ×3, first 2 shown]
	ds_bpermute_b32 v7, v54, v5
	ds_bpermute_b32 v6, v54, v4
	s_and_saveexec_b32 s39, s1
	s_cbranch_execz .LBB173_19
; %bb.42:                               ;   in Loop: Header=BB173_20 Depth=2
	s_waitcnt lgkmcnt(0)
	v_cmp_lt_i64_e32 vcc_lo, v[6:7], v[4:5]
	v_add_co_u32 v29, s11, s42, v29
	s_delay_alu instid0(VALU_DEP_1)
	v_add_co_ci_u32_e64 v30, s11, s43, v30, s11
	v_dual_cndmask_b32 v5, v5, v7 :: v_dual_cndmask_b32 v4, v4, v6
	global_store_b64 v[29:30], v[4:5], off
	s_branch .LBB173_19
.LBB173_43:                             ;   in Loop: Header=BB173_13 Depth=1
	s_or_b32 exec_lo, exec_lo, s19
.LBB173_44:                             ;   in Loop: Header=BB173_13 Depth=1
	s_delay_alu instid0(SALU_CYCLE_1) | instskip(NEXT) | instid1(SALU_CYCLE_1)
	s_or_b32 exec_lo, exec_lo, s18
	s_and_not1_b32 vcc_lo, exec_lo, s33
	s_cbranch_vccnz .LBB173_62
; %bb.45:                               ;   in Loop: Header=BB173_13 Depth=1
	s_load_b128 s[52:55], s[12:13], 0x0
	s_mov_b32 s11, exec_lo
	s_waitcnt lgkmcnt(0)
	v_add_co_u32 v27, vcc_lo, s52, v48
	v_add_co_ci_u32_e32 v28, vcc_lo, s53, v49, vcc_lo
	s_sub_u32 s18, s54, s46
	s_subb_u32 s19, s55, 0
	s_delay_alu instid0(VALU_DEP_1) | instid1(SALU_CYCLE_1)
	v_cmpx_gt_i64_e64 s[18:19], v[27:28]
	s_cbranch_execz .LBB173_61
; %bb.46:                               ;   in Loop: Header=BB173_13 Depth=1
	s_mov_b32 s39, 0
                                        ; implicit-def: $sgpr49
                                        ; implicit-def: $sgpr50
	s_branch .LBB173_48
.LBB173_47:                             ;   in Loop: Header=BB173_48 Depth=2
	s_or_b32 exec_lo, exec_lo, s52
	s_delay_alu instid0(SALU_CYCLE_1) | instskip(NEXT) | instid1(SALU_CYCLE_1)
	s_and_b32 s10, exec_lo, s51
	s_or_b32 s39, s10, s39
	s_and_not1_b32 s10, s49, exec_lo
	s_and_b32 s49, s50, exec_lo
	s_delay_alu instid0(SALU_CYCLE_1)
	s_or_b32 s49, s10, s49
	s_and_not1_b32 exec_lo, exec_lo, s39
	s_cbranch_execz .LBB173_58
.LBB173_48:                             ;   Parent Loop BB173_13 Depth=1
                                        ; =>  This Loop Header: Depth=2
                                        ;       Child Loop BB173_52 Depth 3
                                        ;       Child Loop BB173_54 Depth 3
	v_lshlrev_b64 v[4:5], 3, v[27:28]
	s_delay_alu instid0(VALU_DEP_1) | instskip(NEXT) | instid1(VALU_DEP_2)
	v_add_co_u32 v4, vcc_lo, s14, v4
	v_add_co_ci_u32_e32 v5, vcc_lo, s15, v5, vcc_lo
	global_load_b64 v[4:5], v[4:5], off
	s_waitcnt vmcnt(0)
	v_sub_co_u32 v29, vcc_lo, v4, s46
	v_subrev_co_ci_u32_e32 v30, vcc_lo, 0, v5, vcc_lo
	s_delay_alu instid0(VALU_DEP_1)
	v_cmp_lt_i64_e32 vcc_lo, v[29:30], v[23:24]
	v_cmp_lt_i64_e64 s10, v[29:30], v[21:22]
	s_xor_b32 s51, vcc_lo, -1
	s_delay_alu instid0(VALU_DEP_1) | instid1(SALU_CYCLE_1)
	s_or_b32 s52, s10, s51
	s_mov_b32 s10, 0
                                        ; implicit-def: $sgpr51
	s_and_saveexec_b32 s53, s52
	s_delay_alu instid0(SALU_CYCLE_1)
	s_xor_b32 s52, exec_lo, s53
; %bb.49:                               ;   in Loop: Header=BB173_48 Depth=2
	s_mov_b32 s51, -1
	s_and_b32 s10, vcc_lo, exec_lo
; %bb.50:                               ;   in Loop: Header=BB173_48 Depth=2
	s_and_not1_saveexec_b32 s52, s52
	s_cbranch_execz .LBB173_56
; %bb.51:                               ;   in Loop: Header=BB173_48 Depth=2
	v_lshlrev_b64 v[4:5], 4, v[27:28]
	v_sub_nc_u32_e32 v33, v29, v21
	s_mov_b32 s53, 0
	s_delay_alu instid0(VALU_DEP_1) | instskip(NEXT) | instid1(VALU_DEP_3)
	v_lshlrev_b32_e32 v35, 4, v33
	v_add_co_u32 v4, vcc_lo, s16, v4
	s_delay_alu instid0(VALU_DEP_4)
	v_add_co_ci_u32_e32 v5, vcc_lo, s17, v5, vcc_lo
	ds_store_b8 v33, v60 offset:32768
	ds_load_b64 v[33:34], v35
	global_load_b128 v[4:7], v[4:5], off
	s_waitcnt vmcnt(0)
	v_mul_f64 v[31:32], v[6:7], -v[8:9]
	s_delay_alu instid0(VALU_DEP_1)
	v_fma_f64 v[31:32], v[14:15], v[4:5], v[31:32]
.LBB173_52:                             ;   Parent Loop BB173_13 Depth=1
                                        ;     Parent Loop BB173_48 Depth=2
                                        ; =>    This Inner Loop Header: Depth=3
	s_waitcnt lgkmcnt(0)
	s_delay_alu instid0(VALU_DEP_1)
	v_add_f64 v[36:37], v[33:34], v[31:32]
	ds_cmpstore_rtn_b64 v[36:37], v35, v[36:37], v[33:34]
	s_waitcnt lgkmcnt(0)
	v_cmp_eq_u64_e32 vcc_lo, v[36:37], v[33:34]
	v_dual_mov_b32 v33, v36 :: v_dual_mov_b32 v34, v37
	s_or_b32 s53, vcc_lo, s53
	s_delay_alu instid0(SALU_CYCLE_1)
	s_and_not1_b32 exec_lo, exec_lo, s53
	s_cbranch_execnz .LBB173_52
; %bb.53:                               ;   in Loop: Header=BB173_48 Depth=2
	s_or_b32 exec_lo, exec_lo, s53
	v_mul_f64 v[6:7], v[14:15], v[6:7]
	s_mov_b32 s53, 0
	s_delay_alu instid0(VALU_DEP_1)
	v_fma_f64 v[4:5], v[8:9], v[4:5], v[6:7]
	ds_load_b64 v[6:7], v35 offset:8
.LBB173_54:                             ;   Parent Loop BB173_13 Depth=1
                                        ;     Parent Loop BB173_48 Depth=2
                                        ; =>    This Inner Loop Header: Depth=3
	s_waitcnt lgkmcnt(0)
	v_add_f64 v[31:32], v[6:7], v[4:5]
	ds_cmpstore_rtn_b64 v[31:32], v35, v[31:32], v[6:7] offset:8
	s_waitcnt lgkmcnt(0)
	v_cmp_eq_u64_e32 vcc_lo, v[31:32], v[6:7]
	v_dual_mov_b32 v6, v31 :: v_dual_mov_b32 v7, v32
	s_or_b32 s53, vcc_lo, s53
	s_delay_alu instid0(SALU_CYCLE_1)
	s_and_not1_b32 exec_lo, exec_lo, s53
	s_cbranch_execnz .LBB173_54
; %bb.55:                               ;   in Loop: Header=BB173_48 Depth=2
	s_or_b32 exec_lo, exec_lo, s53
	s_delay_alu instid0(SALU_CYCLE_1)
	s_or_b32 s10, s10, exec_lo
.LBB173_56:                             ;   in Loop: Header=BB173_48 Depth=2
	s_or_b32 exec_lo, exec_lo, s52
	s_delay_alu instid0(SALU_CYCLE_1)
	s_and_not1_b32 s50, s50, exec_lo
	s_and_b32 s52, s51, exec_lo
	s_mov_b32 s51, -1
	s_or_b32 s50, s50, s52
	s_and_saveexec_b32 s52, s10
	s_cbranch_execz .LBB173_47
; %bb.57:                               ;   in Loop: Header=BB173_48 Depth=2
	v_add_co_u32 v27, vcc_lo, 0x200, v27
	v_add_co_ci_u32_e32 v28, vcc_lo, 0, v28, vcc_lo
	s_and_not1_b32 s50, s50, exec_lo
	s_delay_alu instid0(VALU_DEP_1)
	v_cmp_le_i64_e32 vcc_lo, s[18:19], v[27:28]
	s_or_not1_b32 s51, vcc_lo, exec_lo
	s_branch .LBB173_47
.LBB173_58:                             ;   in Loop: Header=BB173_13 Depth=1
	s_or_b32 exec_lo, exec_lo, s39
	s_and_saveexec_b32 s10, s49
	s_delay_alu instid0(SALU_CYCLE_1)
	s_xor_b32 s10, exec_lo, s10
; %bb.59:                               ;   in Loop: Header=BB173_13 Depth=1
	v_cmp_lt_i64_e32 vcc_lo, v[29:30], v[25:26]
	v_dual_cndmask_b32 v26, v26, v30 :: v_dual_cndmask_b32 v25, v25, v29
; %bb.60:                               ;   in Loop: Header=BB173_13 Depth=1
	s_or_b32 exec_lo, exec_lo, s10
.LBB173_61:                             ;   in Loop: Header=BB173_13 Depth=1
	s_delay_alu instid0(SALU_CYCLE_1)
	s_or_b32 exec_lo, exec_lo, s11
.LBB173_62:                             ;   in Loop: Header=BB173_13 Depth=1
	ds_bpermute_b32 v4, v51, v25
	ds_bpermute_b32 v5, v51, v26
	s_waitcnt lgkmcnt(0)
	v_cmp_lt_i64_e32 vcc_lo, v[4:5], v[25:26]
	v_dual_cndmask_b32 v5, v26, v5 :: v_dual_cndmask_b32 v4, v25, v4
	ds_bpermute_b32 v7, v52, v5
	ds_bpermute_b32 v6, v52, v4
	s_waitcnt lgkmcnt(0)
	v_cmp_lt_i64_e32 vcc_lo, v[6:7], v[4:5]
	v_dual_cndmask_b32 v5, v5, v7 :: v_dual_cndmask_b32 v4, v4, v6
	ds_bpermute_b32 v7, v53, v5
	ds_bpermute_b32 v6, v53, v4
	s_waitcnt lgkmcnt(0)
	v_cmp_lt_i64_e32 vcc_lo, v[6:7], v[4:5]
	v_dual_cndmask_b32 v5, v5, v7 :: v_dual_cndmask_b32 v4, v4, v6
	ds_bpermute_b32 v7, v54, v5
	ds_bpermute_b32 v6, v54, v4
	s_and_saveexec_b32 s18, s1
	s_cbranch_execz .LBB173_67
; %bb.63:                               ;   in Loop: Header=BB173_13 Depth=1
	s_waitcnt lgkmcnt(0)
	v_cmp_lt_i64_e32 vcc_lo, v[6:7], v[4:5]
	s_mov_b32 s19, exec_lo
	s_mov_b64 s[10:11], -1
	v_dual_cndmask_b32 v5, v5, v7 :: v_dual_cndmask_b32 v4, v4, v6
.LBB173_64:                             ;   Parent Loop BB173_13 Depth=1
                                        ; =>  This Inner Loop Header: Depth=2
	s_ctz_i32_b32 s39, s19
	s_delay_alu instid0(VALU_DEP_1) | instid1(SALU_CYCLE_1)
	v_readlane_b32 s51, v5, s39
	s_delay_alu instid0(VALU_DEP_2) | instskip(NEXT) | instid1(VALU_DEP_1)
	v_readlane_b32 s50, v4, s39
	v_cmp_lt_u64_e64 s49, s[10:11], s[50:51]
	s_delay_alu instid0(VALU_DEP_1) | instskip(SKIP_3) | instid1(SALU_CYCLE_1)
	s_and_b32 s49, s49, exec_lo
	s_cselect_b32 s11, s11, s51
	s_cselect_b32 s10, s10, s50
	s_lshl_b32 s39, 1, s39
	s_and_not1_b32 s19, s19, s39
	s_delay_alu instid0(SALU_CYCLE_1)
	s_cmp_lg_u32 s19, 0
	s_cbranch_scc1 .LBB173_64
; %bb.65:                               ;   in Loop: Header=BB173_13 Depth=1
	v_mbcnt_lo_u32_b32 v4, exec_lo, 0
	s_mov_b32 s19, exec_lo
	s_delay_alu instid0(VALU_DEP_1)
	v_cmpx_eq_u32_e32 0, v4
	s_xor_b32 s19, exec_lo, s19
	s_cbranch_execz .LBB173_67
; %bb.66:                               ;   in Loop: Header=BB173_13 Depth=1
	v_dual_mov_b32 v4, s10 :: v_dual_mov_b32 v5, s11
	ds_min_u64 v0, v[4:5] offset:34816
.LBB173_67:                             ;   in Loop: Header=BB173_13 Depth=1
	s_or_b32 exec_lo, exec_lo, s18
	v_add_co_u32 v4, vcc_lo, v58, v21
	v_add_co_ci_u32_e32 v5, vcc_lo, v59, v22, vcc_lo
	s_waitcnt lgkmcnt(0)
	v_dual_mov_b32 v6, v57 :: v_dual_mov_b32 v7, v56
	s_mov_b32 s11, 0
	s_waitcnt_vscnt null, 0x0
	s_barrier
	buffer_gl0_inv
	s_branch .LBB173_69
.LBB173_68:                             ;   in Loop: Header=BB173_69 Depth=2
	s_or_b32 exec_lo, exec_lo, s10
	s_waitcnt lgkmcnt(0)
	s_waitcnt_vscnt null, 0x0
	s_barrier
	buffer_gl0_inv
	ds_load_b32 v21, v0 offset:28
	v_add_nc_u32_e32 v7, 0x200, v7
	v_add_co_u32 v4, vcc_lo, 0x200, v4
	v_add_co_ci_u32_e32 v5, vcc_lo, 0, v5, vcc_lo
	s_delay_alu instid0(VALU_DEP_3)
	v_cmp_lt_u32_e32 vcc_lo, 0x5ff, v7
	v_add_nc_u32_e32 v6, 0x2000, v6
	s_or_b32 s11, vcc_lo, s11
	s_waitcnt lgkmcnt(0)
	v_ashrrev_i32_e32 v22, 31, v21
	v_add_co_u32 v19, s10, v19, v21
	s_delay_alu instid0(VALU_DEP_1)
	v_add_co_ci_u32_e64 v20, s10, v20, v22, s10
	s_and_not1_b32 exec_lo, exec_lo, s11
	s_cbranch_execz .LBB173_12
.LBB173_69:                             ;   Parent Loop BB173_13 Depth=1
                                        ; =>  This Inner Loop Header: Depth=2
	ds_load_u8 v28, v7 offset:33280
	ds_load_2addr_b64 v[21:24], v6 offset1:1
	s_waitcnt lgkmcnt(1)
	v_cmp_ne_u16_e32 vcc_lo, 0, v28
	s_waitcnt lgkmcnt(0)
	ds_store_2addr_b64 v50, v[21:22], v[23:24] offset1:1
	s_waitcnt lgkmcnt(0)
	s_barrier
	buffer_gl0_inv
	s_bcnt1_i32_b32 s10, vcc_lo
	v_and_b32_e32 v29, vcc_lo, v18
	v_mov_b32_e32 v25, s10
	s_mov_b32 s10, exec_lo
	ds_store_b32 v55, v25
	s_waitcnt lgkmcnt(0)
	s_barrier
	buffer_gl0_inv
	ds_load_b128 v[21:24], v0
	ds_load_b96 v[25:27], v0 offset:16
	s_waitcnt lgkmcnt(1)
	v_cndmask_b32_e64 v21, v21, 0, s3
	v_cndmask_b32_e64 v22, v22, 0, s4
	;; [unrolled: 1-line block ×4, first 2 shown]
	s_waitcnt lgkmcnt(0)
	v_cndmask_b32_e64 v25, v25, 0, s7
	v_bcnt_u32_b32 v21, v29, v21
	s_delay_alu instid0(VALU_DEP_1) | instskip(SKIP_2) | instid1(VALU_DEP_3)
	v_add3_u32 v21, v21, v22, v23
	v_cndmask_b32_e64 v22, v26, 0, s8
	v_cndmask_b32_e64 v23, v27, 0, s9
	v_add3_u32 v21, v21, v24, v25
	v_and_b32_e32 v24, 1, v28
	s_delay_alu instid0(VALU_DEP_2) | instskip(NEXT) | instid1(VALU_DEP_2)
	v_add3_u32 v21, v21, v22, v23
	v_cmpx_eq_u32_e32 1, v24
	s_cbranch_execz .LBB173_71
; %bb.70:                               ;   in Loop: Header=BB173_69 Depth=2
	s_delay_alu instid0(VALU_DEP_2) | instskip(SKIP_1) | instid1(VALU_DEP_2)
	v_ashrrev_i32_e32 v22, 31, v21
	v_add_co_u32 v26, vcc_lo, v19, v21
	v_add_co_ci_u32_e32 v27, vcc_lo, v20, v22, vcc_lo
	ds_load_2addr_b64 v[22:25], v50 offset1:1
	v_lshlrev_b64 v[28:29], 3, v[26:27]
	v_lshlrev_b64 v[26:27], 4, v[26:27]
	s_delay_alu instid0(VALU_DEP_2) | instskip(NEXT) | instid1(VALU_DEP_3)
	v_add_co_u32 v28, vcc_lo, s36, v28
	v_add_co_ci_u32_e32 v29, vcc_lo, s30, v29, vcc_lo
	s_delay_alu instid0(VALU_DEP_3) | instskip(NEXT) | instid1(VALU_DEP_4)
	v_add_co_u32 v26, vcc_lo, s37, v26
	v_add_co_ci_u32_e32 v27, vcc_lo, s38, v27, vcc_lo
	global_store_b64 v[28:29], v[4:5], off
	s_waitcnt lgkmcnt(0)
	global_store_b128 v[26:27], v[22:25], off
.LBB173_71:                             ;   in Loop: Header=BB173_69 Depth=2
	s_or_b32 exec_lo, exec_lo, s10
	s_and_saveexec_b32 s10, s2
	s_cbranch_execz .LBB173_68
; %bb.72:                               ;   in Loop: Header=BB173_69 Depth=2
	ds_store_b32 v0, v21 offset:28
	s_branch .LBB173_68
.LBB173_73:
	s_endpgm
	.section	.rodata,"a",@progbits
	.p2align	6, 0x0
	.amdhsa_kernel _ZN9rocsparseL36csrgemm_fill_block_per_row_multipassILj512ELj16ELj2048ELj64Ell21rocsparse_complex_numIdEEEvT4_PKS3_S5_NS_24const_host_device_scalarIT5_EEPKT3_S5_PKS7_SB_S5_SD_S8_SB_S5_SD_SB_PS3_PS7_PS9_21rocsparse_index_base_SH_SH_SH_bbb
		.amdhsa_group_segment_fixed_size 43016
		.amdhsa_private_segment_fixed_size 24
		.amdhsa_kernarg_size 180
		.amdhsa_user_sgpr_count 15
		.amdhsa_user_sgpr_dispatch_ptr 1
		.amdhsa_user_sgpr_queue_ptr 0
		.amdhsa_user_sgpr_kernarg_segment_ptr 1
		.amdhsa_user_sgpr_dispatch_id 0
		.amdhsa_user_sgpr_private_segment_size 0
		.amdhsa_wavefront_size32 1
		.amdhsa_uses_dynamic_stack 0
		.amdhsa_enable_private_segment 1
		.amdhsa_system_sgpr_workgroup_id_x 1
		.amdhsa_system_sgpr_workgroup_id_y 0
		.amdhsa_system_sgpr_workgroup_id_z 0
		.amdhsa_system_sgpr_workgroup_info 0
		.amdhsa_system_vgpr_workitem_id 2
		.amdhsa_next_free_vgpr 64
		.amdhsa_next_free_sgpr 56
		.amdhsa_reserve_vcc 1
		.amdhsa_float_round_mode_32 0
		.amdhsa_float_round_mode_16_64 0
		.amdhsa_float_denorm_mode_32 3
		.amdhsa_float_denorm_mode_16_64 3
		.amdhsa_dx10_clamp 1
		.amdhsa_ieee_mode 1
		.amdhsa_fp16_overflow 0
		.amdhsa_workgroup_processor_mode 1
		.amdhsa_memory_ordered 1
		.amdhsa_forward_progress 0
		.amdhsa_shared_vgpr_count 0
		.amdhsa_exception_fp_ieee_invalid_op 0
		.amdhsa_exception_fp_denorm_src 0
		.amdhsa_exception_fp_ieee_div_zero 0
		.amdhsa_exception_fp_ieee_overflow 0
		.amdhsa_exception_fp_ieee_underflow 0
		.amdhsa_exception_fp_ieee_inexact 0
		.amdhsa_exception_int_div_zero 0
	.end_amdhsa_kernel
	.section	.text._ZN9rocsparseL36csrgemm_fill_block_per_row_multipassILj512ELj16ELj2048ELj64Ell21rocsparse_complex_numIdEEEvT4_PKS3_S5_NS_24const_host_device_scalarIT5_EEPKT3_S5_PKS7_SB_S5_SD_S8_SB_S5_SD_SB_PS3_PS7_PS9_21rocsparse_index_base_SH_SH_SH_bbb,"axG",@progbits,_ZN9rocsparseL36csrgemm_fill_block_per_row_multipassILj512ELj16ELj2048ELj64Ell21rocsparse_complex_numIdEEEvT4_PKS3_S5_NS_24const_host_device_scalarIT5_EEPKT3_S5_PKS7_SB_S5_SD_S8_SB_S5_SD_SB_PS3_PS7_PS9_21rocsparse_index_base_SH_SH_SH_bbb,comdat
.Lfunc_end173:
	.size	_ZN9rocsparseL36csrgemm_fill_block_per_row_multipassILj512ELj16ELj2048ELj64Ell21rocsparse_complex_numIdEEEvT4_PKS3_S5_NS_24const_host_device_scalarIT5_EEPKT3_S5_PKS7_SB_S5_SD_S8_SB_S5_SD_SB_PS3_PS7_PS9_21rocsparse_index_base_SH_SH_SH_bbb, .Lfunc_end173-_ZN9rocsparseL36csrgemm_fill_block_per_row_multipassILj512ELj16ELj2048ELj64Ell21rocsparse_complex_numIdEEEvT4_PKS3_S5_NS_24const_host_device_scalarIT5_EEPKT3_S5_PKS7_SB_S5_SD_S8_SB_S5_SD_SB_PS3_PS7_PS9_21rocsparse_index_base_SH_SH_SH_bbb
                                        ; -- End function
	.section	.AMDGPU.csdata,"",@progbits
; Kernel info:
; codeLenInByte = 3716
; NumSgprs: 58
; NumVgprs: 64
; ScratchSize: 24
; MemoryBound: 0
; FloatMode: 240
; IeeeMode: 1
; LDSByteSize: 43016 bytes/workgroup (compile time only)
; SGPRBlocks: 7
; VGPRBlocks: 7
; NumSGPRsForWavesPerEU: 58
; NumVGPRsForWavesPerEU: 64
; Occupancy: 12
; WaveLimiterHint : 1
; COMPUTE_PGM_RSRC2:SCRATCH_EN: 1
; COMPUTE_PGM_RSRC2:USER_SGPR: 15
; COMPUTE_PGM_RSRC2:TRAP_HANDLER: 0
; COMPUTE_PGM_RSRC2:TGID_X_EN: 1
; COMPUTE_PGM_RSRC2:TGID_Y_EN: 0
; COMPUTE_PGM_RSRC2:TGID_Z_EN: 0
; COMPUTE_PGM_RSRC2:TIDIG_COMP_CNT: 2
	.section	.text._ZN9rocsparseL25csrgemm_max_row_nnz_part1ILj256EliEEvT1_PKT0_PS1_,"axG",@progbits,_ZN9rocsparseL25csrgemm_max_row_nnz_part1ILj256EliEEvT1_PKT0_PS1_,comdat
	.globl	_ZN9rocsparseL25csrgemm_max_row_nnz_part1ILj256EliEEvT1_PKT0_PS1_ ; -- Begin function _ZN9rocsparseL25csrgemm_max_row_nnz_part1ILj256EliEEvT1_PKT0_PS1_
	.p2align	8
	.type	_ZN9rocsparseL25csrgemm_max_row_nnz_part1ILj256EliEEvT1_PKT0_PS1_,@function
_ZN9rocsparseL25csrgemm_max_row_nnz_part1ILj256EliEEvT1_PKT0_PS1_: ; @_ZN9rocsparseL25csrgemm_max_row_nnz_part1ILj256EliEEvT1_PKT0_PS1_
; %bb.0:
	s_clause 0x1
	s_load_b32 s3, s[0:1], 0x0
	s_load_b64 s[4:5], s[0:1], 0x10
	s_mov_b32 s2, s15
	v_mov_b32_e32 v3, 0
	v_lshl_or_b32 v1, s2, 8, v0
	s_mov_b32 s6, exec_lo
	s_waitcnt lgkmcnt(0)
	s_delay_alu instid0(VALU_DEP_1)
	v_cmpx_gt_i32_e64 s3, v1
	s_cbranch_execz .LBB174_4
; %bb.1:
	s_clause 0x1
	s_load_b32 s7, s[0:1], 0x18
	s_load_b64 s[0:1], s[0:1], 0x8
	v_mov_b32_e32 v3, 0
	s_waitcnt lgkmcnt(0)
	s_lshl_b32 s8, s7, 8
	s_mov_b32 s7, 0
.LBB174_2:                              ; =>This Inner Loop Header: Depth=1
	v_ashrrev_i32_e32 v2, 31, v1
	s_delay_alu instid0(VALU_DEP_1) | instskip(SKIP_1) | instid1(VALU_DEP_2)
	v_lshlrev_b64 v[4:5], 3, v[1:2]
	v_add_nc_u32_e32 v1, s8, v1
	v_add_co_u32 v4, vcc_lo, s0, v4
	s_delay_alu instid0(VALU_DEP_3) | instskip(NEXT) | instid1(VALU_DEP_3)
	v_add_co_ci_u32_e32 v5, vcc_lo, s1, v5, vcc_lo
	v_cmp_le_i32_e32 vcc_lo, s3, v1
	global_load_b128 v[4:7], v[4:5], off
	s_or_b32 s7, vcc_lo, s7
	s_waitcnt vmcnt(0)
	v_sub_nc_u32_e32 v2, v6, v4
	s_delay_alu instid0(VALU_DEP_1)
	v_max_i32_e32 v3, v3, v2
	s_and_not1_b32 exec_lo, exec_lo, s7
	s_cbranch_execnz .LBB174_2
; %bb.3:
	s_or_b32 exec_lo, exec_lo, s7
.LBB174_4:
	s_delay_alu instid0(SALU_CYCLE_1)
	s_or_b32 exec_lo, exec_lo, s6
	v_lshlrev_b32_e32 v1, 2, v0
	s_mov_b32 s0, exec_lo
	ds_store_b32 v1, v3
	s_waitcnt lgkmcnt(0)
	s_barrier
	buffer_gl0_inv
	v_cmpx_gt_u32_e32 0x80, v0
	s_cbranch_execz .LBB174_6
; %bb.5:
	ds_load_2addr_stride64_b32 v[2:3], v1 offset1:2
	s_waitcnt lgkmcnt(0)
	v_max_i32_e32 v2, v2, v3
	ds_store_b32 v1, v2
.LBB174_6:
	s_or_b32 exec_lo, exec_lo, s0
	s_delay_alu instid0(SALU_CYCLE_1)
	s_mov_b32 s0, exec_lo
	s_waitcnt lgkmcnt(0)
	s_barrier
	buffer_gl0_inv
	v_cmpx_gt_u32_e32 64, v0
	s_cbranch_execz .LBB174_8
; %bb.7:
	ds_load_2addr_stride64_b32 v[2:3], v1 offset1:1
	s_waitcnt lgkmcnt(0)
	v_max_i32_e32 v2, v2, v3
	ds_store_b32 v1, v2
.LBB174_8:
	s_or_b32 exec_lo, exec_lo, s0
	s_delay_alu instid0(SALU_CYCLE_1)
	s_mov_b32 s0, exec_lo
	s_waitcnt lgkmcnt(0)
	s_barrier
	buffer_gl0_inv
	v_cmpx_gt_u32_e32 32, v0
	s_cbranch_execz .LBB174_10
; %bb.9:
	ds_load_2addr_b32 v[2:3], v1 offset1:32
	s_waitcnt lgkmcnt(0)
	v_max_i32_e32 v2, v2, v3
	ds_store_b32 v1, v2
.LBB174_10:
	s_or_b32 exec_lo, exec_lo, s0
	s_delay_alu instid0(SALU_CYCLE_1)
	s_mov_b32 s0, exec_lo
	s_waitcnt lgkmcnt(0)
	s_barrier
	buffer_gl0_inv
	v_cmpx_gt_u32_e32 16, v0
	s_cbranch_execz .LBB174_12
; %bb.11:
	ds_load_2addr_b32 v[2:3], v1 offset1:16
	s_waitcnt lgkmcnt(0)
	v_max_i32_e32 v2, v2, v3
	ds_store_b32 v1, v2
.LBB174_12:
	s_or_b32 exec_lo, exec_lo, s0
	s_delay_alu instid0(SALU_CYCLE_1)
	s_mov_b32 s0, exec_lo
	s_waitcnt lgkmcnt(0)
	s_barrier
	buffer_gl0_inv
	v_cmpx_gt_u32_e32 8, v0
	s_cbranch_execz .LBB174_14
; %bb.13:
	ds_load_2addr_b32 v[2:3], v1 offset1:8
	s_waitcnt lgkmcnt(0)
	v_max_i32_e32 v2, v2, v3
	ds_store_b32 v1, v2
.LBB174_14:
	s_or_b32 exec_lo, exec_lo, s0
	s_delay_alu instid0(SALU_CYCLE_1)
	s_mov_b32 s0, exec_lo
	s_waitcnt lgkmcnt(0)
	s_barrier
	buffer_gl0_inv
	v_cmpx_gt_u32_e32 4, v0
	s_cbranch_execz .LBB174_16
; %bb.15:
	ds_load_2addr_b32 v[2:3], v1 offset1:4
	s_waitcnt lgkmcnt(0)
	v_max_i32_e32 v2, v2, v3
	ds_store_b32 v1, v2
.LBB174_16:
	s_or_b32 exec_lo, exec_lo, s0
	s_delay_alu instid0(SALU_CYCLE_1)
	s_mov_b32 s0, exec_lo
	s_waitcnt lgkmcnt(0)
	s_barrier
	buffer_gl0_inv
	v_cmpx_gt_u32_e32 2, v0
	s_cbranch_execz .LBB174_18
; %bb.17:
	ds_load_2addr_b32 v[2:3], v1 offset1:2
	s_waitcnt lgkmcnt(0)
	v_max_i32_e32 v2, v2, v3
	ds_store_b32 v1, v2
.LBB174_18:
	s_or_b32 exec_lo, exec_lo, s0
	v_cmp_eq_u32_e32 vcc_lo, 0, v0
	s_waitcnt lgkmcnt(0)
	s_barrier
	buffer_gl0_inv
	s_and_saveexec_b32 s0, vcc_lo
	s_cbranch_execz .LBB174_20
; %bb.19:
	v_mov_b32_e32 v2, 0
	ds_load_b64 v[0:1], v2
	s_waitcnt lgkmcnt(0)
	v_max_i32_e32 v0, v0, v1
	ds_store_b32 v2, v0
.LBB174_20:
	s_or_b32 exec_lo, exec_lo, s0
	s_waitcnt lgkmcnt(0)
	s_barrier
	buffer_gl0_inv
	s_and_saveexec_b32 s0, vcc_lo
	s_cbranch_execz .LBB174_22
; %bb.21:
	v_mov_b32_e32 v0, 0
	s_mov_b32 s3, 0
	s_delay_alu instid0(SALU_CYCLE_1) | instskip(NEXT) | instid1(SALU_CYCLE_1)
	s_lshl_b64 s[0:1], s[2:3], 2
	s_add_u32 s0, s4, s0
	ds_load_b32 v1, v0
	s_addc_u32 s1, s5, s1
	s_waitcnt lgkmcnt(0)
	global_store_b32 v0, v1, s[0:1]
.LBB174_22:
	s_nop 0
	s_sendmsg sendmsg(MSG_DEALLOC_VGPRS)
	s_endpgm
	.section	.rodata,"a",@progbits
	.p2align	6, 0x0
	.amdhsa_kernel _ZN9rocsparseL25csrgemm_max_row_nnz_part1ILj256EliEEvT1_PKT0_PS1_
		.amdhsa_group_segment_fixed_size 1024
		.amdhsa_private_segment_fixed_size 0
		.amdhsa_kernarg_size 280
		.amdhsa_user_sgpr_count 15
		.amdhsa_user_sgpr_dispatch_ptr 0
		.amdhsa_user_sgpr_queue_ptr 0
		.amdhsa_user_sgpr_kernarg_segment_ptr 1
		.amdhsa_user_sgpr_dispatch_id 0
		.amdhsa_user_sgpr_private_segment_size 0
		.amdhsa_wavefront_size32 1
		.amdhsa_uses_dynamic_stack 0
		.amdhsa_enable_private_segment 0
		.amdhsa_system_sgpr_workgroup_id_x 1
		.amdhsa_system_sgpr_workgroup_id_y 0
		.amdhsa_system_sgpr_workgroup_id_z 0
		.amdhsa_system_sgpr_workgroup_info 0
		.amdhsa_system_vgpr_workitem_id 0
		.amdhsa_next_free_vgpr 8
		.amdhsa_next_free_sgpr 16
		.amdhsa_reserve_vcc 1
		.amdhsa_float_round_mode_32 0
		.amdhsa_float_round_mode_16_64 0
		.amdhsa_float_denorm_mode_32 3
		.amdhsa_float_denorm_mode_16_64 3
		.amdhsa_dx10_clamp 1
		.amdhsa_ieee_mode 1
		.amdhsa_fp16_overflow 0
		.amdhsa_workgroup_processor_mode 1
		.amdhsa_memory_ordered 1
		.amdhsa_forward_progress 0
		.amdhsa_shared_vgpr_count 0
		.amdhsa_exception_fp_ieee_invalid_op 0
		.amdhsa_exception_fp_denorm_src 0
		.amdhsa_exception_fp_ieee_div_zero 0
		.amdhsa_exception_fp_ieee_overflow 0
		.amdhsa_exception_fp_ieee_underflow 0
		.amdhsa_exception_fp_ieee_inexact 0
		.amdhsa_exception_int_div_zero 0
	.end_amdhsa_kernel
	.section	.text._ZN9rocsparseL25csrgemm_max_row_nnz_part1ILj256EliEEvT1_PKT0_PS1_,"axG",@progbits,_ZN9rocsparseL25csrgemm_max_row_nnz_part1ILj256EliEEvT1_PKT0_PS1_,comdat
.Lfunc_end174:
	.size	_ZN9rocsparseL25csrgemm_max_row_nnz_part1ILj256EliEEvT1_PKT0_PS1_, .Lfunc_end174-_ZN9rocsparseL25csrgemm_max_row_nnz_part1ILj256EliEEvT1_PKT0_PS1_
                                        ; -- End function
	.section	.AMDGPU.csdata,"",@progbits
; Kernel info:
; codeLenInByte = 756
; NumSgprs: 18
; NumVgprs: 8
; ScratchSize: 0
; MemoryBound: 0
; FloatMode: 240
; IeeeMode: 1
; LDSByteSize: 1024 bytes/workgroup (compile time only)
; SGPRBlocks: 2
; VGPRBlocks: 0
; NumSGPRsForWavesPerEU: 18
; NumVGPRsForWavesPerEU: 8
; Occupancy: 16
; WaveLimiterHint : 0
; COMPUTE_PGM_RSRC2:SCRATCH_EN: 0
; COMPUTE_PGM_RSRC2:USER_SGPR: 15
; COMPUTE_PGM_RSRC2:TRAP_HANDLER: 0
; COMPUTE_PGM_RSRC2:TGID_X_EN: 1
; COMPUTE_PGM_RSRC2:TGID_Y_EN: 0
; COMPUTE_PGM_RSRC2:TGID_Z_EN: 0
; COMPUTE_PGM_RSRC2:TIDIG_COMP_CNT: 0
	.section	.text._ZN9rocsparseL26csrgemm_group_reduce_part2ILj256ELj11EfliEEvT3_PKT2_PS1_Pij,"axG",@progbits,_ZN9rocsparseL26csrgemm_group_reduce_part2ILj256ELj11EfliEEvT3_PKT2_PS1_Pij,comdat
	.globl	_ZN9rocsparseL26csrgemm_group_reduce_part2ILj256ELj11EfliEEvT3_PKT2_PS1_Pij ; -- Begin function _ZN9rocsparseL26csrgemm_group_reduce_part2ILj256ELj11EfliEEvT3_PKT2_PS1_Pij
	.p2align	8
	.type	_ZN9rocsparseL26csrgemm_group_reduce_part2ILj256ELj11EfliEEvT3_PKT2_PS1_Pij,@function
_ZN9rocsparseL26csrgemm_group_reduce_part2ILj256ELj11EfliEEvT3_PKT2_PS1_Pij: ; @_ZN9rocsparseL26csrgemm_group_reduce_part2ILj256ELj11EfliEEvT3_PKT2_PS1_Pij
; %bb.0:
	s_clause 0x1
	s_load_b32 s8, s[0:1], 0x0
	s_load_b64 s[2:3], s[0:1], 0x10
	v_mul_u32_u24_e32 v2, 11, v0
	v_mov_b32_e32 v6, 0
	v_lshl_or_b32 v1, s15, 8, v0
	s_mov_b32 s9, 0
	s_mov_b32 s10, exec_lo
	v_lshlrev_b32_e32 v5, 2, v2
	ds_store_2addr_b32 v5, v6, v6 offset1:1
	ds_store_2addr_b32 v5, v6, v6 offset0:2 offset1:3
	ds_store_2addr_b32 v5, v6, v6 offset0:4 offset1:5
	;; [unrolled: 1-line block ×4, first 2 shown]
	ds_store_b32 v5, v6 offset:40
	s_waitcnt lgkmcnt(0)
	buffer_gl0_inv
	v_cmpx_gt_i32_e64 s8, v1
	s_cbranch_execz .LBB175_43
; %bb.1:
	s_clause 0x3
	s_load_b32 s11, s[0:1], 0x20
	s_load_b32 s12, s[0:1], 0x28
	s_load_b64 s[4:5], s[0:1], 0x8
	s_load_b64 s[6:7], s[0:1], 0x18
	v_dual_mov_b32 v7, 6 :: v_dual_mov_b32 v8, 7
	v_dual_mov_b32 v9, 8 :: v_dual_mov_b32 v10, 9
	;; [unrolled: 1-line block ×5, first 2 shown]
	s_waitcnt lgkmcnt(0)
	s_cmpk_lt_u32 s11, 0x8084
	s_cselect_b32 s0, -1, 0
	s_cmp_lt_u32 s11, 0x10084
	s_cselect_b32 s13, -1, 0
	s_cmp_lt_u32 s11, 0x20084
	;; [unrolled: 2-line block ×3, first 2 shown]
	s_cselect_b32 s16, -1, 0
	s_lshl_b32 s1, s12, 8
	s_xor_b32 s11, s0, -1
	s_xor_b32 s12, s13, -1
	;; [unrolled: 1-line block ×4, first 2 shown]
	s_branch .LBB175_3
.LBB175_2:                              ;   in Loop: Header=BB175_3 Depth=1
	s_or_b32 exec_lo, exec_lo, s0
	v_add_nc_u32_e32 v1, s1, v1
	s_delay_alu instid0(VALU_DEP_1) | instskip(SKIP_1) | instid1(SALU_CYCLE_1)
	v_cmp_le_i32_e32 vcc_lo, s8, v1
	s_or_b32 s9, vcc_lo, s9
	s_and_not1_b32 exec_lo, exec_lo, s9
	s_cbranch_execz .LBB175_43
.LBB175_3:                              ; =>This Inner Loop Header: Depth=1
	v_ashrrev_i32_e32 v2, 31, v1
	s_mov_b32 s0, exec_lo
	s_delay_alu instid0(VALU_DEP_1) | instskip(NEXT) | instid1(VALU_DEP_1)
	v_lshlrev_b64 v[3:4], 3, v[1:2]
	v_add_co_u32 v3, vcc_lo, s4, v3
	s_delay_alu instid0(VALU_DEP_2) | instskip(SKIP_4) | instid1(VALU_DEP_1)
	v_add_co_ci_u32_e32 v4, vcc_lo, s5, v4, vcc_lo
	global_load_b128 v[17:20], v[3:4], off
	s_waitcnt vmcnt(0)
	v_sub_co_u32 v3, vcc_lo, v19, v17
	v_sub_co_ci_u32_e32 v4, vcc_lo, v20, v18, vcc_lo
	v_cmpx_lt_i64_e32 16, v[3:4]
	s_xor_b32 s16, exec_lo, s0
	s_cbranch_execz .LBB175_41
; %bb.4:                                ;   in Loop: Header=BB175_3 Depth=1
	s_mov_b32 s0, exec_lo
	v_cmpx_lt_u64_e32 32, v[3:4]
	s_xor_b32 s17, exec_lo, s0
	s_cbranch_execz .LBB175_38
; %bb.5:                                ;   in Loop: Header=BB175_3 Depth=1
	s_mov_b32 s0, exec_lo
	v_cmpx_lt_u64_e32 0x100, v[3:4]
	;; [unrolled: 5-line block ×5, first 2 shown]
	s_xor_b32 s21, exec_lo, s0
	s_cbranch_execz .LBB175_26
; %bb.9:                                ;   in Loop: Header=BB175_3 Depth=1
	v_cmp_gt_u64_e32 vcc_lo, 0x1001, v[3:4]
	s_and_b32 s0, s11, vcc_lo
	s_delay_alu instid0(SALU_CYCLE_1) | instskip(NEXT) | instid1(SALU_CYCLE_1)
	s_and_saveexec_b32 s22, s0
	s_xor_b32 s0, exec_lo, s22
	s_cbranch_execz .LBB175_11
; %bb.10:                               ;   in Loop: Header=BB175_3 Depth=1
	ds_load_b32 v17, v5 offset:24
	v_lshlrev_b64 v[3:4], 2, v[1:2]
	s_delay_alu instid0(VALU_DEP_1) | instskip(NEXT) | instid1(VALU_DEP_2)
	v_add_co_u32 v3, vcc_lo, s6, v3
	v_add_co_ci_u32_e32 v4, vcc_lo, s7, v4, vcc_lo
	global_store_b32 v[3:4], v7, off
                                        ; implicit-def: $vgpr3_vgpr4
	s_waitcnt lgkmcnt(0)
	v_add_nc_u32_e32 v17, 1, v17
	ds_store_b32 v5, v17 offset:24
.LBB175_11:                             ;   in Loop: Header=BB175_3 Depth=1
	s_and_not1_saveexec_b32 s22, s0
	s_cbranch_execz .LBB175_25
; %bb.12:                               ;   in Loop: Header=BB175_3 Depth=1
	v_cmp_gt_u64_e32 vcc_lo, 0x2001, v[3:4]
	s_and_b32 s0, s12, vcc_lo
	s_delay_alu instid0(SALU_CYCLE_1) | instskip(NEXT) | instid1(SALU_CYCLE_1)
	s_and_saveexec_b32 s23, s0
	s_xor_b32 s0, exec_lo, s23
	s_cbranch_execz .LBB175_14
; %bb.13:                               ;   in Loop: Header=BB175_3 Depth=1
	ds_load_b32 v17, v5 offset:28
	v_lshlrev_b64 v[3:4], 2, v[1:2]
	s_delay_alu instid0(VALU_DEP_1) | instskip(NEXT) | instid1(VALU_DEP_2)
	v_add_co_u32 v3, vcc_lo, s6, v3
	v_add_co_ci_u32_e32 v4, vcc_lo, s7, v4, vcc_lo
	global_store_b32 v[3:4], v8, off
                                        ; implicit-def: $vgpr3_vgpr4
	s_waitcnt lgkmcnt(0)
	v_add_nc_u32_e32 v17, 1, v17
	ds_store_b32 v5, v17 offset:28
.LBB175_14:                             ;   in Loop: Header=BB175_3 Depth=1
	s_and_not1_saveexec_b32 s23, s0
	s_cbranch_execz .LBB175_24
; %bb.15:                               ;   in Loop: Header=BB175_3 Depth=1
	;; [unrolled: 21-line block ×3, first 2 shown]
	v_lshlrev_b64 v[17:18], 2, v[1:2]
	v_cmp_gt_u64_e32 vcc_lo, 0x8001, v[3:4]
	s_delay_alu instid0(VALU_DEP_2) | instskip(NEXT) | instid1(VALU_DEP_1)
	v_add_co_u32 v3, s0, s6, v17
	v_add_co_ci_u32_e64 v4, s0, s7, v18, s0
	s_and_b32 s0, s14, vcc_lo
	s_delay_alu instid0(SALU_CYCLE_1) | instskip(NEXT) | instid1(SALU_CYCLE_1)
	s_and_saveexec_b32 s25, s0
	s_xor_b32 s0, exec_lo, s25
	s_cbranch_execz .LBB175_20
; %bb.19:                               ;   in Loop: Header=BB175_3 Depth=1
	ds_load_b32 v17, v5 offset:36
	global_store_b32 v[3:4], v10, off
                                        ; implicit-def: $vgpr3_vgpr4
	s_waitcnt lgkmcnt(0)
	v_add_nc_u32_e32 v17, 1, v17
	ds_store_b32 v5, v17 offset:36
.LBB175_20:                             ;   in Loop: Header=BB175_3 Depth=1
	s_and_not1_saveexec_b32 s0, s0
	s_cbranch_execz .LBB175_22
; %bb.21:                               ;   in Loop: Header=BB175_3 Depth=1
	ds_load_b32 v17, v5 offset:40
	global_store_b32 v[3:4], v11, off
	s_waitcnt lgkmcnt(0)
	v_add_nc_u32_e32 v17, 1, v17
	ds_store_b32 v5, v17 offset:40
.LBB175_22:                             ;   in Loop: Header=BB175_3 Depth=1
	s_or_b32 exec_lo, exec_lo, s0
.LBB175_23:                             ;   in Loop: Header=BB175_3 Depth=1
	s_delay_alu instid0(SALU_CYCLE_1)
	s_or_b32 exec_lo, exec_lo, s24
.LBB175_24:                             ;   in Loop: Header=BB175_3 Depth=1
	s_delay_alu instid0(SALU_CYCLE_1)
	s_or_b32 exec_lo, exec_lo, s23
.LBB175_25:                             ;   in Loop: Header=BB175_3 Depth=1
	s_delay_alu instid0(SALU_CYCLE_1)
	s_or_b32 exec_lo, exec_lo, s22
.LBB175_26:                             ;   in Loop: Header=BB175_3 Depth=1
	s_and_not1_saveexec_b32 s0, s21
	s_cbranch_execz .LBB175_28
; %bb.27:                               ;   in Loop: Header=BB175_3 Depth=1
	ds_load_b32 v17, v5 offset:20
	v_lshlrev_b64 v[3:4], 2, v[1:2]
	s_delay_alu instid0(VALU_DEP_1) | instskip(NEXT) | instid1(VALU_DEP_2)
	v_add_co_u32 v3, vcc_lo, s6, v3
	v_add_co_ci_u32_e32 v4, vcc_lo, s7, v4, vcc_lo
	global_store_b32 v[3:4], v12, off
	s_waitcnt lgkmcnt(0)
	v_add_nc_u32_e32 v17, 1, v17
	ds_store_b32 v5, v17 offset:20
.LBB175_28:                             ;   in Loop: Header=BB175_3 Depth=1
	s_or_b32 exec_lo, exec_lo, s0
.LBB175_29:                             ;   in Loop: Header=BB175_3 Depth=1
	s_and_not1_saveexec_b32 s0, s20
	s_cbranch_execz .LBB175_31
; %bb.30:                               ;   in Loop: Header=BB175_3 Depth=1
	ds_load_b32 v17, v5 offset:16
	v_lshlrev_b64 v[3:4], 2, v[1:2]
	s_delay_alu instid0(VALU_DEP_1) | instskip(NEXT) | instid1(VALU_DEP_2)
	v_add_co_u32 v3, vcc_lo, s6, v3
	v_add_co_ci_u32_e32 v4, vcc_lo, s7, v4, vcc_lo
	global_store_b32 v[3:4], v13, off
	s_waitcnt lgkmcnt(0)
	v_add_nc_u32_e32 v17, 1, v17
	ds_store_b32 v5, v17 offset:16
.LBB175_31:                             ;   in Loop: Header=BB175_3 Depth=1
	s_or_b32 exec_lo, exec_lo, s0
.LBB175_32:                             ;   in Loop: Header=BB175_3 Depth=1
	s_and_not1_saveexec_b32 s0, s19
	s_cbranch_execz .LBB175_34
; %bb.33:                               ;   in Loop: Header=BB175_3 Depth=1
	ds_load_b32 v17, v5 offset:12
	v_lshlrev_b64 v[3:4], 2, v[1:2]
	s_delay_alu instid0(VALU_DEP_1) | instskip(NEXT) | instid1(VALU_DEP_2)
	v_add_co_u32 v3, vcc_lo, s6, v3
	v_add_co_ci_u32_e32 v4, vcc_lo, s7, v4, vcc_lo
	global_store_b32 v[3:4], v14, off
	s_waitcnt lgkmcnt(0)
	v_add_nc_u32_e32 v17, 1, v17
	ds_store_b32 v5, v17 offset:12
.LBB175_34:                             ;   in Loop: Header=BB175_3 Depth=1
	s_or_b32 exec_lo, exec_lo, s0
.LBB175_35:                             ;   in Loop: Header=BB175_3 Depth=1
	s_and_not1_saveexec_b32 s0, s18
	s_cbranch_execz .LBB175_37
; %bb.36:                               ;   in Loop: Header=BB175_3 Depth=1
	ds_load_b32 v17, v5 offset:8
	v_lshlrev_b64 v[3:4], 2, v[1:2]
	s_delay_alu instid0(VALU_DEP_1) | instskip(NEXT) | instid1(VALU_DEP_2)
	v_add_co_u32 v3, vcc_lo, s6, v3
	v_add_co_ci_u32_e32 v4, vcc_lo, s7, v4, vcc_lo
	global_store_b32 v[3:4], v15, off
	s_waitcnt lgkmcnt(0)
	v_add_nc_u32_e32 v17, 1, v17
	ds_store_b32 v5, v17 offset:8
.LBB175_37:                             ;   in Loop: Header=BB175_3 Depth=1
	s_or_b32 exec_lo, exec_lo, s0
.LBB175_38:                             ;   in Loop: Header=BB175_3 Depth=1
	s_and_not1_saveexec_b32 s0, s17
	s_cbranch_execz .LBB175_40
; %bb.39:                               ;   in Loop: Header=BB175_3 Depth=1
	ds_load_b32 v17, v5 offset:4
	v_lshlrev_b64 v[3:4], 2, v[1:2]
	s_delay_alu instid0(VALU_DEP_1) | instskip(NEXT) | instid1(VALU_DEP_2)
	v_add_co_u32 v3, vcc_lo, s6, v3
	v_add_co_ci_u32_e32 v4, vcc_lo, s7, v4, vcc_lo
	global_store_b32 v[3:4], v16, off
	s_waitcnt lgkmcnt(0)
	v_add_nc_u32_e32 v17, 1, v17
	ds_store_b32 v5, v17 offset:4
.LBB175_40:                             ;   in Loop: Header=BB175_3 Depth=1
	s_or_b32 exec_lo, exec_lo, s0
.LBB175_41:                             ;   in Loop: Header=BB175_3 Depth=1
	s_and_not1_saveexec_b32 s0, s16
	s_cbranch_execz .LBB175_2
; %bb.42:                               ;   in Loop: Header=BB175_3 Depth=1
	ds_load_b32 v4, v5
	v_lshlrev_b64 v[2:3], 2, v[1:2]
	s_delay_alu instid0(VALU_DEP_1) | instskip(NEXT) | instid1(VALU_DEP_2)
	v_add_co_u32 v2, vcc_lo, s6, v2
	v_add_co_ci_u32_e32 v3, vcc_lo, s7, v3, vcc_lo
	global_store_b32 v[2:3], v6, off
	s_waitcnt lgkmcnt(0)
	v_add_nc_u32_e32 v4, 1, v4
	ds_store_b32 v5, v4
	s_branch .LBB175_2
.LBB175_43:
	s_or_b32 exec_lo, exec_lo, s10
	s_delay_alu instid0(SALU_CYCLE_1)
	s_mov_b32 s0, exec_lo
	s_waitcnt lgkmcnt(0)
	s_waitcnt_vscnt null, 0x0
	s_barrier
	buffer_gl0_inv
	s_barrier
	buffer_gl0_inv
	;; [unrolled: 2-line block ×3, first 2 shown]
	v_cmpx_gt_u32_e32 0x80, v0
	s_cbranch_execz .LBB175_45
; %bb.44:
	v_add_nc_u32_e32 v1, 0x1600, v5
	v_add_nc_u32_e32 v3, 0x1608, v5
	;; [unrolled: 1-line block ×5, first 2 shown]
	ds_load_2addr_b32 v[1:2], v1 offset1:1
	ds_load_2addr_b32 v[3:4], v3 offset1:1
	;; [unrolled: 1-line block ×4, first 2 shown]
	ds_load_2addr_b32 v[10:11], v5 offset0:2 offset1:3
	ds_load_2addr_b32 v[12:13], v5 offset0:4 offset1:5
	;; [unrolled: 1-line block ×3, first 2 shown]
	v_add_nc_u32_e32 v22, 40, v5
	ds_load_2addr_b32 v[16:17], v16 offset1:1
	ds_load_2addr_b32 v[18:19], v18 offset1:1
	ds_load_2addr_b32 v[20:21], v5 offset0:8 offset1:9
	ds_load_2addr_stride64_b32 v[22:23], v22 offset1:22
	s_waitcnt lgkmcnt(6)
	v_add_nc_u32_e32 v3, v10, v3
	v_add_nc_u32_e32 v1, v8, v1
	;; [unrolled: 1-line block ×4, first 2 shown]
	s_waitcnt lgkmcnt(5)
	v_add_nc_u32_e32 v6, v12, v6
	v_add_nc_u32_e32 v7, v13, v7
	s_waitcnt lgkmcnt(3)
	v_add_nc_u32_e32 v8, v14, v16
	v_add_nc_u32_e32 v9, v15, v17
	;; [unrolled: 3-line block ×3, first 2 shown]
	s_waitcnt lgkmcnt(0)
	v_add_nc_u32_e32 v12, v22, v23
	ds_store_2addr_b32 v5, v1, v2 offset1:1
	ds_store_2addr_b32 v5, v3, v4 offset0:2 offset1:3
	ds_store_2addr_b32 v5, v6, v7 offset0:4 offset1:5
	;; [unrolled: 1-line block ×4, first 2 shown]
	ds_store_b32 v5, v12 offset:40
.LBB175_45:
	s_or_b32 exec_lo, exec_lo, s0
	s_delay_alu instid0(SALU_CYCLE_1)
	s_mov_b32 s0, exec_lo
	s_waitcnt lgkmcnt(0)
	s_barrier
	buffer_gl0_inv
	v_cmpx_gt_u32_e32 64, v0
	s_cbranch_execz .LBB175_47
; %bb.46:
	v_add_nc_u32_e32 v1, 0xb00, v5
	v_add_nc_u32_e32 v3, 0xb08, v5
	;; [unrolled: 1-line block ×5, first 2 shown]
	ds_load_2addr_b32 v[1:2], v1 offset1:1
	ds_load_2addr_b32 v[3:4], v3 offset1:1
	ds_load_2addr_b32 v[6:7], v6 offset1:1
	ds_load_2addr_b32 v[8:9], v5 offset1:1
	ds_load_2addr_b32 v[10:11], v5 offset0:2 offset1:3
	ds_load_2addr_b32 v[12:13], v5 offset0:4 offset1:5
	;; [unrolled: 1-line block ×3, first 2 shown]
	v_add_nc_u32_e32 v22, 40, v5
	ds_load_2addr_b32 v[16:17], v16 offset1:1
	ds_load_2addr_b32 v[18:19], v18 offset1:1
	ds_load_2addr_b32 v[20:21], v5 offset0:8 offset1:9
	ds_load_2addr_stride64_b32 v[22:23], v22 offset1:11
	s_waitcnt lgkmcnt(6)
	v_add_nc_u32_e32 v3, v10, v3
	v_add_nc_u32_e32 v1, v8, v1
	;; [unrolled: 1-line block ×4, first 2 shown]
	s_waitcnt lgkmcnt(5)
	v_add_nc_u32_e32 v6, v12, v6
	v_add_nc_u32_e32 v7, v13, v7
	s_waitcnt lgkmcnt(3)
	v_add_nc_u32_e32 v8, v14, v16
	v_add_nc_u32_e32 v9, v15, v17
	s_waitcnt lgkmcnt(1)
	v_add_nc_u32_e32 v10, v20, v18
	v_add_nc_u32_e32 v11, v21, v19
	s_waitcnt lgkmcnt(0)
	v_add_nc_u32_e32 v12, v22, v23
	ds_store_2addr_b32 v5, v1, v2 offset1:1
	ds_store_2addr_b32 v5, v3, v4 offset0:2 offset1:3
	ds_store_2addr_b32 v5, v6, v7 offset0:4 offset1:5
	;; [unrolled: 1-line block ×4, first 2 shown]
	ds_store_b32 v5, v12 offset:40
.LBB175_47:
	s_or_b32 exec_lo, exec_lo, s0
	s_delay_alu instid0(SALU_CYCLE_1)
	s_mov_b32 s0, exec_lo
	s_waitcnt lgkmcnt(0)
	s_barrier
	buffer_gl0_inv
	v_cmpx_gt_u32_e32 32, v0
	s_cbranch_execz .LBB175_49
; %bb.48:
	v_add_nc_u32_e32 v6, 0x580, v5
	v_add_nc_u32_e32 v8, 0x588, v5
	ds_load_2addr_b32 v[1:2], v5 offset1:1
	ds_load_2addr_b32 v[3:4], v5 offset0:2 offset1:3
	v_add_nc_u32_e32 v10, 0x590, v5
	v_add_nc_u32_e32 v16, 0x598, v5
	ds_load_2addr_b32 v[6:7], v6 offset1:1
	v_add_nc_u32_e32 v18, 0x5a0, v5
	ds_load_2addr_b32 v[8:9], v8 offset1:1
	ds_load_2addr_b32 v[10:11], v10 offset1:1
	ds_load_2addr_b32 v[12:13], v5 offset0:4 offset1:5
	ds_load_2addr_b32 v[14:15], v5 offset0:6 offset1:7
	ds_load_2addr_b32 v[16:17], v16 offset1:1
	ds_load_2addr_b32 v[18:19], v18 offset1:1
	ds_load_2addr_b32 v[20:21], v5 offset0:8 offset1:9
	ds_load_b32 v22, v5 offset:1448
	ds_load_b32 v23, v5 offset:40
	s_waitcnt lgkmcnt(8)
	v_add_nc_u32_e32 v3, v3, v8
	v_add_nc_u32_e32 v4, v4, v9
	s_waitcnt lgkmcnt(4)
	v_add_nc_u32_e32 v8, v14, v16
	v_add_nc_u32_e32 v1, v1, v6
	;; [unrolled: 1-line block ×6, first 2 shown]
	s_waitcnt lgkmcnt(2)
	v_add_nc_u32_e32 v10, v20, v18
	v_add_nc_u32_e32 v11, v21, v19
	s_waitcnt lgkmcnt(0)
	v_add_nc_u32_e32 v12, v23, v22
	ds_store_2addr_b32 v5, v1, v2 offset1:1
	ds_store_2addr_b32 v5, v3, v4 offset0:2 offset1:3
	ds_store_2addr_b32 v5, v6, v7 offset0:4 offset1:5
	;; [unrolled: 1-line block ×4, first 2 shown]
	ds_store_b32 v5, v12 offset:40
.LBB175_49:
	s_or_b32 exec_lo, exec_lo, s0
	s_delay_alu instid0(SALU_CYCLE_1)
	s_mov_b32 s0, exec_lo
	s_waitcnt lgkmcnt(0)
	s_barrier
	buffer_gl0_inv
	v_cmpx_gt_u32_e32 16, v0
	s_cbranch_execz .LBB175_51
; %bb.50:
	ds_load_2addr_b32 v[1:2], v5 offset0:176 offset1:177
	ds_load_2addr_b32 v[3:4], v5 offset1:1
	ds_load_2addr_b32 v[6:7], v5 offset0:2 offset1:3
	ds_load_2addr_b32 v[8:9], v5 offset0:178 offset1:179
	ds_load_2addr_b32 v[10:11], v5 offset0:180 offset1:181
	ds_load_2addr_b32 v[12:13], v5 offset0:4 offset1:5
	ds_load_2addr_b32 v[14:15], v5 offset0:6 offset1:7
	ds_load_2addr_b32 v[16:17], v5 offset0:182 offset1:183
	ds_load_2addr_b32 v[18:19], v5 offset0:184 offset1:185
	ds_load_2addr_b32 v[20:21], v5 offset0:8 offset1:9
	ds_load_2addr_b32 v[22:23], v5 offset0:10 offset1:186
	s_waitcnt lgkmcnt(9)
	v_add_nc_u32_e32 v1, v3, v1
	v_add_nc_u32_e32 v2, v4, v2
	s_waitcnt lgkmcnt(7)
	v_add_nc_u32_e32 v3, v6, v8
	v_add_nc_u32_e32 v4, v7, v9
	s_waitcnt lgkmcnt(5)
	v_add_nc_u32_e32 v6, v12, v10
	v_add_nc_u32_e32 v7, v13, v11
	s_waitcnt lgkmcnt(3)
	v_add_nc_u32_e32 v8, v14, v16
	v_add_nc_u32_e32 v9, v15, v17
	s_waitcnt lgkmcnt(1)
	v_add_nc_u32_e32 v10, v20, v18
	v_add_nc_u32_e32 v11, v21, v19
	s_waitcnt lgkmcnt(0)
	v_add_nc_u32_e32 v12, v22, v23
	ds_store_2addr_b32 v5, v1, v2 offset1:1
	ds_store_2addr_b32 v5, v3, v4 offset0:2 offset1:3
	ds_store_2addr_b32 v5, v6, v7 offset0:4 offset1:5
	ds_store_2addr_b32 v5, v8, v9 offset0:6 offset1:7
	ds_store_2addr_b32 v5, v10, v11 offset0:8 offset1:9
	ds_store_b32 v5, v12 offset:40
.LBB175_51:
	s_or_b32 exec_lo, exec_lo, s0
	s_delay_alu instid0(SALU_CYCLE_1)
	s_mov_b32 s0, exec_lo
	s_waitcnt lgkmcnt(0)
	s_barrier
	buffer_gl0_inv
	v_cmpx_gt_u32_e32 8, v0
	s_cbranch_execz .LBB175_53
; %bb.52:
	ds_load_2addr_b32 v[1:2], v5 offset0:88 offset1:89
	ds_load_2addr_b32 v[3:4], v5 offset1:1
	ds_load_2addr_b32 v[6:7], v5 offset0:2 offset1:3
	ds_load_2addr_b32 v[8:9], v5 offset0:90 offset1:91
	ds_load_2addr_b32 v[10:11], v5 offset0:92 offset1:93
	ds_load_2addr_b32 v[12:13], v5 offset0:4 offset1:5
	ds_load_2addr_b32 v[14:15], v5 offset0:6 offset1:7
	ds_load_2addr_b32 v[16:17], v5 offset0:94 offset1:95
	ds_load_2addr_b32 v[18:19], v5 offset0:96 offset1:97
	ds_load_2addr_b32 v[20:21], v5 offset0:8 offset1:9
	ds_load_2addr_b32 v[22:23], v5 offset0:10 offset1:98
	s_waitcnt lgkmcnt(9)
	v_add_nc_u32_e32 v1, v3, v1
	v_add_nc_u32_e32 v2, v4, v2
	s_waitcnt lgkmcnt(7)
	v_add_nc_u32_e32 v3, v6, v8
	v_add_nc_u32_e32 v4, v7, v9
	s_waitcnt lgkmcnt(5)
	v_add_nc_u32_e32 v6, v12, v10
	v_add_nc_u32_e32 v7, v13, v11
	s_waitcnt lgkmcnt(3)
	v_add_nc_u32_e32 v8, v14, v16
	v_add_nc_u32_e32 v9, v15, v17
	s_waitcnt lgkmcnt(1)
	v_add_nc_u32_e32 v10, v20, v18
	v_add_nc_u32_e32 v11, v21, v19
	s_waitcnt lgkmcnt(0)
	v_add_nc_u32_e32 v12, v22, v23
	ds_store_2addr_b32 v5, v1, v2 offset1:1
	ds_store_2addr_b32 v5, v3, v4 offset0:2 offset1:3
	ds_store_2addr_b32 v5, v6, v7 offset0:4 offset1:5
	ds_store_2addr_b32 v5, v8, v9 offset0:6 offset1:7
	ds_store_2addr_b32 v5, v10, v11 offset0:8 offset1:9
	ds_store_b32 v5, v12 offset:40
.LBB175_53:
	;; [unrolled: 44-line block ×4, first 2 shown]
	s_or_b32 exec_lo, exec_lo, s0
	s_delay_alu instid0(SALU_CYCLE_1)
	s_mov_b32 s0, exec_lo
	s_waitcnt lgkmcnt(0)
	s_barrier
	buffer_gl0_inv
	v_cmpx_eq_u32_e32 0, v0
	s_cbranch_execz .LBB175_59
; %bb.58:
	v_mov_b32_e32 v23, 0
	ds_load_b128 v[1:4], v23
	ds_load_b128 v[5:8], v23 offset:32
	ds_load_b128 v[9:12], v23 offset:48
	;; [unrolled: 1-line block ×4, first 2 shown]
	ds_load_b64 v[21:22], v23 offset:80
	s_waitcnt lgkmcnt(4)
	v_add_nc_u32_e32 v1, v1, v8
	s_waitcnt lgkmcnt(3)
	v_add_nc_u32_e32 v2, v2, v9
	v_add_nc_u32_e32 v3, v3, v10
	;; [unrolled: 1-line block ×3, first 2 shown]
	s_waitcnt lgkmcnt(2)
	v_add_nc_u32_e32 v8, v13, v12
	s_waitcnt lgkmcnt(1)
	v_add_nc_u32_e32 v9, v14, v17
	v_add_nc_u32_e32 v10, v15, v18
	;; [unrolled: 1-line block ×4, first 2 shown]
	s_waitcnt lgkmcnt(0)
	v_add_nc_u32_e32 v6, v6, v21
	v_add_nc_u32_e32 v7, v7, v22
	ds_store_b128 v23, v[1:4]
	ds_store_b128 v23, v[8:11] offset:16
	ds_store_b96 v23, v[5:7] offset:32
.LBB175_59:
	s_or_b32 exec_lo, exec_lo, s0
	s_waitcnt lgkmcnt(0)
	s_barrier
	buffer_gl0_inv
	s_mov_b32 s0, exec_lo
	v_cmpx_gt_u32_e32 11, v0
	s_cbranch_execz .LBB175_61
; %bb.60:
	v_lshlrev_b32_e32 v3, 2, v0
	v_mad_u64_u32 v[1:2], null, s15, 11, v[0:1]
	v_mov_b32_e32 v2, 0
	ds_load_b32 v3, v3
	v_lshlrev_b64 v[0:1], 2, v[1:2]
	s_delay_alu instid0(VALU_DEP_1) | instskip(NEXT) | instid1(VALU_DEP_2)
	v_add_co_u32 v0, vcc_lo, s2, v0
	v_add_co_ci_u32_e32 v1, vcc_lo, s3, v1, vcc_lo
	s_waitcnt lgkmcnt(0)
	global_store_b32 v[0:1], v3, off
.LBB175_61:
	s_nop 0
	s_sendmsg sendmsg(MSG_DEALLOC_VGPRS)
	s_endpgm
	.section	.rodata,"a",@progbits
	.p2align	6, 0x0
	.amdhsa_kernel _ZN9rocsparseL26csrgemm_group_reduce_part2ILj256ELj11EfliEEvT3_PKT2_PS1_Pij
		.amdhsa_group_segment_fixed_size 11264
		.amdhsa_private_segment_fixed_size 0
		.amdhsa_kernarg_size 296
		.amdhsa_user_sgpr_count 15
		.amdhsa_user_sgpr_dispatch_ptr 0
		.amdhsa_user_sgpr_queue_ptr 0
		.amdhsa_user_sgpr_kernarg_segment_ptr 1
		.amdhsa_user_sgpr_dispatch_id 0
		.amdhsa_user_sgpr_private_segment_size 0
		.amdhsa_wavefront_size32 1
		.amdhsa_uses_dynamic_stack 0
		.amdhsa_enable_private_segment 0
		.amdhsa_system_sgpr_workgroup_id_x 1
		.amdhsa_system_sgpr_workgroup_id_y 0
		.amdhsa_system_sgpr_workgroup_id_z 0
		.amdhsa_system_sgpr_workgroup_info 0
		.amdhsa_system_vgpr_workitem_id 0
		.amdhsa_next_free_vgpr 24
		.amdhsa_next_free_sgpr 26
		.amdhsa_reserve_vcc 1
		.amdhsa_float_round_mode_32 0
		.amdhsa_float_round_mode_16_64 0
		.amdhsa_float_denorm_mode_32 3
		.amdhsa_float_denorm_mode_16_64 3
		.amdhsa_dx10_clamp 1
		.amdhsa_ieee_mode 1
		.amdhsa_fp16_overflow 0
		.amdhsa_workgroup_processor_mode 1
		.amdhsa_memory_ordered 1
		.amdhsa_forward_progress 0
		.amdhsa_shared_vgpr_count 0
		.amdhsa_exception_fp_ieee_invalid_op 0
		.amdhsa_exception_fp_denorm_src 0
		.amdhsa_exception_fp_ieee_div_zero 0
		.amdhsa_exception_fp_ieee_overflow 0
		.amdhsa_exception_fp_ieee_underflow 0
		.amdhsa_exception_fp_ieee_inexact 0
		.amdhsa_exception_int_div_zero 0
	.end_amdhsa_kernel
	.section	.text._ZN9rocsparseL26csrgemm_group_reduce_part2ILj256ELj11EfliEEvT3_PKT2_PS1_Pij,"axG",@progbits,_ZN9rocsparseL26csrgemm_group_reduce_part2ILj256ELj11EfliEEvT3_PKT2_PS1_Pij,comdat
.Lfunc_end175:
	.size	_ZN9rocsparseL26csrgemm_group_reduce_part2ILj256ELj11EfliEEvT3_PKT2_PS1_Pij, .Lfunc_end175-_ZN9rocsparseL26csrgemm_group_reduce_part2ILj256ELj11EfliEEvT3_PKT2_PS1_Pij
                                        ; -- End function
	.section	.AMDGPU.csdata,"",@progbits
; Kernel info:
; codeLenInByte = 3416
; NumSgprs: 28
; NumVgprs: 24
; ScratchSize: 0
; MemoryBound: 0
; FloatMode: 240
; IeeeMode: 1
; LDSByteSize: 11264 bytes/workgroup (compile time only)
; SGPRBlocks: 3
; VGPRBlocks: 2
; NumSGPRsForWavesPerEU: 28
; NumVGPRsForWavesPerEU: 24
; Occupancy: 16
; WaveLimiterHint : 0
; COMPUTE_PGM_RSRC2:SCRATCH_EN: 0
; COMPUTE_PGM_RSRC2:USER_SGPR: 15
; COMPUTE_PGM_RSRC2:TRAP_HANDLER: 0
; COMPUTE_PGM_RSRC2:TGID_X_EN: 1
; COMPUTE_PGM_RSRC2:TGID_Y_EN: 0
; COMPUTE_PGM_RSRC2:TGID_Z_EN: 0
; COMPUTE_PGM_RSRC2:TIDIG_COMP_CNT: 0
	.section	.text._ZN9rocsparseL23csrgemm_fill_wf_per_rowILj256ELj8ELj16ELj137ElifEEvT4_S1_PKS1_S3_NS_24const_host_device_scalarIT5_EEPKT3_S3_PKS5_S9_S3_SB_S6_S9_S3_SB_S9_PS1_PS5_21rocsparse_index_base_SE_SE_SE_bbb,"axG",@progbits,_ZN9rocsparseL23csrgemm_fill_wf_per_rowILj256ELj8ELj16ELj137ElifEEvT4_S1_PKS1_S3_NS_24const_host_device_scalarIT5_EEPKT3_S3_PKS5_S9_S3_SB_S6_S9_S3_SB_S9_PS1_PS5_21rocsparse_index_base_SE_SE_SE_bbb,comdat
	.globl	_ZN9rocsparseL23csrgemm_fill_wf_per_rowILj256ELj8ELj16ELj137ElifEEvT4_S1_PKS1_S3_NS_24const_host_device_scalarIT5_EEPKT3_S3_PKS5_S9_S3_SB_S6_S9_S3_SB_S9_PS1_PS5_21rocsparse_index_base_SE_SE_SE_bbb ; -- Begin function _ZN9rocsparseL23csrgemm_fill_wf_per_rowILj256ELj8ELj16ELj137ElifEEvT4_S1_PKS1_S3_NS_24const_host_device_scalarIT5_EEPKT3_S3_PKS5_S9_S3_SB_S6_S9_S3_SB_S9_PS1_PS5_21rocsparse_index_base_SE_SE_SE_bbb
	.p2align	8
	.type	_ZN9rocsparseL23csrgemm_fill_wf_per_rowILj256ELj8ELj16ELj137ElifEEvT4_S1_PKS1_S3_NS_24const_host_device_scalarIT5_EEPKT3_S3_PKS5_S9_S3_SB_S6_S9_S3_SB_S9_PS1_PS5_21rocsparse_index_base_SE_SE_SE_bbb,@function
_ZN9rocsparseL23csrgemm_fill_wf_per_rowILj256ELj8ELj16ELj137ElifEEvT4_S1_PKS1_S3_NS_24const_host_device_scalarIT5_EEPKT3_S3_PKS5_S9_S3_SB_S6_S9_S3_SB_S9_PS1_PS5_21rocsparse_index_base_SE_SE_SE_bbb: ; @_ZN9rocsparseL23csrgemm_fill_wf_per_rowILj256ELj8ELj16ELj137ElifEEvT4_S1_PKS1_S3_NS_24const_host_device_scalarIT5_EEPKT3_S3_PKS5_S9_S3_SB_S6_S9_S3_SB_S9_PS1_PS5_21rocsparse_index_base_SE_SE_SE_bbb
; %bb.0:
	s_clause 0x3
	s_load_b32 s12, s[0:1], 0x98
	s_load_b128 s[24:27], s[0:1], 0x88
	s_load_b64 s[4:5], s[0:1], 0x18
	s_load_b64 s[2:3], s[0:1], 0x50
	s_waitcnt lgkmcnt(0)
	s_bitcmp1_b32 s12, 0
	s_cselect_b32 s13, -1, 0
	s_bitcmp1_b32 s12, 16
	s_cselect_b32 s14, -1, 0
	s_xor_b32 s6, s13, -1
	s_delay_alu instid0(SALU_CYCLE_1) | instskip(NEXT) | instid1(SALU_CYCLE_1)
	s_or_b32 s6, s6, s14
	s_and_b32 vcc_lo, exec_lo, s6
	s_cbranch_vccnz .LBB176_2
; %bb.1:
	s_load_b32 s4, s[4:5], 0x0
	s_waitcnt lgkmcnt(0)
	v_mov_b32_e32 v17, s4
	s_branch .LBB176_3
.LBB176_2:
	v_cndmask_b32_e64 v17, 0, s4, s13
.LBB176_3:
	s_clause 0x4
	s_load_b128 s[28:31], s[0:1], 0x78
	s_load_b256 s[4:11], s[0:1], 0x58
	s_load_b128 s[36:39], s[0:1], 0x40
	s_load_b128 s[40:43], s[0:1], 0x8
	s_load_b256 s[16:23], s[0:1], 0x20
	s_bitcmp1_b32 s12, 8
	s_cselect_b32 s12, -1, 0
	s_delay_alu instid0(SALU_CYCLE_1) | instskip(NEXT) | instid1(SALU_CYCLE_1)
	s_xor_b32 s33, s12, -1
	s_or_b32 s14, s33, s14
	s_delay_alu instid0(SALU_CYCLE_1)
	s_and_b32 vcc_lo, exec_lo, s14
	s_cbranch_vccnz .LBB176_5
; %bb.4:
	s_load_b32 s2, s[2:3], 0x0
	s_waitcnt lgkmcnt(0)
	v_mov_b32_e32 v15, s2
	s_branch .LBB176_6
.LBB176_5:
	v_cndmask_b32_e64 v15, 0, s2, s12
.LBB176_6:
	s_load_b64 s[0:1], s[0:1], 0x0
	v_and_b32_e32 v18, 7, v0
	v_lshrrev_b32_e32 v2, 3, v0
	s_mov_b32 s2, 0
	s_waitcnt lgkmcnt(0)
	s_delay_alu instid0(VALU_DEP_2) | instskip(NEXT) | instid1(VALU_DEP_1)
	v_dual_mov_b32 v3, s1 :: v_dual_lshlrev_b32 v0, 2, v18
	v_lshl_or_b32 v12, v2, 6, v0
	s_delay_alu instid0(VALU_DEP_1) | instskip(SKIP_1) | instid1(VALU_DEP_1)
	v_dual_mov_b32 v0, 0 :: v_dual_mov_b32 v1, v12
	v_or_b32_e32 v13, -8, v18
	v_mov_b32_e32 v4, v13
.LBB176_7:                              ; =>This Inner Loop Header: Depth=1
	s_delay_alu instid0(VALU_DEP_1) | instskip(NEXT) | instid1(VALU_DEP_1)
	v_add_co_u32 v4, s3, v4, 8
	s_xor_b32 s3, s3, -1
	ds_store_2addr_stride64_b32 v1, v0, v3 offset1:8
	v_add_nc_u32_e32 v1, 32, v1
	s_and_b32 s3, exec_lo, s3
	s_delay_alu instid0(SALU_CYCLE_1) | instskip(NEXT) | instid1(SALU_CYCLE_1)
	s_or_b32 s2, s3, s2
	s_and_not1_b32 exec_lo, exec_lo, s2
	s_cbranch_execnz .LBB176_7
; %bb.8:
	s_or_b32 exec_lo, exec_lo, s2
	s_lshl_b32 s2, s15, 5
	s_waitcnt lgkmcnt(0)
	buffer_gl0_inv
	v_and_or_b32 v0, 0x1fffffe0, s2, v2
	s_delay_alu instid0(VALU_DEP_1)
	v_cmp_gt_i32_e32 vcc_lo, s0, v0
	s_and_saveexec_b32 s0, vcc_lo
	s_cbranch_execz .LBB176_51
; %bb.9:
	s_cmp_eq_u64 s[42:43], 0
	s_cbranch_scc1 .LBB176_11
; %bb.10:
	s_load_b32 s0, s[40:41], 0x0
	s_waitcnt lgkmcnt(0)
	v_add_nc_u32_e32 v0, s0, v0
	s_delay_alu instid0(VALU_DEP_1) | instskip(NEXT) | instid1(VALU_DEP_1)
	v_ashrrev_i32_e32 v1, 31, v0
	v_lshlrev_b64 v[0:1], 2, v[0:1]
	s_delay_alu instid0(VALU_DEP_1) | instskip(NEXT) | instid1(VALU_DEP_2)
	v_add_co_u32 v0, vcc_lo, s42, v0
	v_add_co_ci_u32_e32 v1, vcc_lo, s43, v1, vcc_lo
	global_load_b32 v0, v[0:1], off
.LBB176_11:
	s_waitcnt vmcnt(0)
	v_ashrrev_i32_e32 v1, 31, v0
	v_lshlrev_b32_e32 v16, 6, v2
	s_and_not1_b32 vcc_lo, exec_lo, s13
	s_delay_alu instid0(VALU_DEP_2) | instskip(NEXT) | instid1(VALU_DEP_2)
	v_lshlrev_b64 v[4:5], 3, v[0:1]
	v_or_b32_e32 v14, 0x800, v16
	s_cbranch_vccnz .LBB176_31
; %bb.12:
	s_delay_alu instid0(VALU_DEP_2) | instskip(NEXT) | instid1(VALU_DEP_3)
	v_add_co_u32 v0, vcc_lo, s16, v4
	v_add_co_ci_u32_e32 v1, vcc_lo, s17, v5, vcc_lo
	v_sub_co_u32 v8, s0, v18, s24
	s_delay_alu instid0(VALU_DEP_1)
	v_sub_co_ci_u32_e64 v9, null, 0, 0, s0
	global_load_b128 v[0:3], v[0:1], off
	s_mov_b32 s2, 0
	s_mov_b32 s0, exec_lo
	s_waitcnt vmcnt(0)
	v_sub_co_u32 v6, vcc_lo, v2, s24
	v_subrev_co_ci_u32_e32 v7, vcc_lo, 0, v3, vcc_lo
	v_add_co_u32 v8, vcc_lo, v0, v8
	v_add_co_ci_u32_e32 v9, vcc_lo, v1, v9, vcc_lo
	s_delay_alu instid0(VALU_DEP_1)
	v_cmpx_lt_i64_e64 v[8:9], v[6:7]
	s_cbranch_execz .LBB176_30
; %bb.13:
	s_mov_b32 s3, s25
	s_branch .LBB176_15
.LBB176_14:                             ;   in Loop: Header=BB176_15 Depth=1
	s_or_b32 exec_lo, exec_lo, s13
	v_add_co_u32 v8, vcc_lo, v8, 8
	v_add_co_ci_u32_e32 v9, vcc_lo, 0, v9, vcc_lo
	s_delay_alu instid0(VALU_DEP_1) | instskip(SKIP_1) | instid1(SALU_CYCLE_1)
	v_cmp_ge_i64_e32 vcc_lo, v[8:9], v[6:7]
	s_or_b32 s2, vcc_lo, s2
	s_and_not1_b32 exec_lo, exec_lo, s2
	s_cbranch_execz .LBB176_30
.LBB176_15:                             ; =>This Loop Header: Depth=1
                                        ;     Child Loop BB176_18 Depth 2
                                        ;       Child Loop BB176_20 Depth 3
	v_lshlrev_b64 v[10:11], 2, v[8:9]
	s_mov_b32 s13, exec_lo
	s_delay_alu instid0(VALU_DEP_1) | instskip(NEXT) | instid1(VALU_DEP_2)
	v_add_co_u32 v0, vcc_lo, s18, v10
	v_add_co_ci_u32_e32 v1, vcc_lo, s19, v11, vcc_lo
	global_load_b32 v0, v[0:1], off
	s_waitcnt vmcnt(0)
	v_subrev_nc_u32_e32 v0, s24, v0
	s_delay_alu instid0(VALU_DEP_1) | instskip(NEXT) | instid1(VALU_DEP_1)
	v_ashrrev_i32_e32 v1, 31, v0
	v_lshlrev_b64 v[0:1], 3, v[0:1]
	s_delay_alu instid0(VALU_DEP_1) | instskip(NEXT) | instid1(VALU_DEP_2)
	v_add_co_u32 v0, vcc_lo, s22, v0
	v_add_co_ci_u32_e32 v1, vcc_lo, s23, v1, vcc_lo
	global_load_b128 v[0:3], v[0:1], off
	s_waitcnt vmcnt(0)
	v_cmpx_lt_i64_e64 v[0:1], v[2:3]
	s_cbranch_execz .LBB176_14
; %bb.16:                               ;   in Loop: Header=BB176_15 Depth=1
	v_add_co_u32 v10, vcc_lo, s20, v10
	v_add_co_ci_u32_e32 v11, vcc_lo, s21, v11, vcc_lo
	v_sub_co_u32 v2, vcc_lo, v2, s3
	v_subrev_co_ci_u32_e32 v3, vcc_lo, 0, v3, vcc_lo
	global_load_b32 v10, v[10:11], off
	v_sub_co_u32 v0, vcc_lo, v0, s3
	v_subrev_co_ci_u32_e32 v1, vcc_lo, 0, v1, vcc_lo
	s_mov_b32 s14, 0
	s_waitcnt vmcnt(0)
	v_mul_f32_e32 v10, v17, v10
	s_branch .LBB176_18
.LBB176_17:                             ;   in Loop: Header=BB176_18 Depth=2
	s_or_b32 exec_lo, exec_lo, s15
	v_add_co_u32 v0, vcc_lo, v0, 1
	v_add_co_ci_u32_e32 v1, vcc_lo, 0, v1, vcc_lo
	s_delay_alu instid0(VALU_DEP_1) | instskip(SKIP_1) | instid1(SALU_CYCLE_1)
	v_cmp_ge_i64_e32 vcc_lo, v[0:1], v[2:3]
	s_or_b32 s14, vcc_lo, s14
	s_and_not1_b32 exec_lo, exec_lo, s14
	s_cbranch_execz .LBB176_14
.LBB176_18:                             ;   Parent Loop BB176_15 Depth=1
                                        ; =>  This Loop Header: Depth=2
                                        ;       Child Loop BB176_20 Depth 3
	v_lshlrev_b64 v[19:20], 2, v[0:1]
	s_mov_b32 s15, 0
	s_delay_alu instid0(VALU_DEP_1) | instskip(NEXT) | instid1(VALU_DEP_2)
	v_add_co_u32 v21, vcc_lo, s36, v19
	v_add_co_ci_u32_e32 v22, vcc_lo, s37, v20, vcc_lo
	v_add_co_u32 v19, vcc_lo, s38, v19
	v_add_co_ci_u32_e32 v20, vcc_lo, s39, v20, vcc_lo
	global_load_b32 v11, v[21:22], off
	global_load_b32 v19, v[19:20], off
	s_waitcnt vmcnt(1)
	v_subrev_nc_u32_e32 v11, s25, v11
	s_delay_alu instid0(VALU_DEP_1) | instskip(SKIP_1) | instid1(VALU_DEP_1)
	v_lshl_add_u32 v20, v11, 3, v11
	s_waitcnt vmcnt(0)
	v_dual_mul_f32 v19, v10, v19 :: v_dual_and_b32 v20, 15, v20
	s_branch .LBB176_20
.LBB176_19:                             ;   in Loop: Header=BB176_20 Depth=3
	s_or_b32 exec_lo, exec_lo, s16
	s_xor_b32 s16, s17, -1
	s_delay_alu instid0(SALU_CYCLE_1) | instskip(NEXT) | instid1(SALU_CYCLE_1)
	s_and_b32 s16, exec_lo, s16
	s_or_b32 s15, s16, s15
	s_delay_alu instid0(SALU_CYCLE_1)
	s_and_not1_b32 exec_lo, exec_lo, s15
	s_cbranch_execz .LBB176_17
.LBB176_20:                             ;   Parent Loop BB176_15 Depth=1
                                        ;     Parent Loop BB176_18 Depth=2
                                        ; =>    This Inner Loop Header: Depth=3
	s_delay_alu instid0(VALU_DEP_1)
	v_lshl_add_u32 v21, v20, 2, v14
	s_mov_b32 s16, exec_lo
                                        ; implicit-def: $sgpr17
	ds_load_b32 v22, v21
	s_waitcnt lgkmcnt(0)
	v_cmpx_ne_u32_e64 v22, v11
	s_xor_b32 s16, exec_lo, s16
	s_cbranch_execz .LBB176_28
; %bb.21:                               ;   in Loop: Header=BB176_20 Depth=3
	s_mov_b32 s33, exec_lo
                                        ; implicit-def: $sgpr17
	v_cmpx_ne_u32_e64 s1, v22
	s_xor_b32 s33, exec_lo, s33
; %bb.22:                               ;   in Loop: Header=BB176_20 Depth=3
	v_add_nc_u32_e32 v20, 1, v20
	s_mov_b32 s17, -1
                                        ; implicit-def: $vgpr21
	s_delay_alu instid0(VALU_DEP_1)
	v_and_b32_e32 v20, 15, v20
; %bb.23:                               ;   in Loop: Header=BB176_20 Depth=3
	s_and_not1_saveexec_b32 s33, s33
	s_cbranch_execz .LBB176_27
; %bb.24:                               ;   in Loop: Header=BB176_20 Depth=3
	v_mov_b32_e32 v22, s1
	s_mov_b32 s34, -1
	s_mov_b32 s35, exec_lo
	ds_cmpstore_rtn_b32 v21, v21, v11, v22
	s_waitcnt lgkmcnt(0)
	v_cmpx_eq_u32_e64 s1, v21
	s_cbranch_execz .LBB176_26
; %bb.25:                               ;   in Loop: Header=BB176_20 Depth=3
	v_lshl_add_u32 v21, v20, 2, v16
	s_xor_b32 s34, exec_lo, -1
	ds_add_f32 v21, v19
.LBB176_26:                             ;   in Loop: Header=BB176_20 Depth=3
	s_or_b32 exec_lo, exec_lo, s35
	s_delay_alu instid0(SALU_CYCLE_1) | instskip(SKIP_1) | instid1(SALU_CYCLE_1)
	s_and_not1_b32 s17, s17, exec_lo
	s_and_b32 s34, s34, exec_lo
	s_or_b32 s17, s17, s34
.LBB176_27:                             ;   in Loop: Header=BB176_20 Depth=3
	s_or_b32 exec_lo, exec_lo, s33
	s_delay_alu instid0(SALU_CYCLE_1)
	s_and_b32 s17, s17, exec_lo
.LBB176_28:                             ;   in Loop: Header=BB176_20 Depth=3
	s_and_not1_saveexec_b32 s16, s16
	s_cbranch_execz .LBB176_19
; %bb.29:                               ;   in Loop: Header=BB176_20 Depth=3
	v_lshl_add_u32 v21, v20, 2, v16
	s_and_not1_b32 s17, s17, exec_lo
	ds_add_f32 v21, v19
	s_branch .LBB176_19
.LBB176_30:
	s_or_b32 exec_lo, exec_lo, s0
.LBB176_31:
	s_delay_alu instid0(SALU_CYCLE_1)
	s_and_not1_b32 vcc_lo, exec_lo, s12
	s_cbranch_vccnz .LBB176_34
; %bb.32:
	s_delay_alu instid0(VALU_DEP_2) | instskip(SKIP_2) | instid1(VALU_DEP_1)
	v_add_co_u32 v0, vcc_lo, s4, v4
	v_add_co_ci_u32_e32 v1, vcc_lo, s5, v5, vcc_lo
	v_sub_co_u32 v2, s0, v18, s27
	v_sub_co_ci_u32_e64 v3, null, 0, 0, s0
	global_load_b128 v[6:9], v[0:1], off
	s_mov_b32 s2, 0
	s_mov_b32 s0, exec_lo
	s_waitcnt vmcnt(0)
	v_sub_co_u32 v0, vcc_lo, v8, s27
	v_subrev_co_ci_u32_e32 v1, vcc_lo, 0, v9, vcc_lo
	v_add_co_u32 v2, vcc_lo, v6, v2
	v_add_co_ci_u32_e32 v3, vcc_lo, v7, v3, vcc_lo
	s_delay_alu instid0(VALU_DEP_1)
	v_cmpx_lt_i64_e64 v[2:3], v[0:1]
	s_cbranch_execnz .LBB176_39
.LBB176_33:
	s_or_b32 exec_lo, exec_lo, s0
.LBB176_34:
	s_delay_alu instid0(VALU_DEP_2)
	v_add_co_u32 v0, vcc_lo, s10, v4
	v_add_co_ci_u32_e32 v1, vcc_lo, s11, v5, vcc_lo
	s_waitcnt lgkmcnt(0)
	buffer_gl0_inv
	s_mov_b32 s0, 0
	global_load_b64 v[0:1], v[0:1], off
	s_waitcnt vmcnt(0)
	v_sub_co_u32 v0, vcc_lo, v0, s26
	v_subrev_co_ci_u32_e32 v1, vcc_lo, 0, v1, vcc_lo
	s_branch .LBB176_36
.LBB176_35:                             ;   in Loop: Header=BB176_36 Depth=1
	s_or_b32 exec_lo, exec_lo, s2
	v_add_co_u32 v13, s2, v13, 8
	s_delay_alu instid0(VALU_DEP_1) | instskip(SKIP_2) | instid1(SALU_CYCLE_1)
	s_xor_b32 s2, s2, -1
	v_add_nc_u32_e32 v12, 32, v12
	s_and_b32 s2, exec_lo, s2
	s_or_b32 s0, s2, s0
	s_delay_alu instid0(SALU_CYCLE_1)
	s_and_not1_b32 exec_lo, exec_lo, s0
	s_cbranch_execz .LBB176_51
.LBB176_36:                             ; =>This Inner Loop Header: Depth=1
	ds_load_b32 v2, v12 offset:2048
	s_mov_b32 s2, exec_lo
	s_waitcnt lgkmcnt(0)
	v_cmpx_gt_i32_e64 s1, v2
	s_cbranch_execz .LBB176_35
; %bb.37:                               ;   in Loop: Header=BB176_36 Depth=1
	ds_load_b128 v[3:6], v14
	ds_load_b128 v[7:10], v14 offset:16
	ds_load_b128 v[15:18], v14 offset:32
	;; [unrolled: 1-line block ×3, first 2 shown]
	s_waitcnt lgkmcnt(3)
	v_cmp_gt_i32_e32 vcc_lo, v2, v3
	v_cndmask_b32_e64 v3, 0, 1, vcc_lo
	v_cmp_gt_i32_e32 vcc_lo, v2, v4
	v_cndmask_b32_e64 v4, 0, 1, vcc_lo
	s_delay_alu instid0(VALU_DEP_3) | instskip(SKIP_3) | instid1(VALU_DEP_4)
	v_add_co_u32 v3, vcc_lo, v0, v3
	v_add_co_ci_u32_e32 v11, vcc_lo, 0, v1, vcc_lo
	v_cmp_gt_i32_e32 vcc_lo, v2, v5
	v_cndmask_b32_e64 v5, 0, 1, vcc_lo
	v_add_co_u32 v3, vcc_lo, v3, v4
	s_delay_alu instid0(VALU_DEP_4) | instskip(SKIP_2) | instid1(VALU_DEP_4)
	v_add_co_ci_u32_e32 v4, vcc_lo, 0, v11, vcc_lo
	v_cmp_gt_i32_e32 vcc_lo, v2, v6
	v_cndmask_b32_e64 v6, 0, 1, vcc_lo
	v_add_co_u32 v3, vcc_lo, v3, v5
	s_delay_alu instid0(VALU_DEP_4)
	v_add_co_ci_u32_e32 v4, vcc_lo, 0, v4, vcc_lo
	s_waitcnt lgkmcnt(2)
	v_cmp_gt_i32_e32 vcc_lo, v2, v7
	ds_load_b32 v7, v12
	v_cndmask_b32_e64 v5, 0, 1, vcc_lo
	v_add_co_u32 v3, vcc_lo, v3, v6
	v_add_co_ci_u32_e32 v4, vcc_lo, 0, v4, vcc_lo
	v_cmp_gt_i32_e32 vcc_lo, v2, v8
	v_add_nc_u32_e32 v8, s26, v2
	v_cndmask_b32_e64 v6, 0, 1, vcc_lo
	v_add_co_u32 v3, vcc_lo, v3, v5
	v_add_co_ci_u32_e32 v4, vcc_lo, 0, v4, vcc_lo
	v_cmp_gt_i32_e32 vcc_lo, v2, v9
	v_cndmask_b32_e64 v5, 0, 1, vcc_lo
	s_delay_alu instid0(VALU_DEP_4) | instskip(NEXT) | instid1(VALU_DEP_4)
	v_add_co_u32 v3, vcc_lo, v3, v6
	v_add_co_ci_u32_e32 v4, vcc_lo, 0, v4, vcc_lo
	v_cmp_gt_i32_e32 vcc_lo, v2, v10
	v_cndmask_b32_e64 v6, 0, 1, vcc_lo
	s_delay_alu instid0(VALU_DEP_4) | instskip(NEXT) | instid1(VALU_DEP_4)
	v_add_co_u32 v3, vcc_lo, v3, v5
	v_add_co_ci_u32_e32 v4, vcc_lo, 0, v4, vcc_lo
	s_waitcnt lgkmcnt(2)
	v_cmp_gt_i32_e32 vcc_lo, v2, v15
	v_cndmask_b32_e64 v5, 0, 1, vcc_lo
	v_add_co_u32 v3, vcc_lo, v3, v6
	v_add_co_ci_u32_e32 v4, vcc_lo, 0, v4, vcc_lo
	v_cmp_gt_i32_e32 vcc_lo, v2, v16
	v_cndmask_b32_e64 v6, 0, 1, vcc_lo
	s_delay_alu instid0(VALU_DEP_4) | instskip(NEXT) | instid1(VALU_DEP_4)
	v_add_co_u32 v3, vcc_lo, v3, v5
	v_add_co_ci_u32_e32 v4, vcc_lo, 0, v4, vcc_lo
	v_cmp_gt_i32_e32 vcc_lo, v2, v17
	v_cndmask_b32_e64 v5, 0, 1, vcc_lo
	s_delay_alu instid0(VALU_DEP_4) | instskip(NEXT) | instid1(VALU_DEP_4)
	;; [unrolled: 5-line block ×3, first 2 shown]
	v_add_co_u32 v3, vcc_lo, v3, v5
	v_add_co_ci_u32_e32 v4, vcc_lo, 0, v4, vcc_lo
	s_waitcnt lgkmcnt(1)
	v_cmp_gt_i32_e32 vcc_lo, v2, v19
	v_cndmask_b32_e64 v5, 0, 1, vcc_lo
	v_add_co_u32 v3, vcc_lo, v3, v6
	v_add_co_ci_u32_e32 v4, vcc_lo, 0, v4, vcc_lo
	v_cmp_gt_i32_e32 vcc_lo, v2, v20
	v_cndmask_b32_e64 v6, 0, 1, vcc_lo
	s_delay_alu instid0(VALU_DEP_4) | instskip(NEXT) | instid1(VALU_DEP_4)
	v_add_co_u32 v3, vcc_lo, v3, v5
	v_add_co_ci_u32_e32 v4, vcc_lo, 0, v4, vcc_lo
	v_cmp_gt_i32_e32 vcc_lo, v2, v21
	v_cndmask_b32_e64 v5, 0, 1, vcc_lo
	s_delay_alu instid0(VALU_DEP_4) | instskip(NEXT) | instid1(VALU_DEP_4)
	v_add_co_u32 v3, vcc_lo, v3, v6
	v_add_co_ci_u32_e32 v4, vcc_lo, 0, v4, vcc_lo
	v_cmp_gt_i32_e32 vcc_lo, v2, v22
	v_cndmask_b32_e64 v6, 0, 1, vcc_lo
	s_delay_alu instid0(VALU_DEP_4) | instskip(NEXT) | instid1(VALU_DEP_4)
	v_add_co_u32 v3, vcc_lo, v3, v5
	v_add_co_ci_u32_e32 v4, vcc_lo, 0, v4, vcc_lo
	s_delay_alu instid0(VALU_DEP_2) | instskip(NEXT) | instid1(VALU_DEP_2)
	v_add_co_u32 v3, vcc_lo, v3, v6
	v_add_co_ci_u32_e32 v4, vcc_lo, 0, v4, vcc_lo
	s_delay_alu instid0(VALU_DEP_1) | instskip(NEXT) | instid1(VALU_DEP_1)
	v_lshlrev_b64 v[3:4], 2, v[3:4]
	v_add_co_u32 v5, vcc_lo, s28, v3
	s_delay_alu instid0(VALU_DEP_2)
	v_add_co_ci_u32_e32 v6, vcc_lo, s29, v4, vcc_lo
	v_add_co_u32 v2, vcc_lo, s30, v3
	v_add_co_ci_u32_e32 v3, vcc_lo, s31, v4, vcc_lo
	global_store_b32 v[5:6], v8, off
	s_waitcnt lgkmcnt(0)
	global_store_b32 v[2:3], v7, off
	s_branch .LBB176_35
.LBB176_38:                             ;   in Loop: Header=BB176_39 Depth=1
	s_or_b32 exec_lo, exec_lo, s3
	v_add_co_u32 v2, vcc_lo, v2, 8
	v_add_co_ci_u32_e32 v3, vcc_lo, 0, v3, vcc_lo
	s_delay_alu instid0(VALU_DEP_1) | instskip(SKIP_1) | instid1(SALU_CYCLE_1)
	v_cmp_ge_i64_e32 vcc_lo, v[2:3], v[0:1]
	s_or_b32 s2, vcc_lo, s2
	s_and_not1_b32 exec_lo, exec_lo, s2
	s_cbranch_execz .LBB176_33
.LBB176_39:                             ; =>This Loop Header: Depth=1
                                        ;     Child Loop BB176_41 Depth 2
	v_lshlrev_b64 v[6:7], 2, v[2:3]
	s_mov_b32 s3, 0
	s_delay_alu instid0(VALU_DEP_1) | instskip(NEXT) | instid1(VALU_DEP_2)
	v_add_co_u32 v8, vcc_lo, s6, v6
	v_add_co_ci_u32_e32 v9, vcc_lo, s7, v7, vcc_lo
	v_add_co_u32 v6, vcc_lo, s8, v6
	v_add_co_ci_u32_e32 v7, vcc_lo, s9, v7, vcc_lo
	global_load_b32 v8, v[8:9], off
	global_load_b32 v7, v[6:7], off
	s_waitcnt vmcnt(1)
	v_subrev_nc_u32_e32 v6, s27, v8
	s_delay_alu instid0(VALU_DEP_1) | instskip(SKIP_1) | instid1(VALU_DEP_1)
	v_lshl_add_u32 v8, v6, 3, v6
	s_waitcnt vmcnt(0)
	v_dual_mul_f32 v7, v15, v7 :: v_dual_and_b32 v8, 15, v8
	s_branch .LBB176_41
.LBB176_40:                             ;   in Loop: Header=BB176_41 Depth=2
	s_or_b32 exec_lo, exec_lo, s4
	s_xor_b32 s4, s5, -1
	s_delay_alu instid0(SALU_CYCLE_1) | instskip(NEXT) | instid1(SALU_CYCLE_1)
	s_and_b32 s4, exec_lo, s4
	s_or_b32 s3, s4, s3
	s_delay_alu instid0(SALU_CYCLE_1)
	s_and_not1_b32 exec_lo, exec_lo, s3
	s_cbranch_execz .LBB176_38
.LBB176_41:                             ;   Parent Loop BB176_39 Depth=1
                                        ; =>  This Inner Loop Header: Depth=2
	s_delay_alu instid0(VALU_DEP_1)
	v_lshl_add_u32 v9, v8, 2, v14
	s_mov_b32 s4, exec_lo
                                        ; implicit-def: $sgpr5
	ds_load_b32 v10, v9
	s_waitcnt lgkmcnt(0)
	v_cmpx_ne_u32_e64 v10, v6
	s_xor_b32 s4, exec_lo, s4
	s_cbranch_execz .LBB176_49
; %bb.42:                               ;   in Loop: Header=BB176_41 Depth=2
	s_mov_b32 s12, exec_lo
                                        ; implicit-def: $sgpr5
	v_cmpx_ne_u32_e64 s1, v10
	s_xor_b32 s12, exec_lo, s12
; %bb.43:                               ;   in Loop: Header=BB176_41 Depth=2
	v_add_nc_u32_e32 v8, 1, v8
	s_mov_b32 s5, -1
                                        ; implicit-def: $vgpr9
	s_delay_alu instid0(VALU_DEP_1)
	v_and_b32_e32 v8, 15, v8
; %bb.44:                               ;   in Loop: Header=BB176_41 Depth=2
	s_and_not1_saveexec_b32 s12, s12
	s_cbranch_execz .LBB176_48
; %bb.45:                               ;   in Loop: Header=BB176_41 Depth=2
	v_mov_b32_e32 v10, s1
	s_mov_b32 s13, -1
	s_mov_b32 s14, exec_lo
	ds_cmpstore_rtn_b32 v9, v9, v6, v10
	s_waitcnt lgkmcnt(0)
	v_cmpx_eq_u32_e64 s1, v9
	s_cbranch_execz .LBB176_47
; %bb.46:                               ;   in Loop: Header=BB176_41 Depth=2
	v_lshl_add_u32 v9, v8, 2, v16
	s_xor_b32 s13, exec_lo, -1
	ds_add_f32 v9, v7
.LBB176_47:                             ;   in Loop: Header=BB176_41 Depth=2
	s_or_b32 exec_lo, exec_lo, s14
	s_delay_alu instid0(SALU_CYCLE_1) | instskip(SKIP_1) | instid1(SALU_CYCLE_1)
	s_and_not1_b32 s5, s5, exec_lo
	s_and_b32 s13, s13, exec_lo
	s_or_b32 s5, s5, s13
.LBB176_48:                             ;   in Loop: Header=BB176_41 Depth=2
	s_or_b32 exec_lo, exec_lo, s12
	s_delay_alu instid0(SALU_CYCLE_1)
	s_and_b32 s5, s5, exec_lo
.LBB176_49:                             ;   in Loop: Header=BB176_41 Depth=2
	s_and_not1_saveexec_b32 s4, s4
	s_cbranch_execz .LBB176_40
; %bb.50:                               ;   in Loop: Header=BB176_41 Depth=2
	v_lshl_add_u32 v9, v8, 2, v16
	s_and_not1_b32 s5, s5, exec_lo
	ds_add_f32 v9, v7
	s_branch .LBB176_40
.LBB176_51:
	s_nop 0
	s_sendmsg sendmsg(MSG_DEALLOC_VGPRS)
	s_endpgm
	.section	.rodata,"a",@progbits
	.p2align	6, 0x0
	.amdhsa_kernel _ZN9rocsparseL23csrgemm_fill_wf_per_rowILj256ELj8ELj16ELj137ElifEEvT4_S1_PKS1_S3_NS_24const_host_device_scalarIT5_EEPKT3_S3_PKS5_S9_S3_SB_S6_S9_S3_SB_S9_PS1_PS5_21rocsparse_index_base_SE_SE_SE_bbb
		.amdhsa_group_segment_fixed_size 4096
		.amdhsa_private_segment_fixed_size 0
		.amdhsa_kernarg_size 156
		.amdhsa_user_sgpr_count 15
		.amdhsa_user_sgpr_dispatch_ptr 0
		.amdhsa_user_sgpr_queue_ptr 0
		.amdhsa_user_sgpr_kernarg_segment_ptr 1
		.amdhsa_user_sgpr_dispatch_id 0
		.amdhsa_user_sgpr_private_segment_size 0
		.amdhsa_wavefront_size32 1
		.amdhsa_uses_dynamic_stack 0
		.amdhsa_enable_private_segment 0
		.amdhsa_system_sgpr_workgroup_id_x 1
		.amdhsa_system_sgpr_workgroup_id_y 0
		.amdhsa_system_sgpr_workgroup_id_z 0
		.amdhsa_system_sgpr_workgroup_info 0
		.amdhsa_system_vgpr_workitem_id 0
		.amdhsa_next_free_vgpr 23
		.amdhsa_next_free_sgpr 44
		.amdhsa_reserve_vcc 1
		.amdhsa_float_round_mode_32 0
		.amdhsa_float_round_mode_16_64 0
		.amdhsa_float_denorm_mode_32 3
		.amdhsa_float_denorm_mode_16_64 3
		.amdhsa_dx10_clamp 1
		.amdhsa_ieee_mode 1
		.amdhsa_fp16_overflow 0
		.amdhsa_workgroup_processor_mode 1
		.amdhsa_memory_ordered 1
		.amdhsa_forward_progress 0
		.amdhsa_shared_vgpr_count 0
		.amdhsa_exception_fp_ieee_invalid_op 0
		.amdhsa_exception_fp_denorm_src 0
		.amdhsa_exception_fp_ieee_div_zero 0
		.amdhsa_exception_fp_ieee_overflow 0
		.amdhsa_exception_fp_ieee_underflow 0
		.amdhsa_exception_fp_ieee_inexact 0
		.amdhsa_exception_int_div_zero 0
	.end_amdhsa_kernel
	.section	.text._ZN9rocsparseL23csrgemm_fill_wf_per_rowILj256ELj8ELj16ELj137ElifEEvT4_S1_PKS1_S3_NS_24const_host_device_scalarIT5_EEPKT3_S3_PKS5_S9_S3_SB_S6_S9_S3_SB_S9_PS1_PS5_21rocsparse_index_base_SE_SE_SE_bbb,"axG",@progbits,_ZN9rocsparseL23csrgemm_fill_wf_per_rowILj256ELj8ELj16ELj137ElifEEvT4_S1_PKS1_S3_NS_24const_host_device_scalarIT5_EEPKT3_S3_PKS5_S9_S3_SB_S6_S9_S3_SB_S9_PS1_PS5_21rocsparse_index_base_SE_SE_SE_bbb,comdat
.Lfunc_end176:
	.size	_ZN9rocsparseL23csrgemm_fill_wf_per_rowILj256ELj8ELj16ELj137ElifEEvT4_S1_PKS1_S3_NS_24const_host_device_scalarIT5_EEPKT3_S3_PKS5_S9_S3_SB_S6_S9_S3_SB_S9_PS1_PS5_21rocsparse_index_base_SE_SE_SE_bbb, .Lfunc_end176-_ZN9rocsparseL23csrgemm_fill_wf_per_rowILj256ELj8ELj16ELj137ElifEEvT4_S1_PKS1_S3_NS_24const_host_device_scalarIT5_EEPKT3_S3_PKS5_S9_S3_SB_S6_S9_S3_SB_S9_PS1_PS5_21rocsparse_index_base_SE_SE_SE_bbb
                                        ; -- End function
	.section	.AMDGPU.csdata,"",@progbits
; Kernel info:
; codeLenInByte = 2312
; NumSgprs: 46
; NumVgprs: 23
; ScratchSize: 0
; MemoryBound: 0
; FloatMode: 240
; IeeeMode: 1
; LDSByteSize: 4096 bytes/workgroup (compile time only)
; SGPRBlocks: 5
; VGPRBlocks: 2
; NumSGPRsForWavesPerEU: 46
; NumVGPRsForWavesPerEU: 23
; Occupancy: 16
; WaveLimiterHint : 1
; COMPUTE_PGM_RSRC2:SCRATCH_EN: 0
; COMPUTE_PGM_RSRC2:USER_SGPR: 15
; COMPUTE_PGM_RSRC2:TRAP_HANDLER: 0
; COMPUTE_PGM_RSRC2:TGID_X_EN: 1
; COMPUTE_PGM_RSRC2:TGID_Y_EN: 0
; COMPUTE_PGM_RSRC2:TGID_Z_EN: 0
; COMPUTE_PGM_RSRC2:TIDIG_COMP_CNT: 0
	.section	.text._ZN9rocsparseL23csrgemm_fill_wf_per_rowILj256ELj16ELj32ELj137ElifEEvT4_S1_PKS1_S3_NS_24const_host_device_scalarIT5_EEPKT3_S3_PKS5_S9_S3_SB_S6_S9_S3_SB_S9_PS1_PS5_21rocsparse_index_base_SE_SE_SE_bbb,"axG",@progbits,_ZN9rocsparseL23csrgemm_fill_wf_per_rowILj256ELj16ELj32ELj137ElifEEvT4_S1_PKS1_S3_NS_24const_host_device_scalarIT5_EEPKT3_S3_PKS5_S9_S3_SB_S6_S9_S3_SB_S9_PS1_PS5_21rocsparse_index_base_SE_SE_SE_bbb,comdat
	.globl	_ZN9rocsparseL23csrgemm_fill_wf_per_rowILj256ELj16ELj32ELj137ElifEEvT4_S1_PKS1_S3_NS_24const_host_device_scalarIT5_EEPKT3_S3_PKS5_S9_S3_SB_S6_S9_S3_SB_S9_PS1_PS5_21rocsparse_index_base_SE_SE_SE_bbb ; -- Begin function _ZN9rocsparseL23csrgemm_fill_wf_per_rowILj256ELj16ELj32ELj137ElifEEvT4_S1_PKS1_S3_NS_24const_host_device_scalarIT5_EEPKT3_S3_PKS5_S9_S3_SB_S6_S9_S3_SB_S9_PS1_PS5_21rocsparse_index_base_SE_SE_SE_bbb
	.p2align	8
	.type	_ZN9rocsparseL23csrgemm_fill_wf_per_rowILj256ELj16ELj32ELj137ElifEEvT4_S1_PKS1_S3_NS_24const_host_device_scalarIT5_EEPKT3_S3_PKS5_S9_S3_SB_S6_S9_S3_SB_S9_PS1_PS5_21rocsparse_index_base_SE_SE_SE_bbb,@function
_ZN9rocsparseL23csrgemm_fill_wf_per_rowILj256ELj16ELj32ELj137ElifEEvT4_S1_PKS1_S3_NS_24const_host_device_scalarIT5_EEPKT3_S3_PKS5_S9_S3_SB_S6_S9_S3_SB_S9_PS1_PS5_21rocsparse_index_base_SE_SE_SE_bbb: ; @_ZN9rocsparseL23csrgemm_fill_wf_per_rowILj256ELj16ELj32ELj137ElifEEvT4_S1_PKS1_S3_NS_24const_host_device_scalarIT5_EEPKT3_S3_PKS5_S9_S3_SB_S6_S9_S3_SB_S9_PS1_PS5_21rocsparse_index_base_SE_SE_SE_bbb
; %bb.0:
	s_clause 0x3
	s_load_b32 s12, s[0:1], 0x98
	s_load_b128 s[24:27], s[0:1], 0x88
	s_load_b64 s[4:5], s[0:1], 0x18
	s_load_b64 s[2:3], s[0:1], 0x50
	s_waitcnt lgkmcnt(0)
	s_bitcmp1_b32 s12, 0
	s_cselect_b32 s13, -1, 0
	s_bitcmp1_b32 s12, 16
	s_cselect_b32 s14, -1, 0
	s_xor_b32 s6, s13, -1
	s_delay_alu instid0(SALU_CYCLE_1) | instskip(NEXT) | instid1(SALU_CYCLE_1)
	s_or_b32 s6, s6, s14
	s_and_b32 vcc_lo, exec_lo, s6
	s_cbranch_vccnz .LBB177_2
; %bb.1:
	s_load_b32 s4, s[4:5], 0x0
	s_waitcnt lgkmcnt(0)
	v_mov_b32_e32 v17, s4
	s_branch .LBB177_3
.LBB177_2:
	v_cndmask_b32_e64 v17, 0, s4, s13
.LBB177_3:
	s_clause 0x4
	s_load_b128 s[28:31], s[0:1], 0x78
	s_load_b256 s[4:11], s[0:1], 0x58
	s_load_b128 s[36:39], s[0:1], 0x40
	s_load_b128 s[40:43], s[0:1], 0x8
	s_load_b256 s[16:23], s[0:1], 0x20
	s_bitcmp1_b32 s12, 8
	s_cselect_b32 s12, -1, 0
	s_delay_alu instid0(SALU_CYCLE_1) | instskip(NEXT) | instid1(SALU_CYCLE_1)
	s_xor_b32 s33, s12, -1
	s_or_b32 s14, s33, s14
	s_delay_alu instid0(SALU_CYCLE_1)
	s_and_b32 vcc_lo, exec_lo, s14
	s_cbranch_vccnz .LBB177_5
; %bb.4:
	s_load_b32 s2, s[2:3], 0x0
	s_waitcnt lgkmcnt(0)
	v_mov_b32_e32 v15, s2
	s_branch .LBB177_6
.LBB177_5:
	v_cndmask_b32_e64 v15, 0, s2, s12
.LBB177_6:
	s_load_b64 s[0:1], s[0:1], 0x0
	v_and_b32_e32 v18, 15, v0
	v_lshrrev_b32_e32 v2, 4, v0
	s_mov_b32 s2, 0
	s_waitcnt lgkmcnt(0)
	s_delay_alu instid0(VALU_DEP_2) | instskip(NEXT) | instid1(VALU_DEP_1)
	v_dual_mov_b32 v3, s1 :: v_dual_lshlrev_b32 v0, 2, v18
	v_lshl_or_b32 v12, v2, 7, v0
	s_delay_alu instid0(VALU_DEP_1) | instskip(SKIP_1) | instid1(VALU_DEP_1)
	v_dual_mov_b32 v0, 0 :: v_dual_mov_b32 v1, v12
	v_or_b32_e32 v13, -16, v18
	v_mov_b32_e32 v4, v13
.LBB177_7:                              ; =>This Inner Loop Header: Depth=1
	s_delay_alu instid0(VALU_DEP_1) | instskip(NEXT) | instid1(VALU_DEP_1)
	v_add_co_u32 v4, s3, v4, 16
	s_xor_b32 s3, s3, -1
	ds_store_2addr_stride64_b32 v1, v0, v3 offset1:8
	v_add_nc_u32_e32 v1, 64, v1
	s_and_b32 s3, exec_lo, s3
	s_delay_alu instid0(SALU_CYCLE_1) | instskip(NEXT) | instid1(SALU_CYCLE_1)
	s_or_b32 s2, s3, s2
	s_and_not1_b32 exec_lo, exec_lo, s2
	s_cbranch_execnz .LBB177_7
; %bb.8:
	s_or_b32 exec_lo, exec_lo, s2
	s_lshl_b32 s2, s15, 4
	s_waitcnt lgkmcnt(0)
	buffer_gl0_inv
	v_and_or_b32 v0, 0xffffff0, s2, v2
	s_delay_alu instid0(VALU_DEP_1)
	v_cmp_gt_i32_e32 vcc_lo, s0, v0
	s_and_saveexec_b32 s0, vcc_lo
	s_cbranch_execz .LBB177_51
; %bb.9:
	s_cmp_eq_u64 s[42:43], 0
	s_cbranch_scc1 .LBB177_11
; %bb.10:
	s_load_b32 s0, s[40:41], 0x0
	s_waitcnt lgkmcnt(0)
	v_add_nc_u32_e32 v0, s0, v0
	s_delay_alu instid0(VALU_DEP_1) | instskip(NEXT) | instid1(VALU_DEP_1)
	v_ashrrev_i32_e32 v1, 31, v0
	v_lshlrev_b64 v[0:1], 2, v[0:1]
	s_delay_alu instid0(VALU_DEP_1) | instskip(NEXT) | instid1(VALU_DEP_2)
	v_add_co_u32 v0, vcc_lo, s42, v0
	v_add_co_ci_u32_e32 v1, vcc_lo, s43, v1, vcc_lo
	global_load_b32 v0, v[0:1], off
.LBB177_11:
	s_waitcnt vmcnt(0)
	v_ashrrev_i32_e32 v1, 31, v0
	v_lshlrev_b32_e32 v16, 7, v2
	s_and_not1_b32 vcc_lo, exec_lo, s13
	s_delay_alu instid0(VALU_DEP_2) | instskip(NEXT) | instid1(VALU_DEP_2)
	v_lshlrev_b64 v[4:5], 3, v[0:1]
	v_or_b32_e32 v14, 0x800, v16
	s_cbranch_vccnz .LBB177_31
; %bb.12:
	s_delay_alu instid0(VALU_DEP_2) | instskip(NEXT) | instid1(VALU_DEP_3)
	v_add_co_u32 v0, vcc_lo, s16, v4
	v_add_co_ci_u32_e32 v1, vcc_lo, s17, v5, vcc_lo
	v_sub_co_u32 v8, s0, v18, s24
	s_delay_alu instid0(VALU_DEP_1)
	v_sub_co_ci_u32_e64 v9, null, 0, 0, s0
	global_load_b128 v[0:3], v[0:1], off
	s_mov_b32 s2, 0
	s_mov_b32 s0, exec_lo
	s_waitcnt vmcnt(0)
	v_sub_co_u32 v6, vcc_lo, v2, s24
	v_subrev_co_ci_u32_e32 v7, vcc_lo, 0, v3, vcc_lo
	v_add_co_u32 v8, vcc_lo, v0, v8
	v_add_co_ci_u32_e32 v9, vcc_lo, v1, v9, vcc_lo
	s_delay_alu instid0(VALU_DEP_1)
	v_cmpx_lt_i64_e64 v[8:9], v[6:7]
	s_cbranch_execz .LBB177_30
; %bb.13:
	s_mov_b32 s3, s25
	s_branch .LBB177_15
.LBB177_14:                             ;   in Loop: Header=BB177_15 Depth=1
	s_or_b32 exec_lo, exec_lo, s13
	v_add_co_u32 v8, vcc_lo, v8, 16
	v_add_co_ci_u32_e32 v9, vcc_lo, 0, v9, vcc_lo
	s_delay_alu instid0(VALU_DEP_1) | instskip(SKIP_1) | instid1(SALU_CYCLE_1)
	v_cmp_ge_i64_e32 vcc_lo, v[8:9], v[6:7]
	s_or_b32 s2, vcc_lo, s2
	s_and_not1_b32 exec_lo, exec_lo, s2
	s_cbranch_execz .LBB177_30
.LBB177_15:                             ; =>This Loop Header: Depth=1
                                        ;     Child Loop BB177_18 Depth 2
                                        ;       Child Loop BB177_20 Depth 3
	v_lshlrev_b64 v[10:11], 2, v[8:9]
	s_mov_b32 s13, exec_lo
	s_delay_alu instid0(VALU_DEP_1) | instskip(NEXT) | instid1(VALU_DEP_2)
	v_add_co_u32 v0, vcc_lo, s18, v10
	v_add_co_ci_u32_e32 v1, vcc_lo, s19, v11, vcc_lo
	global_load_b32 v0, v[0:1], off
	s_waitcnt vmcnt(0)
	v_subrev_nc_u32_e32 v0, s24, v0
	s_delay_alu instid0(VALU_DEP_1) | instskip(NEXT) | instid1(VALU_DEP_1)
	v_ashrrev_i32_e32 v1, 31, v0
	v_lshlrev_b64 v[0:1], 3, v[0:1]
	s_delay_alu instid0(VALU_DEP_1) | instskip(NEXT) | instid1(VALU_DEP_2)
	v_add_co_u32 v0, vcc_lo, s22, v0
	v_add_co_ci_u32_e32 v1, vcc_lo, s23, v1, vcc_lo
	global_load_b128 v[0:3], v[0:1], off
	s_waitcnt vmcnt(0)
	v_cmpx_lt_i64_e64 v[0:1], v[2:3]
	s_cbranch_execz .LBB177_14
; %bb.16:                               ;   in Loop: Header=BB177_15 Depth=1
	v_add_co_u32 v10, vcc_lo, s20, v10
	v_add_co_ci_u32_e32 v11, vcc_lo, s21, v11, vcc_lo
	v_sub_co_u32 v2, vcc_lo, v2, s3
	v_subrev_co_ci_u32_e32 v3, vcc_lo, 0, v3, vcc_lo
	global_load_b32 v10, v[10:11], off
	v_sub_co_u32 v0, vcc_lo, v0, s3
	v_subrev_co_ci_u32_e32 v1, vcc_lo, 0, v1, vcc_lo
	s_mov_b32 s14, 0
	s_waitcnt vmcnt(0)
	v_mul_f32_e32 v10, v17, v10
	s_branch .LBB177_18
.LBB177_17:                             ;   in Loop: Header=BB177_18 Depth=2
	s_or_b32 exec_lo, exec_lo, s15
	v_add_co_u32 v0, vcc_lo, v0, 1
	v_add_co_ci_u32_e32 v1, vcc_lo, 0, v1, vcc_lo
	s_delay_alu instid0(VALU_DEP_1) | instskip(SKIP_1) | instid1(SALU_CYCLE_1)
	v_cmp_ge_i64_e32 vcc_lo, v[0:1], v[2:3]
	s_or_b32 s14, vcc_lo, s14
	s_and_not1_b32 exec_lo, exec_lo, s14
	s_cbranch_execz .LBB177_14
.LBB177_18:                             ;   Parent Loop BB177_15 Depth=1
                                        ; =>  This Loop Header: Depth=2
                                        ;       Child Loop BB177_20 Depth 3
	v_lshlrev_b64 v[19:20], 2, v[0:1]
	s_mov_b32 s15, 0
	s_delay_alu instid0(VALU_DEP_1) | instskip(NEXT) | instid1(VALU_DEP_2)
	v_add_co_u32 v21, vcc_lo, s36, v19
	v_add_co_ci_u32_e32 v22, vcc_lo, s37, v20, vcc_lo
	v_add_co_u32 v19, vcc_lo, s38, v19
	v_add_co_ci_u32_e32 v20, vcc_lo, s39, v20, vcc_lo
	global_load_b32 v11, v[21:22], off
	global_load_b32 v19, v[19:20], off
	s_waitcnt vmcnt(1)
	v_subrev_nc_u32_e32 v11, s25, v11
	s_delay_alu instid0(VALU_DEP_1) | instskip(SKIP_1) | instid1(VALU_DEP_1)
	v_lshl_add_u32 v20, v11, 3, v11
	s_waitcnt vmcnt(0)
	v_dual_mul_f32 v19, v10, v19 :: v_dual_and_b32 v20, 31, v20
	s_branch .LBB177_20
.LBB177_19:                             ;   in Loop: Header=BB177_20 Depth=3
	s_or_b32 exec_lo, exec_lo, s16
	s_xor_b32 s16, s17, -1
	s_delay_alu instid0(SALU_CYCLE_1) | instskip(NEXT) | instid1(SALU_CYCLE_1)
	s_and_b32 s16, exec_lo, s16
	s_or_b32 s15, s16, s15
	s_delay_alu instid0(SALU_CYCLE_1)
	s_and_not1_b32 exec_lo, exec_lo, s15
	s_cbranch_execz .LBB177_17
.LBB177_20:                             ;   Parent Loop BB177_15 Depth=1
                                        ;     Parent Loop BB177_18 Depth=2
                                        ; =>    This Inner Loop Header: Depth=3
	s_delay_alu instid0(VALU_DEP_1)
	v_lshl_add_u32 v21, v20, 2, v14
	s_mov_b32 s16, exec_lo
                                        ; implicit-def: $sgpr17
	ds_load_b32 v22, v21
	s_waitcnt lgkmcnt(0)
	v_cmpx_ne_u32_e64 v22, v11
	s_xor_b32 s16, exec_lo, s16
	s_cbranch_execz .LBB177_28
; %bb.21:                               ;   in Loop: Header=BB177_20 Depth=3
	s_mov_b32 s33, exec_lo
                                        ; implicit-def: $sgpr17
	v_cmpx_ne_u32_e64 s1, v22
	s_xor_b32 s33, exec_lo, s33
; %bb.22:                               ;   in Loop: Header=BB177_20 Depth=3
	v_add_nc_u32_e32 v20, 1, v20
	s_mov_b32 s17, -1
                                        ; implicit-def: $vgpr21
	s_delay_alu instid0(VALU_DEP_1)
	v_and_b32_e32 v20, 31, v20
; %bb.23:                               ;   in Loop: Header=BB177_20 Depth=3
	s_and_not1_saveexec_b32 s33, s33
	s_cbranch_execz .LBB177_27
; %bb.24:                               ;   in Loop: Header=BB177_20 Depth=3
	v_mov_b32_e32 v22, s1
	s_mov_b32 s34, -1
	s_mov_b32 s35, exec_lo
	ds_cmpstore_rtn_b32 v21, v21, v11, v22
	s_waitcnt lgkmcnt(0)
	v_cmpx_eq_u32_e64 s1, v21
	s_cbranch_execz .LBB177_26
; %bb.25:                               ;   in Loop: Header=BB177_20 Depth=3
	v_lshl_add_u32 v21, v20, 2, v16
	s_xor_b32 s34, exec_lo, -1
	ds_add_f32 v21, v19
.LBB177_26:                             ;   in Loop: Header=BB177_20 Depth=3
	s_or_b32 exec_lo, exec_lo, s35
	s_delay_alu instid0(SALU_CYCLE_1) | instskip(SKIP_1) | instid1(SALU_CYCLE_1)
	s_and_not1_b32 s17, s17, exec_lo
	s_and_b32 s34, s34, exec_lo
	s_or_b32 s17, s17, s34
.LBB177_27:                             ;   in Loop: Header=BB177_20 Depth=3
	s_or_b32 exec_lo, exec_lo, s33
	s_delay_alu instid0(SALU_CYCLE_1)
	s_and_b32 s17, s17, exec_lo
.LBB177_28:                             ;   in Loop: Header=BB177_20 Depth=3
	s_and_not1_saveexec_b32 s16, s16
	s_cbranch_execz .LBB177_19
; %bb.29:                               ;   in Loop: Header=BB177_20 Depth=3
	v_lshl_add_u32 v21, v20, 2, v16
	s_and_not1_b32 s17, s17, exec_lo
	ds_add_f32 v21, v19
	s_branch .LBB177_19
.LBB177_30:
	s_or_b32 exec_lo, exec_lo, s0
.LBB177_31:
	s_delay_alu instid0(SALU_CYCLE_1)
	s_and_not1_b32 vcc_lo, exec_lo, s12
	s_cbranch_vccnz .LBB177_34
; %bb.32:
	s_delay_alu instid0(VALU_DEP_2) | instskip(SKIP_2) | instid1(VALU_DEP_1)
	v_add_co_u32 v0, vcc_lo, s4, v4
	v_add_co_ci_u32_e32 v1, vcc_lo, s5, v5, vcc_lo
	v_sub_co_u32 v2, s0, v18, s27
	v_sub_co_ci_u32_e64 v3, null, 0, 0, s0
	global_load_b128 v[6:9], v[0:1], off
	s_mov_b32 s2, 0
	s_mov_b32 s0, exec_lo
	s_waitcnt vmcnt(0)
	v_sub_co_u32 v0, vcc_lo, v8, s27
	v_subrev_co_ci_u32_e32 v1, vcc_lo, 0, v9, vcc_lo
	v_add_co_u32 v2, vcc_lo, v6, v2
	v_add_co_ci_u32_e32 v3, vcc_lo, v7, v3, vcc_lo
	s_delay_alu instid0(VALU_DEP_1)
	v_cmpx_lt_i64_e64 v[2:3], v[0:1]
	s_cbranch_execnz .LBB177_39
.LBB177_33:
	s_or_b32 exec_lo, exec_lo, s0
.LBB177_34:
	s_delay_alu instid0(VALU_DEP_2)
	v_add_co_u32 v0, vcc_lo, s10, v4
	v_add_co_ci_u32_e32 v1, vcc_lo, s11, v5, vcc_lo
	s_waitcnt lgkmcnt(0)
	buffer_gl0_inv
	s_mov_b32 s0, 0
	global_load_b64 v[0:1], v[0:1], off
	s_waitcnt vmcnt(0)
	v_sub_co_u32 v0, vcc_lo, v0, s26
	v_subrev_co_ci_u32_e32 v1, vcc_lo, 0, v1, vcc_lo
	s_branch .LBB177_36
.LBB177_35:                             ;   in Loop: Header=BB177_36 Depth=1
	s_or_b32 exec_lo, exec_lo, s2
	v_add_co_u32 v13, s2, v13, 16
	s_delay_alu instid0(VALU_DEP_1) | instskip(SKIP_2) | instid1(SALU_CYCLE_1)
	s_xor_b32 s2, s2, -1
	v_add_nc_u32_e32 v12, 64, v12
	s_and_b32 s2, exec_lo, s2
	s_or_b32 s0, s2, s0
	s_delay_alu instid0(SALU_CYCLE_1)
	s_and_not1_b32 exec_lo, exec_lo, s0
	s_cbranch_execz .LBB177_51
.LBB177_36:                             ; =>This Inner Loop Header: Depth=1
	ds_load_b32 v2, v12 offset:2048
	s_mov_b32 s2, exec_lo
	s_waitcnt lgkmcnt(0)
	v_cmpx_gt_i32_e64 s1, v2
	s_cbranch_execz .LBB177_35
; %bb.37:                               ;   in Loop: Header=BB177_36 Depth=1
	ds_load_b128 v[3:6], v14
	ds_load_b128 v[7:10], v14 offset:16
	ds_load_b128 v[15:18], v14 offset:32
	ds_load_b128 v[19:22], v14 offset:48
	ds_load_b128 v[23:26], v14 offset:64
	s_waitcnt lgkmcnt(4)
	v_cmp_gt_i32_e32 vcc_lo, v2, v3
	v_cndmask_b32_e64 v3, 0, 1, vcc_lo
	v_cmp_gt_i32_e32 vcc_lo, v2, v4
	v_cndmask_b32_e64 v4, 0, 1, vcc_lo
	s_delay_alu instid0(VALU_DEP_3) | instskip(SKIP_3) | instid1(VALU_DEP_4)
	v_add_co_u32 v3, vcc_lo, v0, v3
	v_add_co_ci_u32_e32 v11, vcc_lo, 0, v1, vcc_lo
	v_cmp_gt_i32_e32 vcc_lo, v2, v5
	v_cndmask_b32_e64 v5, 0, 1, vcc_lo
	v_add_co_u32 v3, vcc_lo, v3, v4
	s_delay_alu instid0(VALU_DEP_4) | instskip(SKIP_2) | instid1(VALU_DEP_4)
	v_add_co_ci_u32_e32 v4, vcc_lo, 0, v11, vcc_lo
	v_cmp_gt_i32_e32 vcc_lo, v2, v6
	v_cndmask_b32_e64 v6, 0, 1, vcc_lo
	v_add_co_u32 v3, vcc_lo, v3, v5
	s_delay_alu instid0(VALU_DEP_4)
	v_add_co_ci_u32_e32 v4, vcc_lo, 0, v4, vcc_lo
	s_waitcnt lgkmcnt(3)
	v_cmp_gt_i32_e32 vcc_lo, v2, v7
	v_cndmask_b32_e64 v5, 0, 1, vcc_lo
	v_add_co_u32 v3, vcc_lo, v3, v6
	v_add_co_ci_u32_e32 v4, vcc_lo, 0, v4, vcc_lo
	v_cmp_gt_i32_e32 vcc_lo, v2, v8
	v_cndmask_b32_e64 v6, 0, 1, vcc_lo
	s_delay_alu instid0(VALU_DEP_4) | instskip(NEXT) | instid1(VALU_DEP_4)
	v_add_co_u32 v3, vcc_lo, v3, v5
	v_add_co_ci_u32_e32 v4, vcc_lo, 0, v4, vcc_lo
	v_cmp_gt_i32_e32 vcc_lo, v2, v9
	v_cndmask_b32_e64 v5, 0, 1, vcc_lo
	s_delay_alu instid0(VALU_DEP_4) | instskip(NEXT) | instid1(VALU_DEP_4)
	;; [unrolled: 5-line block ×3, first 2 shown]
	v_add_co_u32 v3, vcc_lo, v3, v5
	v_add_co_ci_u32_e32 v4, vcc_lo, 0, v4, vcc_lo
	s_waitcnt lgkmcnt(2)
	v_cmp_gt_i32_e32 vcc_lo, v2, v15
	v_cndmask_b32_e64 v5, 0, 1, vcc_lo
	v_add_co_u32 v3, vcc_lo, v3, v6
	v_add_co_ci_u32_e32 v4, vcc_lo, 0, v4, vcc_lo
	v_cmp_gt_i32_e32 vcc_lo, v2, v16
	v_cndmask_b32_e64 v6, 0, 1, vcc_lo
	s_delay_alu instid0(VALU_DEP_4) | instskip(NEXT) | instid1(VALU_DEP_4)
	v_add_co_u32 v3, vcc_lo, v3, v5
	v_add_co_ci_u32_e32 v4, vcc_lo, 0, v4, vcc_lo
	v_cmp_gt_i32_e32 vcc_lo, v2, v17
	v_cndmask_b32_e64 v5, 0, 1, vcc_lo
	s_delay_alu instid0(VALU_DEP_4) | instskip(NEXT) | instid1(VALU_DEP_4)
	;; [unrolled: 5-line block ×3, first 2 shown]
	v_add_co_u32 v3, vcc_lo, v3, v5
	v_add_co_ci_u32_e32 v4, vcc_lo, 0, v4, vcc_lo
	s_waitcnt lgkmcnt(1)
	v_cmp_gt_i32_e32 vcc_lo, v2, v19
	v_cndmask_b32_e64 v5, 0, 1, vcc_lo
	v_add_co_u32 v3, vcc_lo, v3, v6
	v_add_co_ci_u32_e32 v4, vcc_lo, 0, v4, vcc_lo
	v_cmp_gt_i32_e32 vcc_lo, v2, v20
	v_cndmask_b32_e64 v6, 0, 1, vcc_lo
	s_delay_alu instid0(VALU_DEP_4) | instskip(NEXT) | instid1(VALU_DEP_4)
	v_add_co_u32 v3, vcc_lo, v3, v5
	v_add_co_ci_u32_e32 v4, vcc_lo, 0, v4, vcc_lo
	v_cmp_gt_i32_e32 vcc_lo, v2, v21
	v_cndmask_b32_e64 v5, 0, 1, vcc_lo
	s_delay_alu instid0(VALU_DEP_4) | instskip(NEXT) | instid1(VALU_DEP_4)
	v_add_co_u32 v3, vcc_lo, v3, v6
	v_add_co_ci_u32_e32 v4, vcc_lo, 0, v4, vcc_lo
	s_delay_alu instid0(VALU_DEP_2) | instskip(NEXT) | instid1(VALU_DEP_2)
	v_add_co_u32 v7, vcc_lo, v3, v5
	v_add_co_ci_u32_e32 v8, vcc_lo, 0, v4, vcc_lo
	ds_load_b128 v[3:6], v14 offset:80
	v_cmp_gt_i32_e32 vcc_lo, v2, v22
	v_cndmask_b32_e64 v9, 0, 1, vcc_lo
	s_waitcnt lgkmcnt(1)
	v_cmp_gt_i32_e32 vcc_lo, v2, v23
	v_cndmask_b32_e64 v10, 0, 1, vcc_lo
	s_delay_alu instid0(VALU_DEP_3) | instskip(SKIP_3) | instid1(VALU_DEP_4)
	v_add_co_u32 v7, vcc_lo, v7, v9
	v_add_co_ci_u32_e32 v8, vcc_lo, 0, v8, vcc_lo
	v_cmp_gt_i32_e32 vcc_lo, v2, v24
	v_cndmask_b32_e64 v9, 0, 1, vcc_lo
	v_add_co_u32 v7, vcc_lo, v7, v10
	s_delay_alu instid0(VALU_DEP_4) | instskip(SKIP_2) | instid1(VALU_DEP_4)
	v_add_co_ci_u32_e32 v8, vcc_lo, 0, v8, vcc_lo
	v_cmp_gt_i32_e32 vcc_lo, v2, v25
	v_cndmask_b32_e64 v10, 0, 1, vcc_lo
	v_add_co_u32 v7, vcc_lo, v7, v9
	s_delay_alu instid0(VALU_DEP_4) | instskip(SKIP_2) | instid1(VALU_DEP_4)
	v_add_co_ci_u32_e32 v8, vcc_lo, 0, v8, vcc_lo
	v_cmp_gt_i32_e32 vcc_lo, v2, v26
	v_cndmask_b32_e64 v9, 0, 1, vcc_lo
	v_add_co_u32 v7, vcc_lo, v7, v10
	s_delay_alu instid0(VALU_DEP_4) | instskip(NEXT) | instid1(VALU_DEP_2)
	v_add_co_ci_u32_e32 v8, vcc_lo, 0, v8, vcc_lo
	v_add_co_u32 v11, vcc_lo, v7, v9
	s_delay_alu instid0(VALU_DEP_2)
	v_add_co_ci_u32_e32 v15, vcc_lo, 0, v8, vcc_lo
	s_waitcnt lgkmcnt(0)
	v_cmp_gt_i32_e32 vcc_lo, v2, v3
	ds_load_b128 v[7:10], v14 offset:96
	v_cndmask_b32_e64 v3, 0, 1, vcc_lo
	v_cmp_gt_i32_e32 vcc_lo, v2, v4
	v_cndmask_b32_e64 v4, 0, 1, vcc_lo
	s_delay_alu instid0(VALU_DEP_3) | instskip(SKIP_3) | instid1(VALU_DEP_4)
	v_add_co_u32 v3, vcc_lo, v11, v3
	v_add_co_ci_u32_e32 v11, vcc_lo, 0, v15, vcc_lo
	v_cmp_gt_i32_e32 vcc_lo, v2, v5
	v_cndmask_b32_e64 v5, 0, 1, vcc_lo
	v_add_co_u32 v3, vcc_lo, v3, v4
	s_delay_alu instid0(VALU_DEP_4) | instskip(NEXT) | instid1(VALU_DEP_2)
	v_add_co_ci_u32_e32 v4, vcc_lo, 0, v11, vcc_lo
	v_add_co_u32 v11, vcc_lo, v3, v5
	s_delay_alu instid0(VALU_DEP_2)
	v_add_co_ci_u32_e32 v15, vcc_lo, 0, v4, vcc_lo
	v_cmp_gt_i32_e32 vcc_lo, v2, v6
	ds_load_b128 v[3:6], v14 offset:112
	v_cndmask_b32_e64 v16, 0, 1, vcc_lo
	s_waitcnt lgkmcnt(1)
	v_cmp_gt_i32_e32 vcc_lo, v2, v7
	v_cndmask_b32_e64 v7, 0, 1, vcc_lo
	s_delay_alu instid0(VALU_DEP_3) | instskip(SKIP_3) | instid1(VALU_DEP_4)
	v_add_co_u32 v11, vcc_lo, v11, v16
	v_add_co_ci_u32_e32 v15, vcc_lo, 0, v15, vcc_lo
	v_cmp_gt_i32_e32 vcc_lo, v2, v8
	v_cndmask_b32_e64 v8, 0, 1, vcc_lo
	v_add_co_u32 v7, vcc_lo, v11, v7
	s_delay_alu instid0(VALU_DEP_4) | instskip(SKIP_2) | instid1(VALU_DEP_4)
	v_add_co_ci_u32_e32 v11, vcc_lo, 0, v15, vcc_lo
	v_cmp_gt_i32_e32 vcc_lo, v2, v9
	v_cndmask_b32_e64 v9, 0, 1, vcc_lo
	v_add_co_u32 v7, vcc_lo, v7, v8
	s_delay_alu instid0(VALU_DEP_4) | instskip(SKIP_2) | instid1(VALU_DEP_4)
	v_add_co_ci_u32_e32 v8, vcc_lo, 0, v11, vcc_lo
	v_cmp_gt_i32_e32 vcc_lo, v2, v10
	v_cndmask_b32_e64 v10, 0, 1, vcc_lo
	v_add_co_u32 v7, vcc_lo, v7, v9
	s_delay_alu instid0(VALU_DEP_4)
	v_add_co_ci_u32_e32 v8, vcc_lo, 0, v8, vcc_lo
	s_waitcnt lgkmcnt(0)
	v_cmp_gt_i32_e32 vcc_lo, v2, v3
	v_cndmask_b32_e64 v3, 0, 1, vcc_lo
	v_add_co_u32 v7, vcc_lo, v7, v10
	v_add_co_ci_u32_e32 v8, vcc_lo, 0, v8, vcc_lo
	v_cmp_gt_i32_e32 vcc_lo, v2, v4
	v_cndmask_b32_e64 v4, 0, 1, vcc_lo
	s_delay_alu instid0(VALU_DEP_4) | instskip(NEXT) | instid1(VALU_DEP_4)
	v_add_co_u32 v3, vcc_lo, v7, v3
	v_add_co_ci_u32_e32 v7, vcc_lo, 0, v8, vcc_lo
	v_cmp_gt_i32_e32 vcc_lo, v2, v5
	v_add_nc_u32_e32 v8, s26, v2
	v_cndmask_b32_e64 v5, 0, 1, vcc_lo
	v_add_co_u32 v3, vcc_lo, v3, v4
	v_add_co_ci_u32_e32 v4, vcc_lo, 0, v7, vcc_lo
	v_cmp_gt_i32_e32 vcc_lo, v2, v6
	ds_load_b32 v7, v12
	v_cndmask_b32_e64 v6, 0, 1, vcc_lo
	v_add_co_u32 v3, vcc_lo, v3, v5
	v_add_co_ci_u32_e32 v4, vcc_lo, 0, v4, vcc_lo
	s_delay_alu instid0(VALU_DEP_2) | instskip(NEXT) | instid1(VALU_DEP_2)
	v_add_co_u32 v3, vcc_lo, v3, v6
	v_add_co_ci_u32_e32 v4, vcc_lo, 0, v4, vcc_lo
	s_delay_alu instid0(VALU_DEP_1) | instskip(NEXT) | instid1(VALU_DEP_1)
	v_lshlrev_b64 v[3:4], 2, v[3:4]
	v_add_co_u32 v5, vcc_lo, s28, v3
	s_delay_alu instid0(VALU_DEP_2)
	v_add_co_ci_u32_e32 v6, vcc_lo, s29, v4, vcc_lo
	v_add_co_u32 v2, vcc_lo, s30, v3
	v_add_co_ci_u32_e32 v3, vcc_lo, s31, v4, vcc_lo
	global_store_b32 v[5:6], v8, off
	s_waitcnt lgkmcnt(0)
	global_store_b32 v[2:3], v7, off
	s_branch .LBB177_35
.LBB177_38:                             ;   in Loop: Header=BB177_39 Depth=1
	s_or_b32 exec_lo, exec_lo, s3
	v_add_co_u32 v2, vcc_lo, v2, 16
	v_add_co_ci_u32_e32 v3, vcc_lo, 0, v3, vcc_lo
	s_delay_alu instid0(VALU_DEP_1) | instskip(SKIP_1) | instid1(SALU_CYCLE_1)
	v_cmp_ge_i64_e32 vcc_lo, v[2:3], v[0:1]
	s_or_b32 s2, vcc_lo, s2
	s_and_not1_b32 exec_lo, exec_lo, s2
	s_cbranch_execz .LBB177_33
.LBB177_39:                             ; =>This Loop Header: Depth=1
                                        ;     Child Loop BB177_41 Depth 2
	v_lshlrev_b64 v[6:7], 2, v[2:3]
	s_mov_b32 s3, 0
	s_delay_alu instid0(VALU_DEP_1) | instskip(NEXT) | instid1(VALU_DEP_2)
	v_add_co_u32 v8, vcc_lo, s6, v6
	v_add_co_ci_u32_e32 v9, vcc_lo, s7, v7, vcc_lo
	v_add_co_u32 v6, vcc_lo, s8, v6
	v_add_co_ci_u32_e32 v7, vcc_lo, s9, v7, vcc_lo
	global_load_b32 v8, v[8:9], off
	global_load_b32 v7, v[6:7], off
	s_waitcnt vmcnt(1)
	v_subrev_nc_u32_e32 v6, s27, v8
	s_delay_alu instid0(VALU_DEP_1) | instskip(SKIP_1) | instid1(VALU_DEP_1)
	v_lshl_add_u32 v8, v6, 3, v6
	s_waitcnt vmcnt(0)
	v_dual_mul_f32 v7, v15, v7 :: v_dual_and_b32 v8, 31, v8
	s_branch .LBB177_41
.LBB177_40:                             ;   in Loop: Header=BB177_41 Depth=2
	s_or_b32 exec_lo, exec_lo, s4
	s_xor_b32 s4, s5, -1
	s_delay_alu instid0(SALU_CYCLE_1) | instskip(NEXT) | instid1(SALU_CYCLE_1)
	s_and_b32 s4, exec_lo, s4
	s_or_b32 s3, s4, s3
	s_delay_alu instid0(SALU_CYCLE_1)
	s_and_not1_b32 exec_lo, exec_lo, s3
	s_cbranch_execz .LBB177_38
.LBB177_41:                             ;   Parent Loop BB177_39 Depth=1
                                        ; =>  This Inner Loop Header: Depth=2
	s_delay_alu instid0(VALU_DEP_1)
	v_lshl_add_u32 v9, v8, 2, v14
	s_mov_b32 s4, exec_lo
                                        ; implicit-def: $sgpr5
	ds_load_b32 v10, v9
	s_waitcnt lgkmcnt(0)
	v_cmpx_ne_u32_e64 v10, v6
	s_xor_b32 s4, exec_lo, s4
	s_cbranch_execz .LBB177_49
; %bb.42:                               ;   in Loop: Header=BB177_41 Depth=2
	s_mov_b32 s12, exec_lo
                                        ; implicit-def: $sgpr5
	v_cmpx_ne_u32_e64 s1, v10
	s_xor_b32 s12, exec_lo, s12
; %bb.43:                               ;   in Loop: Header=BB177_41 Depth=2
	v_add_nc_u32_e32 v8, 1, v8
	s_mov_b32 s5, -1
                                        ; implicit-def: $vgpr9
	s_delay_alu instid0(VALU_DEP_1)
	v_and_b32_e32 v8, 31, v8
; %bb.44:                               ;   in Loop: Header=BB177_41 Depth=2
	s_and_not1_saveexec_b32 s12, s12
	s_cbranch_execz .LBB177_48
; %bb.45:                               ;   in Loop: Header=BB177_41 Depth=2
	v_mov_b32_e32 v10, s1
	s_mov_b32 s13, -1
	s_mov_b32 s14, exec_lo
	ds_cmpstore_rtn_b32 v9, v9, v6, v10
	s_waitcnt lgkmcnt(0)
	v_cmpx_eq_u32_e64 s1, v9
	s_cbranch_execz .LBB177_47
; %bb.46:                               ;   in Loop: Header=BB177_41 Depth=2
	v_lshl_add_u32 v9, v8, 2, v16
	s_xor_b32 s13, exec_lo, -1
	ds_add_f32 v9, v7
.LBB177_47:                             ;   in Loop: Header=BB177_41 Depth=2
	s_or_b32 exec_lo, exec_lo, s14
	s_delay_alu instid0(SALU_CYCLE_1) | instskip(SKIP_1) | instid1(SALU_CYCLE_1)
	s_and_not1_b32 s5, s5, exec_lo
	s_and_b32 s13, s13, exec_lo
	s_or_b32 s5, s5, s13
.LBB177_48:                             ;   in Loop: Header=BB177_41 Depth=2
	s_or_b32 exec_lo, exec_lo, s12
	s_delay_alu instid0(SALU_CYCLE_1)
	s_and_b32 s5, s5, exec_lo
.LBB177_49:                             ;   in Loop: Header=BB177_41 Depth=2
	s_and_not1_saveexec_b32 s4, s4
	s_cbranch_execz .LBB177_40
; %bb.50:                               ;   in Loop: Header=BB177_41 Depth=2
	v_lshl_add_u32 v9, v8, 2, v16
	s_and_not1_b32 s5, s5, exec_lo
	ds_add_f32 v9, v7
	s_branch .LBB177_40
.LBB177_51:
	s_nop 0
	s_sendmsg sendmsg(MSG_DEALLOC_VGPRS)
	s_endpgm
	.section	.rodata,"a",@progbits
	.p2align	6, 0x0
	.amdhsa_kernel _ZN9rocsparseL23csrgemm_fill_wf_per_rowILj256ELj16ELj32ELj137ElifEEvT4_S1_PKS1_S3_NS_24const_host_device_scalarIT5_EEPKT3_S3_PKS5_S9_S3_SB_S6_S9_S3_SB_S9_PS1_PS5_21rocsparse_index_base_SE_SE_SE_bbb
		.amdhsa_group_segment_fixed_size 4096
		.amdhsa_private_segment_fixed_size 0
		.amdhsa_kernarg_size 156
		.amdhsa_user_sgpr_count 15
		.amdhsa_user_sgpr_dispatch_ptr 0
		.amdhsa_user_sgpr_queue_ptr 0
		.amdhsa_user_sgpr_kernarg_segment_ptr 1
		.amdhsa_user_sgpr_dispatch_id 0
		.amdhsa_user_sgpr_private_segment_size 0
		.amdhsa_wavefront_size32 1
		.amdhsa_uses_dynamic_stack 0
		.amdhsa_enable_private_segment 0
		.amdhsa_system_sgpr_workgroup_id_x 1
		.amdhsa_system_sgpr_workgroup_id_y 0
		.amdhsa_system_sgpr_workgroup_id_z 0
		.amdhsa_system_sgpr_workgroup_info 0
		.amdhsa_system_vgpr_workitem_id 0
		.amdhsa_next_free_vgpr 27
		.amdhsa_next_free_sgpr 44
		.amdhsa_reserve_vcc 1
		.amdhsa_float_round_mode_32 0
		.amdhsa_float_round_mode_16_64 0
		.amdhsa_float_denorm_mode_32 3
		.amdhsa_float_denorm_mode_16_64 3
		.amdhsa_dx10_clamp 1
		.amdhsa_ieee_mode 1
		.amdhsa_fp16_overflow 0
		.amdhsa_workgroup_processor_mode 1
		.amdhsa_memory_ordered 1
		.amdhsa_forward_progress 0
		.amdhsa_shared_vgpr_count 0
		.amdhsa_exception_fp_ieee_invalid_op 0
		.amdhsa_exception_fp_denorm_src 0
		.amdhsa_exception_fp_ieee_div_zero 0
		.amdhsa_exception_fp_ieee_overflow 0
		.amdhsa_exception_fp_ieee_underflow 0
		.amdhsa_exception_fp_ieee_inexact 0
		.amdhsa_exception_int_div_zero 0
	.end_amdhsa_kernel
	.section	.text._ZN9rocsparseL23csrgemm_fill_wf_per_rowILj256ELj16ELj32ELj137ElifEEvT4_S1_PKS1_S3_NS_24const_host_device_scalarIT5_EEPKT3_S3_PKS5_S9_S3_SB_S6_S9_S3_SB_S9_PS1_PS5_21rocsparse_index_base_SE_SE_SE_bbb,"axG",@progbits,_ZN9rocsparseL23csrgemm_fill_wf_per_rowILj256ELj16ELj32ELj137ElifEEvT4_S1_PKS1_S3_NS_24const_host_device_scalarIT5_EEPKT3_S3_PKS5_S9_S3_SB_S6_S9_S3_SB_S9_PS1_PS5_21rocsparse_index_base_SE_SE_SE_bbb,comdat
.Lfunc_end177:
	.size	_ZN9rocsparseL23csrgemm_fill_wf_per_rowILj256ELj16ELj32ELj137ElifEEvT4_S1_PKS1_S3_NS_24const_host_device_scalarIT5_EEPKT3_S3_PKS5_S9_S3_SB_S6_S9_S3_SB_S9_PS1_PS5_21rocsparse_index_base_SE_SE_SE_bbb, .Lfunc_end177-_ZN9rocsparseL23csrgemm_fill_wf_per_rowILj256ELj16ELj32ELj137ElifEEvT4_S1_PKS1_S3_NS_24const_host_device_scalarIT5_EEPKT3_S3_PKS5_S9_S3_SB_S6_S9_S3_SB_S9_PS1_PS5_21rocsparse_index_base_SE_SE_SE_bbb
                                        ; -- End function
	.section	.AMDGPU.csdata,"",@progbits
; Kernel info:
; codeLenInByte = 2800
; NumSgprs: 46
; NumVgprs: 27
; ScratchSize: 0
; MemoryBound: 0
; FloatMode: 240
; IeeeMode: 1
; LDSByteSize: 4096 bytes/workgroup (compile time only)
; SGPRBlocks: 5
; VGPRBlocks: 3
; NumSGPRsForWavesPerEU: 46
; NumVGPRsForWavesPerEU: 27
; Occupancy: 16
; WaveLimiterHint : 1
; COMPUTE_PGM_RSRC2:SCRATCH_EN: 0
; COMPUTE_PGM_RSRC2:USER_SGPR: 15
; COMPUTE_PGM_RSRC2:TRAP_HANDLER: 0
; COMPUTE_PGM_RSRC2:TGID_X_EN: 1
; COMPUTE_PGM_RSRC2:TGID_Y_EN: 0
; COMPUTE_PGM_RSRC2:TGID_Z_EN: 0
; COMPUTE_PGM_RSRC2:TIDIG_COMP_CNT: 0
	.section	.text._ZN9rocsparseL26csrgemm_fill_block_per_rowILj128ELj16ELj256ELj137ELj32ElifEEvT5_PKS1_S3_NS_24const_host_device_scalarIT6_EEPKT4_S3_PKS5_S9_S3_SB_S6_S9_S3_SB_S9_PS1_PS5_21rocsparse_index_base_SE_SE_SE_bbb,"axG",@progbits,_ZN9rocsparseL26csrgemm_fill_block_per_rowILj128ELj16ELj256ELj137ELj32ElifEEvT5_PKS1_S3_NS_24const_host_device_scalarIT6_EEPKT4_S3_PKS5_S9_S3_SB_S6_S9_S3_SB_S9_PS1_PS5_21rocsparse_index_base_SE_SE_SE_bbb,comdat
	.globl	_ZN9rocsparseL26csrgemm_fill_block_per_rowILj128ELj16ELj256ELj137ELj32ElifEEvT5_PKS1_S3_NS_24const_host_device_scalarIT6_EEPKT4_S3_PKS5_S9_S3_SB_S6_S9_S3_SB_S9_PS1_PS5_21rocsparse_index_base_SE_SE_SE_bbb ; -- Begin function _ZN9rocsparseL26csrgemm_fill_block_per_rowILj128ELj16ELj256ELj137ELj32ElifEEvT5_PKS1_S3_NS_24const_host_device_scalarIT6_EEPKT4_S3_PKS5_S9_S3_SB_S6_S9_S3_SB_S9_PS1_PS5_21rocsparse_index_base_SE_SE_SE_bbb
	.p2align	8
	.type	_ZN9rocsparseL26csrgemm_fill_block_per_rowILj128ELj16ELj256ELj137ELj32ElifEEvT5_PKS1_S3_NS_24const_host_device_scalarIT6_EEPKT4_S3_PKS5_S9_S3_SB_S6_S9_S3_SB_S9_PS1_PS5_21rocsparse_index_base_SE_SE_SE_bbb,@function
_ZN9rocsparseL26csrgemm_fill_block_per_rowILj128ELj16ELj256ELj137ELj32ElifEEvT5_PKS1_S3_NS_24const_host_device_scalarIT6_EEPKT4_S3_PKS5_S9_S3_SB_S6_S9_S3_SB_S9_PS1_PS5_21rocsparse_index_base_SE_SE_SE_bbb: ; @_ZN9rocsparseL26csrgemm_fill_block_per_rowILj128ELj16ELj256ELj137ELj32ElifEEvT5_PKS1_S3_NS_24const_host_device_scalarIT6_EEPKT4_S3_PKS5_S9_S3_SB_S6_S9_S3_SB_S9_PS1_PS5_21rocsparse_index_base_SE_SE_SE_bbb
; %bb.0:
	s_clause 0x2
	s_load_b32 s6, s[0:1], 0x98
	s_load_b64 s[4:5], s[0:1], 0x18
	s_load_b64 s[2:3], s[0:1], 0x50
	s_waitcnt lgkmcnt(0)
	s_bitcmp1_b32 s6, 0
	s_cselect_b32 s13, -1, 0
	s_bitcmp1_b32 s6, 16
	s_cselect_b32 s7, -1, 0
	s_xor_b32 s8, s13, -1
	s_delay_alu instid0(SALU_CYCLE_1) | instskip(NEXT) | instid1(SALU_CYCLE_1)
	s_or_b32 s8, s8, s7
	s_and_b32 vcc_lo, exec_lo, s8
	s_cbranch_vccnz .LBB178_2
; %bb.1:
	s_load_b32 s4, s[4:5], 0x0
	s_waitcnt lgkmcnt(0)
	v_mov_b32_e32 v12, s4
	s_branch .LBB178_3
.LBB178_2:
	v_cndmask_b32_e64 v12, 0, s4, s13
.LBB178_3:
	s_load_b128 s[24:27], s[0:1], 0x88
	s_bitcmp1_b32 s6, 8
	s_cselect_b32 s33, -1, 0
	s_delay_alu instid0(SALU_CYCLE_1) | instskip(NEXT) | instid1(SALU_CYCLE_1)
	s_xor_b32 s4, s33, -1
	s_or_b32 s4, s4, s7
	s_delay_alu instid0(SALU_CYCLE_1)
	s_and_b32 vcc_lo, exec_lo, s4
	s_cbranch_vccnz .LBB178_5
; %bb.4:
	s_load_b32 s2, s[2:3], 0x0
	s_waitcnt lgkmcnt(0)
	v_mov_b32_e32 v11, s2
	s_branch .LBB178_6
.LBB178_5:
	v_cndmask_b32_e64 v11, 0, s2, s33
.LBB178_6:
	s_clause 0x5
	s_load_b128 s[28:31], s[0:1], 0x78
	s_load_b256 s[4:11], s[0:1], 0x58
	s_load_b128 s[36:39], s[0:1], 0x40
	s_load_b256 s[16:23], s[0:1], 0x20
	s_load_b128 s[40:43], s[0:1], 0x8
	s_load_b32 s14, s[0:1], 0x0
	v_cmp_gt_u32_e64 s0, 0x100, v0
	v_or_b32_e32 v9, 0xffffff80, v0
	v_lshl_add_u32 v10, v0, 2, 0
	s_delay_alu instid0(VALU_DEP_3)
	s_and_saveexec_b32 s1, s0
	s_cbranch_execz .LBB178_9
; %bb.7:
	v_or_b32_e32 v1, 0xffffff80, v0
	v_lshl_add_u32 v2, v0, 2, 0
	s_waitcnt lgkmcnt(0)
	v_dual_mov_b32 v3, s14 :: v_dual_mov_b32 v4, 0
	s_mov_b32 s2, 0
.LBB178_8:                              ; =>This Inner Loop Header: Depth=1
	v_add_co_u32 v1, s3, 0x80, v1
	s_delay_alu instid0(VALU_DEP_1) | instskip(SKIP_3) | instid1(SALU_CYCLE_1)
	s_xor_b32 s3, s3, -1
	ds_store_2addr_stride64_b32 v2, v3, v4 offset1:4
	v_add_nc_u32_e32 v2, 0x200, v2
	s_and_b32 s3, exec_lo, s3
	s_or_b32 s2, s3, s2
	s_delay_alu instid0(SALU_CYCLE_1)
	s_and_not1_b32 exec_lo, exec_lo, s2
	s_cbranch_execnz .LBB178_8
.LBB178_9:
	s_or_b32 exec_lo, exec_lo, s1
	s_waitcnt lgkmcnt(0)
	s_barrier
	buffer_gl0_inv
	s_load_b32 s1, s[40:41], 0x0
	s_mov_b32 s3, 0
	s_waitcnt lgkmcnt(0)
	s_add_i32 s2, s1, s15
	s_delay_alu instid0(SALU_CYCLE_1) | instskip(NEXT) | instid1(SALU_CYCLE_1)
	s_lshl_b64 s[2:3], s[2:3], 2
	s_add_u32 s2, s42, s2
	s_addc_u32 s3, s43, s3
	s_and_b32 vcc_lo, exec_lo, s13
	s_load_b32 s12, s[2:3], 0x0
	s_cbranch_vccz .LBB178_29
; %bb.10:
	s_waitcnt lgkmcnt(0)
	s_ashr_i32 s13, s12, 31
	v_lshrrev_b32_e32 v1, 4, v0
	s_lshl_b64 s[2:3], s[12:13], 3
	s_delay_alu instid0(SALU_CYCLE_1) | instskip(SKIP_1) | instid1(VALU_DEP_1)
	s_add_u32 s2, s16, s2
	s_addc_u32 s3, s17, s3
	v_sub_co_u32 v1, s1, v1, s24
	s_load_b128 s[40:43], s[2:3], 0x0
	v_sub_co_ci_u32_e64 v2, null, 0, 0, s1
	s_mov_b32 s1, exec_lo
	s_waitcnt lgkmcnt(0)
	v_add_co_u32 v1, vcc_lo, s40, v1
	s_delay_alu instid0(VALU_DEP_2)
	v_add_co_ci_u32_e32 v2, vcc_lo, s41, v2, vcc_lo
	s_sub_u32 s2, s42, s24
	s_subb_u32 s3, s43, 0
	s_delay_alu instid0(VALU_DEP_1) | instid1(SALU_CYCLE_1)
	v_cmpx_gt_i64_e64 s[2:3], v[1:2]
	s_cbranch_execz .LBB178_28
; %bb.11:
	v_and_b32_e32 v3, 15, v0
	s_mov_b32 s15, s25
	s_delay_alu instid0(VALU_DEP_1) | instskip(NEXT) | instid1(VALU_DEP_1)
	v_sub_co_u32 v13, s13, v3, s25
	v_sub_co_ci_u32_e64 v14, null, 0, 0, s13
	s_mov_b32 s13, 0
	s_branch .LBB178_13
.LBB178_12:                             ;   in Loop: Header=BB178_13 Depth=1
	s_or_b32 exec_lo, exec_lo, s16
	v_add_co_u32 v1, vcc_lo, v1, 8
	v_add_co_ci_u32_e32 v2, vcc_lo, 0, v2, vcc_lo
	s_delay_alu instid0(VALU_DEP_1) | instskip(SKIP_1) | instid1(SALU_CYCLE_1)
	v_cmp_le_i64_e32 vcc_lo, s[2:3], v[1:2]
	s_or_b32 s13, vcc_lo, s13
	s_and_not1_b32 exec_lo, exec_lo, s13
	s_cbranch_execz .LBB178_28
.LBB178_13:                             ; =>This Loop Header: Depth=1
                                        ;     Child Loop BB178_16 Depth 2
                                        ;       Child Loop BB178_18 Depth 3
	v_lshlrev_b64 v[7:8], 2, v[1:2]
	s_mov_b32 s16, exec_lo
	s_delay_alu instid0(VALU_DEP_1) | instskip(NEXT) | instid1(VALU_DEP_2)
	v_add_co_u32 v3, vcc_lo, s18, v7
	v_add_co_ci_u32_e32 v4, vcc_lo, s19, v8, vcc_lo
	global_load_b32 v3, v[3:4], off
	s_waitcnt vmcnt(0)
	v_subrev_nc_u32_e32 v3, s24, v3
	s_delay_alu instid0(VALU_DEP_1) | instskip(NEXT) | instid1(VALU_DEP_1)
	v_ashrrev_i32_e32 v4, 31, v3
	v_lshlrev_b64 v[3:4], 3, v[3:4]
	s_delay_alu instid0(VALU_DEP_1) | instskip(NEXT) | instid1(VALU_DEP_2)
	v_add_co_u32 v3, vcc_lo, s22, v3
	v_add_co_ci_u32_e32 v4, vcc_lo, s23, v4, vcc_lo
	global_load_b128 v[15:18], v[3:4], off
	s_waitcnt vmcnt(0)
	v_sub_co_u32 v3, vcc_lo, v17, s15
	v_subrev_co_ci_u32_e32 v4, vcc_lo, 0, v18, vcc_lo
	v_add_co_u32 v5, vcc_lo, v15, v13
	v_add_co_ci_u32_e32 v6, vcc_lo, v16, v14, vcc_lo
	s_delay_alu instid0(VALU_DEP_1)
	v_cmpx_lt_i64_e64 v[5:6], v[3:4]
	s_cbranch_execz .LBB178_12
; %bb.14:                               ;   in Loop: Header=BB178_13 Depth=1
	v_add_co_u32 v7, vcc_lo, s20, v7
	v_add_co_ci_u32_e32 v8, vcc_lo, s21, v8, vcc_lo
	s_mov_b32 s17, 0
	global_load_b32 v7, v[7:8], off
	s_waitcnt vmcnt(0)
	v_mul_f32_e32 v7, v12, v7
	s_branch .LBB178_16
.LBB178_15:                             ;   in Loop: Header=BB178_16 Depth=2
	s_or_b32 exec_lo, exec_lo, s34
	v_add_co_u32 v5, vcc_lo, v5, 16
	v_add_co_ci_u32_e32 v6, vcc_lo, 0, v6, vcc_lo
	s_delay_alu instid0(VALU_DEP_1) | instskip(SKIP_1) | instid1(SALU_CYCLE_1)
	v_cmp_ge_i64_e32 vcc_lo, v[5:6], v[3:4]
	s_or_b32 s17, vcc_lo, s17
	s_and_not1_b32 exec_lo, exec_lo, s17
	s_cbranch_execz .LBB178_12
.LBB178_16:                             ;   Parent Loop BB178_13 Depth=1
                                        ; =>  This Loop Header: Depth=2
                                        ;       Child Loop BB178_18 Depth 3
	v_lshlrev_b64 v[15:16], 2, v[5:6]
	s_mov_b32 s34, 0
	s_delay_alu instid0(VALU_DEP_1) | instskip(NEXT) | instid1(VALU_DEP_2)
	v_add_co_u32 v17, vcc_lo, s36, v15
	v_add_co_ci_u32_e32 v18, vcc_lo, s37, v16, vcc_lo
	v_add_co_u32 v15, vcc_lo, s38, v15
	v_add_co_ci_u32_e32 v16, vcc_lo, s39, v16, vcc_lo
	global_load_b32 v8, v[17:18], off
	global_load_b32 v15, v[15:16], off
	s_waitcnt vmcnt(1)
	v_subrev_nc_u32_e32 v8, s25, v8
	s_delay_alu instid0(VALU_DEP_1) | instskip(SKIP_1) | instid1(VALU_DEP_1)
	v_mul_lo_u32 v16, 0x89, v8
	s_waitcnt vmcnt(0)
	v_dual_mul_f32 v15, v7, v15 :: v_dual_and_b32 v16, 0xff, v16
	s_branch .LBB178_18
.LBB178_17:                             ;   in Loop: Header=BB178_18 Depth=3
	s_or_b32 exec_lo, exec_lo, s35
	s_xor_b32 s35, s40, -1
	s_delay_alu instid0(SALU_CYCLE_1) | instskip(NEXT) | instid1(SALU_CYCLE_1)
	s_and_b32 s35, exec_lo, s35
	s_or_b32 s34, s35, s34
	s_delay_alu instid0(SALU_CYCLE_1)
	s_and_not1_b32 exec_lo, exec_lo, s34
	s_cbranch_execz .LBB178_15
.LBB178_18:                             ;   Parent Loop BB178_13 Depth=1
                                        ;     Parent Loop BB178_16 Depth=2
                                        ; =>    This Inner Loop Header: Depth=3
	s_delay_alu instid0(VALU_DEP_1)
	v_lshl_add_u32 v17, v16, 2, 0
	s_mov_b32 s35, exec_lo
                                        ; implicit-def: $sgpr40
	ds_load_b32 v18, v17
	s_waitcnt lgkmcnt(0)
	v_cmpx_ne_u32_e64 v18, v8
	s_xor_b32 s35, exec_lo, s35
	s_cbranch_execz .LBB178_26
; %bb.19:                               ;   in Loop: Header=BB178_18 Depth=3
	s_mov_b32 s41, exec_lo
                                        ; implicit-def: $sgpr40
	v_cmpx_ne_u32_e64 s14, v18
	s_xor_b32 s41, exec_lo, s41
; %bb.20:                               ;   in Loop: Header=BB178_18 Depth=3
	v_add_nc_u32_e32 v16, 1, v16
	s_mov_b32 s40, -1
                                        ; implicit-def: $vgpr17
	s_delay_alu instid0(VALU_DEP_1)
	v_and_b32_e32 v16, 0xff, v16
; %bb.21:                               ;   in Loop: Header=BB178_18 Depth=3
	s_and_not1_saveexec_b32 s41, s41
	s_cbranch_execz .LBB178_25
; %bb.22:                               ;   in Loop: Header=BB178_18 Depth=3
	v_mov_b32_e32 v18, s14
	s_mov_b32 s42, -1
	s_mov_b32 s43, exec_lo
	ds_cmpstore_rtn_b32 v18, v17, v8, v18
	s_waitcnt lgkmcnt(0)
	v_cmpx_eq_u32_e64 s14, v18
	s_cbranch_execz .LBB178_24
; %bb.23:                               ;   in Loop: Header=BB178_18 Depth=3
	ds_add_f32 v17, v15 offset:1024
	s_xor_b32 s42, exec_lo, -1
.LBB178_24:                             ;   in Loop: Header=BB178_18 Depth=3
	s_or_b32 exec_lo, exec_lo, s43
	s_delay_alu instid0(SALU_CYCLE_1) | instskip(SKIP_1) | instid1(SALU_CYCLE_1)
	s_and_not1_b32 s40, s40, exec_lo
	s_and_b32 s42, s42, exec_lo
	s_or_b32 s40, s40, s42
.LBB178_25:                             ;   in Loop: Header=BB178_18 Depth=3
	s_or_b32 exec_lo, exec_lo, s41
	s_delay_alu instid0(SALU_CYCLE_1)
	s_and_b32 s40, s40, exec_lo
                                        ; implicit-def: $vgpr17
.LBB178_26:                             ;   in Loop: Header=BB178_18 Depth=3
	s_and_not1_saveexec_b32 s35, s35
	s_cbranch_execz .LBB178_17
; %bb.27:                               ;   in Loop: Header=BB178_18 Depth=3
	ds_add_f32 v17, v15 offset:1024
	s_and_not1_b32 s40, s40, exec_lo
	s_branch .LBB178_17
.LBB178_28:
	s_or_b32 exec_lo, exec_lo, s1
.LBB178_29:
	s_delay_alu instid0(SALU_CYCLE_1)
	s_and_not1_b32 vcc_lo, exec_lo, s33
	s_cbranch_vccnz .LBB178_32
; %bb.30:
	s_waitcnt lgkmcnt(0)
	s_ashr_i32 s13, s12, 31
	v_sub_co_u32 v1, s1, v0, s27
	s_lshl_b64 s[2:3], s[12:13], 3
	v_sub_co_ci_u32_e64 v2, null, 0, 0, s1
	s_add_u32 s2, s4, s2
	s_addc_u32 s3, s5, s3
	s_mov_b32 s4, 0
	s_load_b128 s[16:19], s[2:3], 0x0
	s_mov_b32 s1, exec_lo
	s_waitcnt lgkmcnt(0)
	v_add_co_u32 v1, vcc_lo, s16, v1
	v_add_co_ci_u32_e32 v2, vcc_lo, s17, v2, vcc_lo
	s_sub_u32 s2, s18, s27
	s_subb_u32 s3, s19, 0
	s_delay_alu instid0(VALU_DEP_1) | instid1(SALU_CYCLE_1)
	v_cmpx_gt_i64_e64 s[2:3], v[1:2]
	s_cbranch_execnz .LBB178_46
.LBB178_31:
	s_or_b32 exec_lo, exec_lo, s1
.LBB178_32:
	s_waitcnt lgkmcnt(0)
	s_barrier
	buffer_gl0_inv
	s_and_saveexec_b32 s4, s0
	s_cbranch_execz .LBB178_58
; %bb.33:
	v_mbcnt_lo_u32_b32 v1, -1, 0
	v_lshrrev_b32_e32 v2, 3, v0
	v_cmp_eq_u32_e32 vcc_lo, 0x7f, v0
	v_cmp_lt_u32_e64 s0, 31, v0
	v_cmp_lt_u32_e64 s1, 63, v0
	v_xor_b32_e32 v1, 63, v1
	v_dual_mov_b32 v6, 0 :: v_dual_and_b32 v3, 12, v2
	v_cmp_lt_u32_e64 s2, 0x5f, v0
	s_mov_b32 s5, 0
	s_delay_alu instid0(VALU_DEP_3) | instskip(NEXT) | instid1(VALU_DEP_3)
	v_lshrrev_b64 v[1:2], v1, -1
	v_dual_mov_b32 v5, 0 :: v_dual_add_nc_u32 v4, 0, v3
	s_branch .LBB178_35
.LBB178_34:                             ;   in Loop: Header=BB178_35 Depth=1
	s_or_b32 exec_lo, exec_lo, s3
	s_waitcnt lgkmcnt(0)
	s_barrier
	buffer_gl0_inv
	ds_load_b32 v2, v5 offset:2060
	v_add_co_u32 v9, s3, 0x80, v9
	s_delay_alu instid0(VALU_DEP_1) | instskip(SKIP_2) | instid1(SALU_CYCLE_1)
	s_xor_b32 s3, s3, -1
	v_add_nc_u32_e32 v10, 0x200, v10
	s_and_b32 s3, exec_lo, s3
	s_or_b32 s5, s3, s5
	s_waitcnt lgkmcnt(0)
	v_add_nc_u32_e32 v6, v2, v6
	s_and_not1_b32 exec_lo, exec_lo, s5
	s_cbranch_execz .LBB178_58
.LBB178_35:                             ; =>This Inner Loop Header: Depth=1
	ds_load_2addr_stride64_b32 v[2:3], v10 offset1:4
	s_waitcnt lgkmcnt(0)
	s_barrier
	buffer_gl0_inv
	v_cmp_gt_i32_e64 s3, s14, v2
	s_delay_alu instid0(VALU_DEP_1) | instskip(NEXT) | instid1(SALU_CYCLE_1)
	s_bcnt1_i32_b32 s6, s3
	v_dual_mov_b32 v8, s6 :: v_dual_and_b32 v7, s3, v1
	s_delay_alu instid0(VALU_DEP_1)
	v_bcnt_u32_b32 v7, v7, 0
	ds_store_b32 v4, v8 offset:2048
	s_waitcnt lgkmcnt(0)
	s_barrier
	buffer_gl0_inv
	s_and_saveexec_b32 s6, s0
	s_cbranch_execnz .LBB178_40
; %bb.36:                               ;   in Loop: Header=BB178_35 Depth=1
	s_or_b32 exec_lo, exec_lo, s6
	s_and_saveexec_b32 s6, s1
	s_cbranch_execnz .LBB178_41
.LBB178_37:                             ;   in Loop: Header=BB178_35 Depth=1
	s_or_b32 exec_lo, exec_lo, s6
	s_and_saveexec_b32 s6, s2
	s_cbranch_execnz .LBB178_42
.LBB178_38:                             ;   in Loop: Header=BB178_35 Depth=1
	s_or_b32 exec_lo, exec_lo, s6
	s_and_saveexec_b32 s6, s3
	s_cbranch_execnz .LBB178_43
.LBB178_39:                             ;   in Loop: Header=BB178_35 Depth=1
	s_or_b32 exec_lo, exec_lo, s6
	s_and_saveexec_b32 s3, vcc_lo
	s_cbranch_execz .LBB178_34
	s_branch .LBB178_44
.LBB178_40:                             ;   in Loop: Header=BB178_35 Depth=1
	ds_load_b32 v8, v5 offset:2048
	s_waitcnt lgkmcnt(0)
	v_add_nc_u32_e32 v7, v8, v7
	s_or_b32 exec_lo, exec_lo, s6
	s_and_saveexec_b32 s6, s1
	s_cbranch_execz .LBB178_37
.LBB178_41:                             ;   in Loop: Header=BB178_35 Depth=1
	ds_load_b32 v8, v5 offset:2052
	s_waitcnt lgkmcnt(0)
	v_add_nc_u32_e32 v7, v8, v7
	s_or_b32 exec_lo, exec_lo, s6
	s_and_saveexec_b32 s6, s2
	s_cbranch_execz .LBB178_38
.LBB178_42:                             ;   in Loop: Header=BB178_35 Depth=1
	ds_load_b32 v8, v5 offset:2056
	s_waitcnt lgkmcnt(0)
	v_add_nc_u32_e32 v7, v8, v7
	s_or_b32 exec_lo, exec_lo, s6
	s_and_saveexec_b32 s6, s3
	s_cbranch_execz .LBB178_39
.LBB178_43:                             ;   in Loop: Header=BB178_35 Depth=1
	s_delay_alu instid0(VALU_DEP_1) | instskip(NEXT) | instid1(VALU_DEP_1)
	v_add3_u32 v8, v6, -1, v7
	v_lshl_add_u32 v8, v8, 2, 0
	ds_store_2addr_stride64_b32 v8, v2, v3 offset1:4
	s_or_b32 exec_lo, exec_lo, s6
	s_and_saveexec_b32 s3, vcc_lo
	s_cbranch_execz .LBB178_34
.LBB178_44:                             ;   in Loop: Header=BB178_35 Depth=1
	ds_store_b32 v5, v7 offset:2060
	s_branch .LBB178_34
.LBB178_45:                             ;   in Loop: Header=BB178_46 Depth=1
	s_or_b32 exec_lo, exec_lo, s5
	v_add_co_u32 v1, vcc_lo, 0x80, v1
	v_add_co_ci_u32_e32 v2, vcc_lo, 0, v2, vcc_lo
	s_delay_alu instid0(VALU_DEP_1) | instskip(SKIP_1) | instid1(SALU_CYCLE_1)
	v_cmp_le_i64_e32 vcc_lo, s[2:3], v[1:2]
	s_or_b32 s4, vcc_lo, s4
	s_and_not1_b32 exec_lo, exec_lo, s4
	s_cbranch_execz .LBB178_31
.LBB178_46:                             ; =>This Loop Header: Depth=1
                                        ;     Child Loop BB178_48 Depth 2
	v_lshlrev_b64 v[3:4], 2, v[1:2]
	s_mov_b32 s5, 0
	s_delay_alu instid0(VALU_DEP_1) | instskip(NEXT) | instid1(VALU_DEP_2)
	v_add_co_u32 v5, vcc_lo, s6, v3
	v_add_co_ci_u32_e32 v6, vcc_lo, s7, v4, vcc_lo
	v_add_co_u32 v3, vcc_lo, s8, v3
	v_add_co_ci_u32_e32 v4, vcc_lo, s9, v4, vcc_lo
	global_load_b32 v5, v[5:6], off
	global_load_b32 v4, v[3:4], off
	s_waitcnt vmcnt(1)
	v_subrev_nc_u32_e32 v3, s27, v5
	s_delay_alu instid0(VALU_DEP_1) | instskip(SKIP_1) | instid1(VALU_DEP_1)
	v_mul_lo_u32 v5, 0x89, v3
	s_waitcnt vmcnt(0)
	v_dual_mul_f32 v4, v11, v4 :: v_dual_and_b32 v5, 0xff, v5
	s_branch .LBB178_48
.LBB178_47:                             ;   in Loop: Header=BB178_48 Depth=2
	s_or_b32 exec_lo, exec_lo, s13
	s_xor_b32 s13, s15, -1
	s_delay_alu instid0(SALU_CYCLE_1) | instskip(NEXT) | instid1(SALU_CYCLE_1)
	s_and_b32 s13, exec_lo, s13
	s_or_b32 s5, s13, s5
	s_delay_alu instid0(SALU_CYCLE_1)
	s_and_not1_b32 exec_lo, exec_lo, s5
	s_cbranch_execz .LBB178_45
.LBB178_48:                             ;   Parent Loop BB178_46 Depth=1
                                        ; =>  This Inner Loop Header: Depth=2
	s_delay_alu instid0(VALU_DEP_1)
	v_lshl_add_u32 v6, v5, 2, 0
	s_mov_b32 s13, exec_lo
                                        ; implicit-def: $sgpr15
	ds_load_b32 v7, v6
	s_waitcnt lgkmcnt(0)
	v_cmpx_ne_u32_e64 v7, v3
	s_xor_b32 s13, exec_lo, s13
	s_cbranch_execz .LBB178_56
; %bb.49:                               ;   in Loop: Header=BB178_48 Depth=2
	s_mov_b32 s16, exec_lo
                                        ; implicit-def: $sgpr15
	v_cmpx_ne_u32_e64 s14, v7
	s_xor_b32 s16, exec_lo, s16
; %bb.50:                               ;   in Loop: Header=BB178_48 Depth=2
	v_add_nc_u32_e32 v5, 1, v5
	s_mov_b32 s15, -1
                                        ; implicit-def: $vgpr6
	s_delay_alu instid0(VALU_DEP_1)
	v_and_b32_e32 v5, 0xff, v5
; %bb.51:                               ;   in Loop: Header=BB178_48 Depth=2
	s_and_not1_saveexec_b32 s16, s16
	s_cbranch_execz .LBB178_55
; %bb.52:                               ;   in Loop: Header=BB178_48 Depth=2
	v_mov_b32_e32 v7, s14
	s_mov_b32 s17, -1
	s_mov_b32 s18, exec_lo
	ds_cmpstore_rtn_b32 v7, v6, v3, v7
	s_waitcnt lgkmcnt(0)
	v_cmpx_eq_u32_e64 s14, v7
	s_cbranch_execz .LBB178_54
; %bb.53:                               ;   in Loop: Header=BB178_48 Depth=2
	ds_add_f32 v6, v4 offset:1024
	s_xor_b32 s17, exec_lo, -1
.LBB178_54:                             ;   in Loop: Header=BB178_48 Depth=2
	s_or_b32 exec_lo, exec_lo, s18
	s_delay_alu instid0(SALU_CYCLE_1) | instskip(SKIP_1) | instid1(SALU_CYCLE_1)
	s_and_not1_b32 s15, s15, exec_lo
	s_and_b32 s17, s17, exec_lo
	s_or_b32 s15, s15, s17
.LBB178_55:                             ;   in Loop: Header=BB178_48 Depth=2
	s_or_b32 exec_lo, exec_lo, s16
	s_delay_alu instid0(SALU_CYCLE_1)
	s_and_b32 s15, s15, exec_lo
                                        ; implicit-def: $vgpr6
.LBB178_56:                             ;   in Loop: Header=BB178_48 Depth=2
	s_and_not1_saveexec_b32 s13, s13
	s_cbranch_execz .LBB178_47
; %bb.57:                               ;   in Loop: Header=BB178_48 Depth=2
	ds_add_f32 v6, v4 offset:1024
	s_and_not1_b32 s15, s15, exec_lo
	s_branch .LBB178_47
.LBB178_58:
	s_or_b32 exec_lo, exec_lo, s4
	s_ashr_i32 s13, s12, 31
	s_mov_b32 s4, exec_lo
	s_lshl_b64 s[0:1], s[12:13], 3
	s_delay_alu instid0(SALU_CYCLE_1) | instskip(SKIP_4) | instid1(SALU_CYCLE_1)
	s_add_u32 s0, s10, s0
	s_addc_u32 s1, s11, s1
	s_load_b128 s[0:3], s[0:1], 0x0
	s_waitcnt lgkmcnt(0)
	s_sub_i32 s3, s2, s0
	v_cmpx_gt_i32_e64 s3, v0
	s_cbranch_execz .LBB178_68
; %bb.59:
	s_sub_u32 s4, s0, s26
	s_subb_u32 s5, s1, 0
	s_sub_i32 s0, s0, s2
	s_and_b32 s1, s3, 7
	s_cmp_lt_u32 s0, -7
	s_mov_b32 s8, 0
	s_cselect_b32 s2, -1, 0
	s_and_b32 s6, s3, -8
	s_cmp_lg_u32 s1, 0
	s_cselect_b32 s7, -1, 0
	s_branch .LBB178_61
.LBB178_60:                             ;   in Loop: Header=BB178_61 Depth=1
	s_delay_alu instid0(VALU_DEP_1) | instskip(SKIP_3) | instid1(VALU_DEP_3)
	v_lshlrev_b64 v[3:4], 2, v[3:4]
	v_add_nc_u32_e32 v0, 0x80, v0
	s_waitcnt lgkmcnt(0)
	v_add_nc_u32_e32 v1, s26, v1
	v_add_co_u32 v5, vcc_lo, s28, v3
	s_delay_alu instid0(VALU_DEP_4) | instskip(SKIP_2) | instid1(VALU_DEP_1)
	v_add_co_ci_u32_e32 v6, vcc_lo, s29, v4, vcc_lo
	v_cmp_le_i32_e32 vcc_lo, s3, v0
	v_add_co_u32 v3, s0, s30, v3
	v_add_co_ci_u32_e64 v4, s0, s31, v4, s0
	s_or_b32 s8, vcc_lo, s8
	global_store_b32 v[5:6], v1, off
	global_store_b32 v[3:4], v2, off
	s_and_not1_b32 exec_lo, exec_lo, s8
	s_cbranch_execz .LBB178_68
.LBB178_61:                             ; =>This Loop Header: Depth=1
                                        ;     Child Loop BB178_63 Depth 2
                                        ;     Child Loop BB178_67 Depth 2
	v_lshl_add_u32 v1, v0, 2, 0
	v_dual_mov_b32 v3, s4 :: v_dual_mov_b32 v4, s5
	s_and_not1_b32 vcc_lo, exec_lo, s2
	s_mov_b32 s0, 0
	ds_load_2addr_stride64_b32 v[1:2], v1 offset1:4
	s_cbranch_vccnz .LBB178_65
; %bb.62:                               ;   in Loop: Header=BB178_61 Depth=1
	v_dual_mov_b32 v3, s4 :: v_dual_mov_b32 v4, s5
	s_mov_b32 s9, 0
	s_mov_b32 s10, 0
.LBB178_63:                             ;   Parent Loop BB178_61 Depth=1
                                        ; =>  This Inner Loop Header: Depth=2
	s_delay_alu instid0(SALU_CYCLE_1)
	v_mov_b32_e32 v11, s10
	s_add_i32 s9, s9, 8
	s_add_i32 s10, s10, 32
	s_cmp_eq_u32 s6, s9
	ds_load_2addr_b32 v[5:6], v11 offset1:1
	ds_load_2addr_b32 v[7:8], v11 offset0:2 offset1:3
	ds_load_2addr_b32 v[9:10], v11 offset0:4 offset1:5
	;; [unrolled: 1-line block ×3, first 2 shown]
	s_waitcnt lgkmcnt(3)
	v_cmp_gt_i32_e32 vcc_lo, v1, v5
	v_cndmask_b32_e64 v5, 0, 1, vcc_lo
	v_cmp_gt_i32_e32 vcc_lo, v1, v6
	v_cndmask_b32_e64 v6, 0, 1, vcc_lo
	s_waitcnt lgkmcnt(2)
	v_cmp_gt_i32_e32 vcc_lo, v1, v7
	v_cndmask_b32_e64 v7, 0, 1, vcc_lo
	v_cmp_gt_i32_e32 vcc_lo, v1, v8
	v_cndmask_b32_e64 v8, 0, 1, vcc_lo
	s_waitcnt lgkmcnt(1)
	v_cmp_gt_i32_e32 vcc_lo, v1, v9
	v_cndmask_b32_e64 v9, 0, 1, vcc_lo
	v_add_co_u32 v3, vcc_lo, v3, v5
	v_add_co_ci_u32_e32 v4, vcc_lo, 0, v4, vcc_lo
	v_cmp_gt_i32_e32 vcc_lo, v1, v10
	s_delay_alu instid0(VALU_DEP_3) | instskip(NEXT) | instid1(VALU_DEP_1)
	v_add_co_u32 v3, s0, v3, v6
	v_add_co_ci_u32_e64 v4, s0, 0, v4, s0
	v_cndmask_b32_e64 v5, 0, 1, vcc_lo
	s_delay_alu instid0(VALU_DEP_3) | instskip(NEXT) | instid1(VALU_DEP_3)
	v_add_co_u32 v3, vcc_lo, v3, v7
	v_add_co_ci_u32_e32 v4, vcc_lo, 0, v4, vcc_lo
	s_waitcnt lgkmcnt(0)
	v_cmp_gt_i32_e32 vcc_lo, v1, v11
	s_delay_alu instid0(VALU_DEP_3) | instskip(NEXT) | instid1(VALU_DEP_1)
	v_add_co_u32 v3, s0, v3, v8
	v_add_co_ci_u32_e64 v4, s0, 0, v4, s0
	v_cndmask_b32_e64 v6, 0, 1, vcc_lo
	s_delay_alu instid0(VALU_DEP_3) | instskip(NEXT) | instid1(VALU_DEP_3)
	v_add_co_u32 v3, vcc_lo, v3, v9
	v_add_co_ci_u32_e32 v4, vcc_lo, 0, v4, vcc_lo
	v_cmp_gt_i32_e32 vcc_lo, v1, v12
	s_delay_alu instid0(VALU_DEP_3) | instskip(NEXT) | instid1(VALU_DEP_1)
	v_add_co_u32 v3, s0, v3, v5
	v_add_co_ci_u32_e64 v4, s0, 0, v4, s0
	v_cndmask_b32_e64 v5, 0, 1, vcc_lo
	s_delay_alu instid0(VALU_DEP_3) | instskip(NEXT) | instid1(VALU_DEP_3)
	v_add_co_u32 v3, vcc_lo, v3, v6
	v_add_co_ci_u32_e32 v4, vcc_lo, 0, v4, vcc_lo
	s_delay_alu instid0(VALU_DEP_2) | instskip(NEXT) | instid1(VALU_DEP_2)
	v_add_co_u32 v3, vcc_lo, v3, v5
	v_add_co_ci_u32_e32 v4, vcc_lo, 0, v4, vcc_lo
	s_cbranch_scc0 .LBB178_63
; %bb.64:                               ;   in Loop: Header=BB178_61 Depth=1
	s_mov_b32 s0, s6
.LBB178_65:                             ;   in Loop: Header=BB178_61 Depth=1
	s_and_not1_b32 vcc_lo, exec_lo, s7
	s_cbranch_vccnz .LBB178_60
; %bb.66:                               ;   in Loop: Header=BB178_61 Depth=1
	s_lshl_b32 s0, s0, 2
	s_mov_b32 s9, s1
	s_add_i32 s0, s0, 0
.LBB178_67:                             ;   Parent Loop BB178_61 Depth=1
                                        ; =>  This Inner Loop Header: Depth=2
	s_delay_alu instid0(SALU_CYCLE_1)
	v_mov_b32_e32 v5, s0
	s_add_i32 s9, s9, -1
	s_add_i32 s0, s0, 4
	s_cmp_lg_u32 s9, 0
	ds_load_b32 v5, v5
	s_waitcnt lgkmcnt(0)
	v_cmp_gt_i32_e32 vcc_lo, v1, v5
	v_cndmask_b32_e64 v5, 0, 1, vcc_lo
	s_delay_alu instid0(VALU_DEP_1)
	v_add_co_u32 v3, vcc_lo, v3, v5
	v_add_co_ci_u32_e32 v4, vcc_lo, 0, v4, vcc_lo
	s_cbranch_scc1 .LBB178_67
	s_branch .LBB178_60
.LBB178_68:
	s_nop 0
	s_sendmsg sendmsg(MSG_DEALLOC_VGPRS)
	s_endpgm
	.section	.rodata,"a",@progbits
	.p2align	6, 0x0
	.amdhsa_kernel _ZN9rocsparseL26csrgemm_fill_block_per_rowILj128ELj16ELj256ELj137ELj32ElifEEvT5_PKS1_S3_NS_24const_host_device_scalarIT6_EEPKT4_S3_PKS5_S9_S3_SB_S6_S9_S3_SB_S9_PS1_PS5_21rocsparse_index_base_SE_SE_SE_bbb
		.amdhsa_group_segment_fixed_size 0
		.amdhsa_private_segment_fixed_size 0
		.amdhsa_kernarg_size 156
		.amdhsa_user_sgpr_count 15
		.amdhsa_user_sgpr_dispatch_ptr 0
		.amdhsa_user_sgpr_queue_ptr 0
		.amdhsa_user_sgpr_kernarg_segment_ptr 1
		.amdhsa_user_sgpr_dispatch_id 0
		.amdhsa_user_sgpr_private_segment_size 0
		.amdhsa_wavefront_size32 1
		.amdhsa_uses_dynamic_stack 0
		.amdhsa_enable_private_segment 0
		.amdhsa_system_sgpr_workgroup_id_x 1
		.amdhsa_system_sgpr_workgroup_id_y 0
		.amdhsa_system_sgpr_workgroup_id_z 0
		.amdhsa_system_sgpr_workgroup_info 0
		.amdhsa_system_vgpr_workitem_id 0
		.amdhsa_next_free_vgpr 19
		.amdhsa_next_free_sgpr 44
		.amdhsa_reserve_vcc 1
		.amdhsa_float_round_mode_32 0
		.amdhsa_float_round_mode_16_64 0
		.amdhsa_float_denorm_mode_32 3
		.amdhsa_float_denorm_mode_16_64 3
		.amdhsa_dx10_clamp 1
		.amdhsa_ieee_mode 1
		.amdhsa_fp16_overflow 0
		.amdhsa_workgroup_processor_mode 1
		.amdhsa_memory_ordered 1
		.amdhsa_forward_progress 0
		.amdhsa_shared_vgpr_count 0
		.amdhsa_exception_fp_ieee_invalid_op 0
		.amdhsa_exception_fp_denorm_src 0
		.amdhsa_exception_fp_ieee_div_zero 0
		.amdhsa_exception_fp_ieee_overflow 0
		.amdhsa_exception_fp_ieee_underflow 0
		.amdhsa_exception_fp_ieee_inexact 0
		.amdhsa_exception_int_div_zero 0
	.end_amdhsa_kernel
	.section	.text._ZN9rocsparseL26csrgemm_fill_block_per_rowILj128ELj16ELj256ELj137ELj32ElifEEvT5_PKS1_S3_NS_24const_host_device_scalarIT6_EEPKT4_S3_PKS5_S9_S3_SB_S6_S9_S3_SB_S9_PS1_PS5_21rocsparse_index_base_SE_SE_SE_bbb,"axG",@progbits,_ZN9rocsparseL26csrgemm_fill_block_per_rowILj128ELj16ELj256ELj137ELj32ElifEEvT5_PKS1_S3_NS_24const_host_device_scalarIT6_EEPKT4_S3_PKS5_S9_S3_SB_S6_S9_S3_SB_S9_PS1_PS5_21rocsparse_index_base_SE_SE_SE_bbb,comdat
.Lfunc_end178:
	.size	_ZN9rocsparseL26csrgemm_fill_block_per_rowILj128ELj16ELj256ELj137ELj32ElifEEvT5_PKS1_S3_NS_24const_host_device_scalarIT6_EEPKT4_S3_PKS5_S9_S3_SB_S6_S9_S3_SB_S9_PS1_PS5_21rocsparse_index_base_SE_SE_SE_bbb, .Lfunc_end178-_ZN9rocsparseL26csrgemm_fill_block_per_rowILj128ELj16ELj256ELj137ELj32ElifEEvT5_PKS1_S3_NS_24const_host_device_scalarIT6_EEPKT4_S3_PKS5_S9_S3_SB_S6_S9_S3_SB_S9_PS1_PS5_21rocsparse_index_base_SE_SE_SE_bbb
                                        ; -- End function
	.section	.AMDGPU.csdata,"",@progbits
; Kernel info:
; codeLenInByte = 2712
; NumSgprs: 46
; NumVgprs: 19
; ScratchSize: 0
; MemoryBound: 0
; FloatMode: 240
; IeeeMode: 1
; LDSByteSize: 0 bytes/workgroup (compile time only)
; SGPRBlocks: 5
; VGPRBlocks: 2
; NumSGPRsForWavesPerEU: 46
; NumVGPRsForWavesPerEU: 19
; Occupancy: 16
; WaveLimiterHint : 1
; COMPUTE_PGM_RSRC2:SCRATCH_EN: 0
; COMPUTE_PGM_RSRC2:USER_SGPR: 15
; COMPUTE_PGM_RSRC2:TRAP_HANDLER: 0
; COMPUTE_PGM_RSRC2:TGID_X_EN: 1
; COMPUTE_PGM_RSRC2:TGID_Y_EN: 0
; COMPUTE_PGM_RSRC2:TGID_Z_EN: 0
; COMPUTE_PGM_RSRC2:TIDIG_COMP_CNT: 0
	.section	.text._ZN9rocsparseL26csrgemm_fill_block_per_rowILj128ELj16ELj256ELj137ELj64ElifEEvT5_PKS1_S3_NS_24const_host_device_scalarIT6_EEPKT4_S3_PKS5_S9_S3_SB_S6_S9_S3_SB_S9_PS1_PS5_21rocsparse_index_base_SE_SE_SE_bbb,"axG",@progbits,_ZN9rocsparseL26csrgemm_fill_block_per_rowILj128ELj16ELj256ELj137ELj64ElifEEvT5_PKS1_S3_NS_24const_host_device_scalarIT6_EEPKT4_S3_PKS5_S9_S3_SB_S6_S9_S3_SB_S9_PS1_PS5_21rocsparse_index_base_SE_SE_SE_bbb,comdat
	.globl	_ZN9rocsparseL26csrgemm_fill_block_per_rowILj128ELj16ELj256ELj137ELj64ElifEEvT5_PKS1_S3_NS_24const_host_device_scalarIT6_EEPKT4_S3_PKS5_S9_S3_SB_S6_S9_S3_SB_S9_PS1_PS5_21rocsparse_index_base_SE_SE_SE_bbb ; -- Begin function _ZN9rocsparseL26csrgemm_fill_block_per_rowILj128ELj16ELj256ELj137ELj64ElifEEvT5_PKS1_S3_NS_24const_host_device_scalarIT6_EEPKT4_S3_PKS5_S9_S3_SB_S6_S9_S3_SB_S9_PS1_PS5_21rocsparse_index_base_SE_SE_SE_bbb
	.p2align	8
	.type	_ZN9rocsparseL26csrgemm_fill_block_per_rowILj128ELj16ELj256ELj137ELj64ElifEEvT5_PKS1_S3_NS_24const_host_device_scalarIT6_EEPKT4_S3_PKS5_S9_S3_SB_S6_S9_S3_SB_S9_PS1_PS5_21rocsparse_index_base_SE_SE_SE_bbb,@function
_ZN9rocsparseL26csrgemm_fill_block_per_rowILj128ELj16ELj256ELj137ELj64ElifEEvT5_PKS1_S3_NS_24const_host_device_scalarIT6_EEPKT4_S3_PKS5_S9_S3_SB_S6_S9_S3_SB_S9_PS1_PS5_21rocsparse_index_base_SE_SE_SE_bbb: ; @_ZN9rocsparseL26csrgemm_fill_block_per_rowILj128ELj16ELj256ELj137ELj64ElifEEvT5_PKS1_S3_NS_24const_host_device_scalarIT6_EEPKT4_S3_PKS5_S9_S3_SB_S6_S9_S3_SB_S9_PS1_PS5_21rocsparse_index_base_SE_SE_SE_bbb
; %bb.0:
	s_clause 0x2
	s_load_b32 s6, s[0:1], 0x98
	s_load_b64 s[4:5], s[0:1], 0x18
	s_load_b64 s[2:3], s[0:1], 0x50
	s_waitcnt lgkmcnt(0)
	s_bitcmp1_b32 s6, 0
	s_cselect_b32 s12, -1, 0
	s_bitcmp1_b32 s6, 16
	s_cselect_b32 s7, -1, 0
	s_xor_b32 s8, s12, -1
	s_delay_alu instid0(SALU_CYCLE_1) | instskip(NEXT) | instid1(SALU_CYCLE_1)
	s_or_b32 s8, s8, s7
	s_and_b32 vcc_lo, exec_lo, s8
	s_cbranch_vccnz .LBB179_2
; %bb.1:
	s_load_b32 s4, s[4:5], 0x0
	s_waitcnt lgkmcnt(0)
	v_mov_b32_e32 v13, s4
	s_branch .LBB179_3
.LBB179_2:
	v_cndmask_b32_e64 v13, 0, s4, s12
.LBB179_3:
	s_load_b128 s[24:27], s[0:1], 0x88
	s_bitcmp1_b32 s6, 8
	s_cselect_b32 s33, -1, 0
	s_delay_alu instid0(SALU_CYCLE_1) | instskip(NEXT) | instid1(SALU_CYCLE_1)
	s_xor_b32 s4, s33, -1
	s_or_b32 s4, s4, s7
	s_delay_alu instid0(SALU_CYCLE_1)
	s_and_b32 vcc_lo, exec_lo, s4
	s_cbranch_vccnz .LBB179_5
; %bb.4:
	s_load_b32 s2, s[2:3], 0x0
	s_waitcnt lgkmcnt(0)
	v_mov_b32_e32 v11, s2
	s_branch .LBB179_6
.LBB179_5:
	v_cndmask_b32_e64 v11, 0, s2, s33
.LBB179_6:
	s_clause 0x5
	s_load_b128 s[28:31], s[0:1], 0x78
	s_load_b256 s[4:11], s[0:1], 0x58
	s_load_b128 s[36:39], s[0:1], 0x40
	s_load_b256 s[16:23], s[0:1], 0x20
	s_load_b128 s[40:43], s[0:1], 0x8
	s_load_b32 s14, s[0:1], 0x0
	v_cmp_gt_u32_e64 s0, 0x100, v0
	v_or_b32_e32 v9, 0xffffff80, v0
	v_lshl_add_u32 v10, v0, 2, 0
	s_delay_alu instid0(VALU_DEP_3)
	s_and_saveexec_b32 s1, s0
	s_cbranch_execz .LBB179_9
; %bb.7:
	v_or_b32_e32 v1, 0xffffff80, v0
	v_lshl_add_u32 v2, v0, 2, 0
	s_waitcnt lgkmcnt(0)
	v_dual_mov_b32 v3, s14 :: v_dual_mov_b32 v4, 0
	s_mov_b32 s2, 0
.LBB179_8:                              ; =>This Inner Loop Header: Depth=1
	v_add_co_u32 v1, s3, 0x80, v1
	s_delay_alu instid0(VALU_DEP_1) | instskip(SKIP_3) | instid1(SALU_CYCLE_1)
	s_xor_b32 s3, s3, -1
	ds_store_2addr_stride64_b32 v2, v3, v4 offset1:4
	v_add_nc_u32_e32 v2, 0x200, v2
	s_and_b32 s3, exec_lo, s3
	s_or_b32 s2, s3, s2
	s_delay_alu instid0(SALU_CYCLE_1)
	s_and_not1_b32 exec_lo, exec_lo, s2
	s_cbranch_execnz .LBB179_8
.LBB179_9:
	s_or_b32 exec_lo, exec_lo, s1
	s_waitcnt lgkmcnt(0)
	s_barrier
	buffer_gl0_inv
	s_load_b32 s1, s[40:41], 0x0
	s_mov_b32 s3, 0
	v_lshrrev_b32_e32 v12, 4, v0
	s_waitcnt lgkmcnt(0)
	s_add_i32 s2, s1, s15
	s_delay_alu instid0(SALU_CYCLE_1) | instskip(NEXT) | instid1(SALU_CYCLE_1)
	s_lshl_b64 s[2:3], s[2:3], 2
	s_add_u32 s2, s42, s2
	s_addc_u32 s3, s43, s3
	s_and_b32 vcc_lo, exec_lo, s12
	s_load_b32 s2, s[2:3], 0x0
	s_cbranch_vccz .LBB179_29
; %bb.10:
	s_waitcnt lgkmcnt(0)
	s_ashr_i32 s3, s2, 31
	v_sub_co_u32 v1, s1, v12, s24
	s_lshl_b64 s[12:13], s[2:3], 3
	v_sub_co_ci_u32_e64 v2, null, 0, 0, s1
	s_add_u32 s12, s16, s12
	s_addc_u32 s13, s17, s13
	s_mov_b32 s1, exec_lo
	s_load_b128 s[40:43], s[12:13], 0x0
	s_waitcnt lgkmcnt(0)
	v_add_co_u32 v1, vcc_lo, s40, v1
	v_add_co_ci_u32_e32 v2, vcc_lo, s41, v2, vcc_lo
	s_sub_u32 s12, s42, s24
	s_subb_u32 s13, s43, 0
	s_delay_alu instid0(VALU_DEP_1) | instid1(SALU_CYCLE_1)
	v_cmpx_gt_i64_e64 s[12:13], v[1:2]
	s_cbranch_execz .LBB179_28
; %bb.11:
	v_and_b32_e32 v3, 15, v0
	s_mov_b32 s15, s25
	s_delay_alu instid0(VALU_DEP_1) | instskip(NEXT) | instid1(VALU_DEP_1)
	v_sub_co_u32 v14, s3, v3, s25
	v_sub_co_ci_u32_e64 v15, null, 0, 0, s3
	s_mov_b32 s3, 0
	s_branch .LBB179_13
.LBB179_12:                             ;   in Loop: Header=BB179_13 Depth=1
	s_or_b32 exec_lo, exec_lo, s16
	v_add_co_u32 v1, vcc_lo, v1, 8
	v_add_co_ci_u32_e32 v2, vcc_lo, 0, v2, vcc_lo
	s_delay_alu instid0(VALU_DEP_1) | instskip(SKIP_1) | instid1(SALU_CYCLE_1)
	v_cmp_le_i64_e32 vcc_lo, s[12:13], v[1:2]
	s_or_b32 s3, vcc_lo, s3
	s_and_not1_b32 exec_lo, exec_lo, s3
	s_cbranch_execz .LBB179_28
.LBB179_13:                             ; =>This Loop Header: Depth=1
                                        ;     Child Loop BB179_16 Depth 2
                                        ;       Child Loop BB179_18 Depth 3
	v_lshlrev_b64 v[7:8], 2, v[1:2]
	s_mov_b32 s16, exec_lo
	s_delay_alu instid0(VALU_DEP_1) | instskip(NEXT) | instid1(VALU_DEP_2)
	v_add_co_u32 v3, vcc_lo, s18, v7
	v_add_co_ci_u32_e32 v4, vcc_lo, s19, v8, vcc_lo
	global_load_b32 v3, v[3:4], off
	s_waitcnt vmcnt(0)
	v_subrev_nc_u32_e32 v3, s24, v3
	s_delay_alu instid0(VALU_DEP_1) | instskip(NEXT) | instid1(VALU_DEP_1)
	v_ashrrev_i32_e32 v4, 31, v3
	v_lshlrev_b64 v[3:4], 3, v[3:4]
	s_delay_alu instid0(VALU_DEP_1) | instskip(NEXT) | instid1(VALU_DEP_2)
	v_add_co_u32 v3, vcc_lo, s22, v3
	v_add_co_ci_u32_e32 v4, vcc_lo, s23, v4, vcc_lo
	global_load_b128 v[16:19], v[3:4], off
	s_waitcnt vmcnt(0)
	v_sub_co_u32 v3, vcc_lo, v18, s15
	v_subrev_co_ci_u32_e32 v4, vcc_lo, 0, v19, vcc_lo
	v_add_co_u32 v5, vcc_lo, v16, v14
	v_add_co_ci_u32_e32 v6, vcc_lo, v17, v15, vcc_lo
	s_delay_alu instid0(VALU_DEP_1)
	v_cmpx_lt_i64_e64 v[5:6], v[3:4]
	s_cbranch_execz .LBB179_12
; %bb.14:                               ;   in Loop: Header=BB179_13 Depth=1
	v_add_co_u32 v7, vcc_lo, s20, v7
	v_add_co_ci_u32_e32 v8, vcc_lo, s21, v8, vcc_lo
	s_mov_b32 s17, 0
	global_load_b32 v7, v[7:8], off
	s_waitcnt vmcnt(0)
	v_mul_f32_e32 v7, v13, v7
	s_branch .LBB179_16
.LBB179_15:                             ;   in Loop: Header=BB179_16 Depth=2
	s_or_b32 exec_lo, exec_lo, s34
	v_add_co_u32 v5, vcc_lo, v5, 16
	v_add_co_ci_u32_e32 v6, vcc_lo, 0, v6, vcc_lo
	s_delay_alu instid0(VALU_DEP_1) | instskip(SKIP_1) | instid1(SALU_CYCLE_1)
	v_cmp_ge_i64_e32 vcc_lo, v[5:6], v[3:4]
	s_or_b32 s17, vcc_lo, s17
	s_and_not1_b32 exec_lo, exec_lo, s17
	s_cbranch_execz .LBB179_12
.LBB179_16:                             ;   Parent Loop BB179_13 Depth=1
                                        ; =>  This Loop Header: Depth=2
                                        ;       Child Loop BB179_18 Depth 3
	v_lshlrev_b64 v[16:17], 2, v[5:6]
	s_mov_b32 s34, 0
	s_delay_alu instid0(VALU_DEP_1) | instskip(NEXT) | instid1(VALU_DEP_2)
	v_add_co_u32 v18, vcc_lo, s36, v16
	v_add_co_ci_u32_e32 v19, vcc_lo, s37, v17, vcc_lo
	v_add_co_u32 v16, vcc_lo, s38, v16
	v_add_co_ci_u32_e32 v17, vcc_lo, s39, v17, vcc_lo
	global_load_b32 v8, v[18:19], off
	global_load_b32 v16, v[16:17], off
	s_waitcnt vmcnt(1)
	v_subrev_nc_u32_e32 v8, s25, v8
	s_delay_alu instid0(VALU_DEP_1) | instskip(SKIP_1) | instid1(VALU_DEP_1)
	v_mul_lo_u32 v17, 0x89, v8
	s_waitcnt vmcnt(0)
	v_dual_mul_f32 v16, v7, v16 :: v_dual_and_b32 v17, 0xff, v17
	s_branch .LBB179_18
.LBB179_17:                             ;   in Loop: Header=BB179_18 Depth=3
	s_or_b32 exec_lo, exec_lo, s35
	s_xor_b32 s35, s40, -1
	s_delay_alu instid0(SALU_CYCLE_1) | instskip(NEXT) | instid1(SALU_CYCLE_1)
	s_and_b32 s35, exec_lo, s35
	s_or_b32 s34, s35, s34
	s_delay_alu instid0(SALU_CYCLE_1)
	s_and_not1_b32 exec_lo, exec_lo, s34
	s_cbranch_execz .LBB179_15
.LBB179_18:                             ;   Parent Loop BB179_13 Depth=1
                                        ;     Parent Loop BB179_16 Depth=2
                                        ; =>    This Inner Loop Header: Depth=3
	s_delay_alu instid0(VALU_DEP_1)
	v_lshl_add_u32 v18, v17, 2, 0
	s_mov_b32 s35, exec_lo
                                        ; implicit-def: $sgpr40
	ds_load_b32 v19, v18
	s_waitcnt lgkmcnt(0)
	v_cmpx_ne_u32_e64 v19, v8
	s_xor_b32 s35, exec_lo, s35
	s_cbranch_execz .LBB179_26
; %bb.19:                               ;   in Loop: Header=BB179_18 Depth=3
	s_mov_b32 s41, exec_lo
                                        ; implicit-def: $sgpr40
	v_cmpx_ne_u32_e64 s14, v19
	s_xor_b32 s41, exec_lo, s41
; %bb.20:                               ;   in Loop: Header=BB179_18 Depth=3
	v_add_nc_u32_e32 v17, 1, v17
	s_mov_b32 s40, -1
                                        ; implicit-def: $vgpr18
	s_delay_alu instid0(VALU_DEP_1)
	v_and_b32_e32 v17, 0xff, v17
; %bb.21:                               ;   in Loop: Header=BB179_18 Depth=3
	s_and_not1_saveexec_b32 s41, s41
	s_cbranch_execz .LBB179_25
; %bb.22:                               ;   in Loop: Header=BB179_18 Depth=3
	v_mov_b32_e32 v19, s14
	s_mov_b32 s42, -1
	s_mov_b32 s43, exec_lo
	ds_cmpstore_rtn_b32 v19, v18, v8, v19
	s_waitcnt lgkmcnt(0)
	v_cmpx_eq_u32_e64 s14, v19
	s_cbranch_execz .LBB179_24
; %bb.23:                               ;   in Loop: Header=BB179_18 Depth=3
	ds_add_f32 v18, v16 offset:1024
	s_xor_b32 s42, exec_lo, -1
.LBB179_24:                             ;   in Loop: Header=BB179_18 Depth=3
	s_or_b32 exec_lo, exec_lo, s43
	s_delay_alu instid0(SALU_CYCLE_1) | instskip(SKIP_1) | instid1(SALU_CYCLE_1)
	s_and_not1_b32 s40, s40, exec_lo
	s_and_b32 s42, s42, exec_lo
	s_or_b32 s40, s40, s42
.LBB179_25:                             ;   in Loop: Header=BB179_18 Depth=3
	s_or_b32 exec_lo, exec_lo, s41
	s_delay_alu instid0(SALU_CYCLE_1)
	s_and_b32 s40, s40, exec_lo
                                        ; implicit-def: $vgpr18
.LBB179_26:                             ;   in Loop: Header=BB179_18 Depth=3
	s_and_not1_saveexec_b32 s35, s35
	s_cbranch_execz .LBB179_17
; %bb.27:                               ;   in Loop: Header=BB179_18 Depth=3
	ds_add_f32 v18, v16 offset:1024
	s_and_not1_b32 s40, s40, exec_lo
	s_branch .LBB179_17
.LBB179_28:
	s_or_b32 exec_lo, exec_lo, s1
.LBB179_29:
	s_delay_alu instid0(SALU_CYCLE_1)
	s_and_not1_b32 vcc_lo, exec_lo, s33
	s_cbranch_vccnz .LBB179_32
; %bb.30:
	s_waitcnt lgkmcnt(0)
	s_ashr_i32 s3, s2, 31
	v_sub_co_u32 v1, s1, v0, s27
	s_lshl_b64 s[12:13], s[2:3], 3
	v_sub_co_ci_u32_e64 v2, null, 0, 0, s1
	s_add_u32 s4, s4, s12
	s_addc_u32 s5, s5, s13
	s_mov_b32 s3, 0
	s_load_b128 s[16:19], s[4:5], 0x0
	s_mov_b32 s1, exec_lo
	s_waitcnt lgkmcnt(0)
	v_add_co_u32 v1, vcc_lo, s16, v1
	v_add_co_ci_u32_e32 v2, vcc_lo, s17, v2, vcc_lo
	s_sub_u32 s4, s18, s27
	s_subb_u32 s5, s19, 0
	s_delay_alu instid0(VALU_DEP_1) | instid1(SALU_CYCLE_1)
	v_cmpx_gt_i64_e64 s[4:5], v[1:2]
	s_cbranch_execnz .LBB179_42
.LBB179_31:
	s_or_b32 exec_lo, exec_lo, s1
.LBB179_32:
	s_waitcnt lgkmcnt(0)
	s_barrier
	buffer_gl0_inv
	s_and_saveexec_b32 s3, s0
	s_cbranch_execz .LBB179_54
; %bb.33:
	v_mbcnt_lo_u32_b32 v1, -1, 0
	v_dual_mov_b32 v5, 0 :: v_dual_and_b32 v2, 4, v12
	v_cmp_lt_u32_e32 vcc_lo, 63, v0
	v_cmp_eq_u32_e64 s0, 0x7f, v0
	s_delay_alu instid0(VALU_DEP_4) | instskip(NEXT) | instid1(VALU_DEP_4)
	v_xor_b32_e32 v1, 63, v1
	v_add_nc_u32_e32 v4, 0, v2
	v_mov_b32_e32 v6, 0
	s_mov_b32 s4, 0
	s_delay_alu instid0(VALU_DEP_3)
	v_lshrrev_b64 v[1:2], v1, -1
	s_branch .LBB179_35
.LBB179_34:                             ;   in Loop: Header=BB179_35 Depth=1
	s_or_b32 exec_lo, exec_lo, s1
	s_waitcnt lgkmcnt(0)
	s_barrier
	buffer_gl0_inv
	ds_load_b32 v2, v5 offset:2052
	v_add_co_u32 v9, s1, 0x80, v9
	s_delay_alu instid0(VALU_DEP_1) | instskip(SKIP_2) | instid1(SALU_CYCLE_1)
	s_xor_b32 s1, s1, -1
	v_add_nc_u32_e32 v10, 0x200, v10
	s_and_b32 s1, exec_lo, s1
	s_or_b32 s4, s1, s4
	s_waitcnt lgkmcnt(0)
	v_add_nc_u32_e32 v6, v2, v6
	s_and_not1_b32 exec_lo, exec_lo, s4
	s_cbranch_execz .LBB179_54
.LBB179_35:                             ; =>This Inner Loop Header: Depth=1
	ds_load_2addr_stride64_b32 v[2:3], v10 offset1:4
	s_waitcnt lgkmcnt(0)
	s_barrier
	buffer_gl0_inv
	v_cmp_gt_i32_e64 s1, s14, v2
	s_delay_alu instid0(VALU_DEP_1) | instskip(NEXT) | instid1(SALU_CYCLE_1)
	s_bcnt1_i32_b32 s5, s1
	v_dual_mov_b32 v8, s5 :: v_dual_and_b32 v7, s1, v1
	s_delay_alu instid0(VALU_DEP_1)
	v_bcnt_u32_b32 v7, v7, 0
	ds_store_b32 v4, v8 offset:2048
	s_waitcnt lgkmcnt(0)
	s_barrier
	buffer_gl0_inv
	s_and_saveexec_b32 s5, vcc_lo
	s_cbranch_execnz .LBB179_38
; %bb.36:                               ;   in Loop: Header=BB179_35 Depth=1
	s_or_b32 exec_lo, exec_lo, s5
	s_and_saveexec_b32 s5, s1
	s_cbranch_execnz .LBB179_39
.LBB179_37:                             ;   in Loop: Header=BB179_35 Depth=1
	s_or_b32 exec_lo, exec_lo, s5
	s_and_saveexec_b32 s1, s0
	s_cbranch_execz .LBB179_34
	s_branch .LBB179_40
.LBB179_38:                             ;   in Loop: Header=BB179_35 Depth=1
	ds_load_b32 v8, v5 offset:2048
	s_waitcnt lgkmcnt(0)
	v_add_nc_u32_e32 v7, v8, v7
	s_or_b32 exec_lo, exec_lo, s5
	s_and_saveexec_b32 s5, s1
	s_cbranch_execz .LBB179_37
.LBB179_39:                             ;   in Loop: Header=BB179_35 Depth=1
	s_delay_alu instid0(VALU_DEP_1) | instskip(NEXT) | instid1(VALU_DEP_1)
	v_add3_u32 v8, v6, -1, v7
	v_lshl_add_u32 v8, v8, 2, 0
	ds_store_2addr_stride64_b32 v8, v2, v3 offset1:4
	s_or_b32 exec_lo, exec_lo, s5
	s_and_saveexec_b32 s1, s0
	s_cbranch_execz .LBB179_34
.LBB179_40:                             ;   in Loop: Header=BB179_35 Depth=1
	ds_store_b32 v5, v7 offset:2052
	s_branch .LBB179_34
.LBB179_41:                             ;   in Loop: Header=BB179_42 Depth=1
	s_or_b32 exec_lo, exec_lo, s12
	v_add_co_u32 v1, vcc_lo, 0x80, v1
	v_add_co_ci_u32_e32 v2, vcc_lo, 0, v2, vcc_lo
	s_delay_alu instid0(VALU_DEP_1) | instskip(SKIP_1) | instid1(SALU_CYCLE_1)
	v_cmp_le_i64_e32 vcc_lo, s[4:5], v[1:2]
	s_or_b32 s3, vcc_lo, s3
	s_and_not1_b32 exec_lo, exec_lo, s3
	s_cbranch_execz .LBB179_31
.LBB179_42:                             ; =>This Loop Header: Depth=1
                                        ;     Child Loop BB179_44 Depth 2
	v_lshlrev_b64 v[3:4], 2, v[1:2]
	s_mov_b32 s12, 0
	s_delay_alu instid0(VALU_DEP_1) | instskip(NEXT) | instid1(VALU_DEP_2)
	v_add_co_u32 v5, vcc_lo, s6, v3
	v_add_co_ci_u32_e32 v6, vcc_lo, s7, v4, vcc_lo
	v_add_co_u32 v3, vcc_lo, s8, v3
	v_add_co_ci_u32_e32 v4, vcc_lo, s9, v4, vcc_lo
	global_load_b32 v5, v[5:6], off
	global_load_b32 v4, v[3:4], off
	s_waitcnt vmcnt(1)
	v_subrev_nc_u32_e32 v3, s27, v5
	s_delay_alu instid0(VALU_DEP_1) | instskip(SKIP_1) | instid1(VALU_DEP_1)
	v_mul_lo_u32 v5, 0x89, v3
	s_waitcnt vmcnt(0)
	v_dual_mul_f32 v4, v11, v4 :: v_dual_and_b32 v5, 0xff, v5
	s_branch .LBB179_44
.LBB179_43:                             ;   in Loop: Header=BB179_44 Depth=2
	s_or_b32 exec_lo, exec_lo, s13
	s_xor_b32 s13, s15, -1
	s_delay_alu instid0(SALU_CYCLE_1) | instskip(NEXT) | instid1(SALU_CYCLE_1)
	s_and_b32 s13, exec_lo, s13
	s_or_b32 s12, s13, s12
	s_delay_alu instid0(SALU_CYCLE_1)
	s_and_not1_b32 exec_lo, exec_lo, s12
	s_cbranch_execz .LBB179_41
.LBB179_44:                             ;   Parent Loop BB179_42 Depth=1
                                        ; =>  This Inner Loop Header: Depth=2
	s_delay_alu instid0(VALU_DEP_1)
	v_lshl_add_u32 v6, v5, 2, 0
	s_mov_b32 s13, exec_lo
                                        ; implicit-def: $sgpr15
	ds_load_b32 v7, v6
	s_waitcnt lgkmcnt(0)
	v_cmpx_ne_u32_e64 v7, v3
	s_xor_b32 s13, exec_lo, s13
	s_cbranch_execz .LBB179_52
; %bb.45:                               ;   in Loop: Header=BB179_44 Depth=2
	s_mov_b32 s16, exec_lo
                                        ; implicit-def: $sgpr15
	v_cmpx_ne_u32_e64 s14, v7
	s_xor_b32 s16, exec_lo, s16
; %bb.46:                               ;   in Loop: Header=BB179_44 Depth=2
	v_add_nc_u32_e32 v5, 1, v5
	s_mov_b32 s15, -1
                                        ; implicit-def: $vgpr6
	s_delay_alu instid0(VALU_DEP_1)
	v_and_b32_e32 v5, 0xff, v5
; %bb.47:                               ;   in Loop: Header=BB179_44 Depth=2
	s_and_not1_saveexec_b32 s16, s16
	s_cbranch_execz .LBB179_51
; %bb.48:                               ;   in Loop: Header=BB179_44 Depth=2
	v_mov_b32_e32 v7, s14
	s_mov_b32 s17, -1
	s_mov_b32 s18, exec_lo
	ds_cmpstore_rtn_b32 v7, v6, v3, v7
	s_waitcnt lgkmcnt(0)
	v_cmpx_eq_u32_e64 s14, v7
	s_cbranch_execz .LBB179_50
; %bb.49:                               ;   in Loop: Header=BB179_44 Depth=2
	ds_add_f32 v6, v4 offset:1024
	s_xor_b32 s17, exec_lo, -1
.LBB179_50:                             ;   in Loop: Header=BB179_44 Depth=2
	s_or_b32 exec_lo, exec_lo, s18
	s_delay_alu instid0(SALU_CYCLE_1) | instskip(SKIP_1) | instid1(SALU_CYCLE_1)
	s_and_not1_b32 s15, s15, exec_lo
	s_and_b32 s17, s17, exec_lo
	s_or_b32 s15, s15, s17
.LBB179_51:                             ;   in Loop: Header=BB179_44 Depth=2
	s_or_b32 exec_lo, exec_lo, s16
	s_delay_alu instid0(SALU_CYCLE_1)
	s_and_b32 s15, s15, exec_lo
                                        ; implicit-def: $vgpr6
.LBB179_52:                             ;   in Loop: Header=BB179_44 Depth=2
	s_and_not1_saveexec_b32 s13, s13
	s_cbranch_execz .LBB179_43
; %bb.53:                               ;   in Loop: Header=BB179_44 Depth=2
	ds_add_f32 v6, v4 offset:1024
	s_and_not1_b32 s15, s15, exec_lo
	s_branch .LBB179_43
.LBB179_54:
	s_or_b32 exec_lo, exec_lo, s3
	s_ashr_i32 s3, s2, 31
	s_mov_b32 s4, exec_lo
	s_lshl_b64 s[0:1], s[2:3], 3
	s_delay_alu instid0(SALU_CYCLE_1) | instskip(SKIP_4) | instid1(SALU_CYCLE_1)
	s_add_u32 s0, s10, s0
	s_addc_u32 s1, s11, s1
	s_load_b128 s[0:3], s[0:1], 0x0
	s_waitcnt lgkmcnt(0)
	s_sub_i32 s3, s2, s0
	v_cmpx_gt_i32_e64 s3, v0
	s_cbranch_execz .LBB179_64
; %bb.55:
	s_sub_u32 s4, s0, s26
	s_subb_u32 s5, s1, 0
	s_sub_i32 s0, s0, s2
	s_and_b32 s1, s3, 7
	s_cmp_lt_u32 s0, -7
	s_mov_b32 s8, 0
	s_cselect_b32 s2, -1, 0
	s_and_b32 s6, s3, -8
	s_cmp_lg_u32 s1, 0
	s_cselect_b32 s7, -1, 0
	s_branch .LBB179_57
.LBB179_56:                             ;   in Loop: Header=BB179_57 Depth=1
	s_delay_alu instid0(VALU_DEP_1) | instskip(SKIP_3) | instid1(VALU_DEP_3)
	v_lshlrev_b64 v[3:4], 2, v[3:4]
	v_add_nc_u32_e32 v0, 0x80, v0
	s_waitcnt lgkmcnt(0)
	v_add_nc_u32_e32 v1, s26, v1
	v_add_co_u32 v5, vcc_lo, s28, v3
	s_delay_alu instid0(VALU_DEP_4) | instskip(SKIP_2) | instid1(VALU_DEP_1)
	v_add_co_ci_u32_e32 v6, vcc_lo, s29, v4, vcc_lo
	v_cmp_le_i32_e32 vcc_lo, s3, v0
	v_add_co_u32 v3, s0, s30, v3
	v_add_co_ci_u32_e64 v4, s0, s31, v4, s0
	s_or_b32 s8, vcc_lo, s8
	global_store_b32 v[5:6], v1, off
	global_store_b32 v[3:4], v2, off
	s_and_not1_b32 exec_lo, exec_lo, s8
	s_cbranch_execz .LBB179_64
.LBB179_57:                             ; =>This Loop Header: Depth=1
                                        ;     Child Loop BB179_59 Depth 2
                                        ;     Child Loop BB179_63 Depth 2
	v_lshl_add_u32 v1, v0, 2, 0
	v_dual_mov_b32 v3, s4 :: v_dual_mov_b32 v4, s5
	s_and_not1_b32 vcc_lo, exec_lo, s2
	s_mov_b32 s0, 0
	ds_load_2addr_stride64_b32 v[1:2], v1 offset1:4
	s_cbranch_vccnz .LBB179_61
; %bb.58:                               ;   in Loop: Header=BB179_57 Depth=1
	v_dual_mov_b32 v3, s4 :: v_dual_mov_b32 v4, s5
	s_mov_b32 s9, 0
	s_mov_b32 s10, 0
.LBB179_59:                             ;   Parent Loop BB179_57 Depth=1
                                        ; =>  This Inner Loop Header: Depth=2
	s_delay_alu instid0(SALU_CYCLE_1)
	v_mov_b32_e32 v11, s10
	s_add_i32 s9, s9, 8
	s_add_i32 s10, s10, 32
	s_cmp_eq_u32 s6, s9
	ds_load_2addr_b32 v[5:6], v11 offset1:1
	ds_load_2addr_b32 v[7:8], v11 offset0:2 offset1:3
	ds_load_2addr_b32 v[9:10], v11 offset0:4 offset1:5
	;; [unrolled: 1-line block ×3, first 2 shown]
	s_waitcnt lgkmcnt(3)
	v_cmp_gt_i32_e32 vcc_lo, v1, v5
	v_cndmask_b32_e64 v5, 0, 1, vcc_lo
	v_cmp_gt_i32_e32 vcc_lo, v1, v6
	v_cndmask_b32_e64 v6, 0, 1, vcc_lo
	s_waitcnt lgkmcnt(2)
	v_cmp_gt_i32_e32 vcc_lo, v1, v7
	v_cndmask_b32_e64 v7, 0, 1, vcc_lo
	v_cmp_gt_i32_e32 vcc_lo, v1, v8
	v_cndmask_b32_e64 v8, 0, 1, vcc_lo
	s_waitcnt lgkmcnt(1)
	v_cmp_gt_i32_e32 vcc_lo, v1, v9
	v_cndmask_b32_e64 v9, 0, 1, vcc_lo
	v_add_co_u32 v3, vcc_lo, v3, v5
	v_add_co_ci_u32_e32 v4, vcc_lo, 0, v4, vcc_lo
	v_cmp_gt_i32_e32 vcc_lo, v1, v10
	s_delay_alu instid0(VALU_DEP_3) | instskip(NEXT) | instid1(VALU_DEP_1)
	v_add_co_u32 v3, s0, v3, v6
	v_add_co_ci_u32_e64 v4, s0, 0, v4, s0
	v_cndmask_b32_e64 v5, 0, 1, vcc_lo
	s_delay_alu instid0(VALU_DEP_3) | instskip(NEXT) | instid1(VALU_DEP_3)
	v_add_co_u32 v3, vcc_lo, v3, v7
	v_add_co_ci_u32_e32 v4, vcc_lo, 0, v4, vcc_lo
	s_waitcnt lgkmcnt(0)
	v_cmp_gt_i32_e32 vcc_lo, v1, v11
	s_delay_alu instid0(VALU_DEP_3) | instskip(NEXT) | instid1(VALU_DEP_1)
	v_add_co_u32 v3, s0, v3, v8
	v_add_co_ci_u32_e64 v4, s0, 0, v4, s0
	v_cndmask_b32_e64 v6, 0, 1, vcc_lo
	s_delay_alu instid0(VALU_DEP_3) | instskip(NEXT) | instid1(VALU_DEP_3)
	v_add_co_u32 v3, vcc_lo, v3, v9
	v_add_co_ci_u32_e32 v4, vcc_lo, 0, v4, vcc_lo
	v_cmp_gt_i32_e32 vcc_lo, v1, v12
	s_delay_alu instid0(VALU_DEP_3) | instskip(NEXT) | instid1(VALU_DEP_1)
	v_add_co_u32 v3, s0, v3, v5
	v_add_co_ci_u32_e64 v4, s0, 0, v4, s0
	v_cndmask_b32_e64 v5, 0, 1, vcc_lo
	s_delay_alu instid0(VALU_DEP_3) | instskip(NEXT) | instid1(VALU_DEP_3)
	v_add_co_u32 v3, vcc_lo, v3, v6
	v_add_co_ci_u32_e32 v4, vcc_lo, 0, v4, vcc_lo
	s_delay_alu instid0(VALU_DEP_2) | instskip(NEXT) | instid1(VALU_DEP_2)
	v_add_co_u32 v3, vcc_lo, v3, v5
	v_add_co_ci_u32_e32 v4, vcc_lo, 0, v4, vcc_lo
	s_cbranch_scc0 .LBB179_59
; %bb.60:                               ;   in Loop: Header=BB179_57 Depth=1
	s_mov_b32 s0, s6
.LBB179_61:                             ;   in Loop: Header=BB179_57 Depth=1
	s_and_not1_b32 vcc_lo, exec_lo, s7
	s_cbranch_vccnz .LBB179_56
; %bb.62:                               ;   in Loop: Header=BB179_57 Depth=1
	s_lshl_b32 s0, s0, 2
	s_mov_b32 s9, s1
	s_add_i32 s0, s0, 0
.LBB179_63:                             ;   Parent Loop BB179_57 Depth=1
                                        ; =>  This Inner Loop Header: Depth=2
	s_delay_alu instid0(SALU_CYCLE_1)
	v_mov_b32_e32 v5, s0
	s_add_i32 s9, s9, -1
	s_add_i32 s0, s0, 4
	s_cmp_lg_u32 s9, 0
	ds_load_b32 v5, v5
	s_waitcnt lgkmcnt(0)
	v_cmp_gt_i32_e32 vcc_lo, v1, v5
	v_cndmask_b32_e64 v5, 0, 1, vcc_lo
	s_delay_alu instid0(VALU_DEP_1)
	v_add_co_u32 v3, vcc_lo, v3, v5
	v_add_co_ci_u32_e32 v4, vcc_lo, 0, v4, vcc_lo
	s_cbranch_scc1 .LBB179_63
	s_branch .LBB179_56
.LBB179_64:
	s_nop 0
	s_sendmsg sendmsg(MSG_DEALLOC_VGPRS)
	s_endpgm
	.section	.rodata,"a",@progbits
	.p2align	6, 0x0
	.amdhsa_kernel _ZN9rocsparseL26csrgemm_fill_block_per_rowILj128ELj16ELj256ELj137ELj64ElifEEvT5_PKS1_S3_NS_24const_host_device_scalarIT6_EEPKT4_S3_PKS5_S9_S3_SB_S6_S9_S3_SB_S9_PS1_PS5_21rocsparse_index_base_SE_SE_SE_bbb
		.amdhsa_group_segment_fixed_size 0
		.amdhsa_private_segment_fixed_size 0
		.amdhsa_kernarg_size 156
		.amdhsa_user_sgpr_count 15
		.amdhsa_user_sgpr_dispatch_ptr 0
		.amdhsa_user_sgpr_queue_ptr 0
		.amdhsa_user_sgpr_kernarg_segment_ptr 1
		.amdhsa_user_sgpr_dispatch_id 0
		.amdhsa_user_sgpr_private_segment_size 0
		.amdhsa_wavefront_size32 1
		.amdhsa_uses_dynamic_stack 0
		.amdhsa_enable_private_segment 0
		.amdhsa_system_sgpr_workgroup_id_x 1
		.amdhsa_system_sgpr_workgroup_id_y 0
		.amdhsa_system_sgpr_workgroup_id_z 0
		.amdhsa_system_sgpr_workgroup_info 0
		.amdhsa_system_vgpr_workitem_id 0
		.amdhsa_next_free_vgpr 20
		.amdhsa_next_free_sgpr 44
		.amdhsa_reserve_vcc 1
		.amdhsa_float_round_mode_32 0
		.amdhsa_float_round_mode_16_64 0
		.amdhsa_float_denorm_mode_32 3
		.amdhsa_float_denorm_mode_16_64 3
		.amdhsa_dx10_clamp 1
		.amdhsa_ieee_mode 1
		.amdhsa_fp16_overflow 0
		.amdhsa_workgroup_processor_mode 1
		.amdhsa_memory_ordered 1
		.amdhsa_forward_progress 0
		.amdhsa_shared_vgpr_count 0
		.amdhsa_exception_fp_ieee_invalid_op 0
		.amdhsa_exception_fp_denorm_src 0
		.amdhsa_exception_fp_ieee_div_zero 0
		.amdhsa_exception_fp_ieee_overflow 0
		.amdhsa_exception_fp_ieee_underflow 0
		.amdhsa_exception_fp_ieee_inexact 0
		.amdhsa_exception_int_div_zero 0
	.end_amdhsa_kernel
	.section	.text._ZN9rocsparseL26csrgemm_fill_block_per_rowILj128ELj16ELj256ELj137ELj64ElifEEvT5_PKS1_S3_NS_24const_host_device_scalarIT6_EEPKT4_S3_PKS5_S9_S3_SB_S6_S9_S3_SB_S9_PS1_PS5_21rocsparse_index_base_SE_SE_SE_bbb,"axG",@progbits,_ZN9rocsparseL26csrgemm_fill_block_per_rowILj128ELj16ELj256ELj137ELj64ElifEEvT5_PKS1_S3_NS_24const_host_device_scalarIT6_EEPKT4_S3_PKS5_S9_S3_SB_S6_S9_S3_SB_S9_PS1_PS5_21rocsparse_index_base_SE_SE_SE_bbb,comdat
.Lfunc_end179:
	.size	_ZN9rocsparseL26csrgemm_fill_block_per_rowILj128ELj16ELj256ELj137ELj64ElifEEvT5_PKS1_S3_NS_24const_host_device_scalarIT6_EEPKT4_S3_PKS5_S9_S3_SB_S6_S9_S3_SB_S9_PS1_PS5_21rocsparse_index_base_SE_SE_SE_bbb, .Lfunc_end179-_ZN9rocsparseL26csrgemm_fill_block_per_rowILj128ELj16ELj256ELj137ELj64ElifEEvT5_PKS1_S3_NS_24const_host_device_scalarIT6_EEPKT4_S3_PKS5_S9_S3_SB_S6_S9_S3_SB_S9_PS1_PS5_21rocsparse_index_base_SE_SE_SE_bbb
                                        ; -- End function
	.section	.AMDGPU.csdata,"",@progbits
; Kernel info:
; codeLenInByte = 2604
; NumSgprs: 46
; NumVgprs: 20
; ScratchSize: 0
; MemoryBound: 0
; FloatMode: 240
; IeeeMode: 1
; LDSByteSize: 0 bytes/workgroup (compile time only)
; SGPRBlocks: 5
; VGPRBlocks: 2
; NumSGPRsForWavesPerEU: 46
; NumVGPRsForWavesPerEU: 20
; Occupancy: 16
; WaveLimiterHint : 1
; COMPUTE_PGM_RSRC2:SCRATCH_EN: 0
; COMPUTE_PGM_RSRC2:USER_SGPR: 15
; COMPUTE_PGM_RSRC2:TRAP_HANDLER: 0
; COMPUTE_PGM_RSRC2:TGID_X_EN: 1
; COMPUTE_PGM_RSRC2:TGID_Y_EN: 0
; COMPUTE_PGM_RSRC2:TGID_Z_EN: 0
; COMPUTE_PGM_RSRC2:TIDIG_COMP_CNT: 0
	.section	.text._ZN9rocsparseL26csrgemm_fill_block_per_rowILj256ELj32ELj512ELj137ELj32ElifEEvT5_PKS1_S3_NS_24const_host_device_scalarIT6_EEPKT4_S3_PKS5_S9_S3_SB_S6_S9_S3_SB_S9_PS1_PS5_21rocsparse_index_base_SE_SE_SE_bbb,"axG",@progbits,_ZN9rocsparseL26csrgemm_fill_block_per_rowILj256ELj32ELj512ELj137ELj32ElifEEvT5_PKS1_S3_NS_24const_host_device_scalarIT6_EEPKT4_S3_PKS5_S9_S3_SB_S6_S9_S3_SB_S9_PS1_PS5_21rocsparse_index_base_SE_SE_SE_bbb,comdat
	.globl	_ZN9rocsparseL26csrgemm_fill_block_per_rowILj256ELj32ELj512ELj137ELj32ElifEEvT5_PKS1_S3_NS_24const_host_device_scalarIT6_EEPKT4_S3_PKS5_S9_S3_SB_S6_S9_S3_SB_S9_PS1_PS5_21rocsparse_index_base_SE_SE_SE_bbb ; -- Begin function _ZN9rocsparseL26csrgemm_fill_block_per_rowILj256ELj32ELj512ELj137ELj32ElifEEvT5_PKS1_S3_NS_24const_host_device_scalarIT6_EEPKT4_S3_PKS5_S9_S3_SB_S6_S9_S3_SB_S9_PS1_PS5_21rocsparse_index_base_SE_SE_SE_bbb
	.p2align	8
	.type	_ZN9rocsparseL26csrgemm_fill_block_per_rowILj256ELj32ELj512ELj137ELj32ElifEEvT5_PKS1_S3_NS_24const_host_device_scalarIT6_EEPKT4_S3_PKS5_S9_S3_SB_S6_S9_S3_SB_S9_PS1_PS5_21rocsparse_index_base_SE_SE_SE_bbb,@function
_ZN9rocsparseL26csrgemm_fill_block_per_rowILj256ELj32ELj512ELj137ELj32ElifEEvT5_PKS1_S3_NS_24const_host_device_scalarIT6_EEPKT4_S3_PKS5_S9_S3_SB_S6_S9_S3_SB_S9_PS1_PS5_21rocsparse_index_base_SE_SE_SE_bbb: ; @_ZN9rocsparseL26csrgemm_fill_block_per_rowILj256ELj32ELj512ELj137ELj32ElifEEvT5_PKS1_S3_NS_24const_host_device_scalarIT6_EEPKT4_S3_PKS5_S9_S3_SB_S6_S9_S3_SB_S9_PS1_PS5_21rocsparse_index_base_SE_SE_SE_bbb
; %bb.0:
	s_clause 0x2
	s_load_b32 s6, s[0:1], 0x98
	s_load_b64 s[4:5], s[0:1], 0x18
	s_load_b64 s[2:3], s[0:1], 0x50
	s_waitcnt lgkmcnt(0)
	s_bitcmp1_b32 s6, 0
	s_cselect_b32 s13, -1, 0
	s_bitcmp1_b32 s6, 16
	s_cselect_b32 s7, -1, 0
	s_xor_b32 s8, s13, -1
	s_delay_alu instid0(SALU_CYCLE_1) | instskip(NEXT) | instid1(SALU_CYCLE_1)
	s_or_b32 s8, s8, s7
	s_and_b32 vcc_lo, exec_lo, s8
	s_cbranch_vccnz .LBB180_2
; %bb.1:
	s_load_b32 s4, s[4:5], 0x0
	s_waitcnt lgkmcnt(0)
	v_mov_b32_e32 v13, s4
	s_branch .LBB180_3
.LBB180_2:
	v_cndmask_b32_e64 v13, 0, s4, s13
.LBB180_3:
	s_load_b128 s[24:27], s[0:1], 0x88
	s_bitcmp1_b32 s6, 8
	s_cselect_b32 s33, -1, 0
	s_delay_alu instid0(SALU_CYCLE_1) | instskip(NEXT) | instid1(SALU_CYCLE_1)
	s_xor_b32 s4, s33, -1
	s_or_b32 s4, s4, s7
	s_delay_alu instid0(SALU_CYCLE_1)
	s_and_b32 vcc_lo, exec_lo, s4
	s_cbranch_vccnz .LBB180_5
; %bb.4:
	s_load_b32 s2, s[2:3], 0x0
	s_waitcnt lgkmcnt(0)
	v_mov_b32_e32 v11, s2
	s_branch .LBB180_6
.LBB180_5:
	v_cndmask_b32_e64 v11, 0, s2, s33
.LBB180_6:
	s_clause 0x5
	s_load_b128 s[28:31], s[0:1], 0x78
	s_load_b256 s[4:11], s[0:1], 0x58
	s_load_b128 s[36:39], s[0:1], 0x40
	s_load_b256 s[16:23], s[0:1], 0x20
	s_load_b128 s[40:43], s[0:1], 0x8
	s_load_b32 s14, s[0:1], 0x0
	v_cmp_gt_u32_e64 s0, 0x200, v0
	v_or_b32_e32 v9, 0xffffff00, v0
	v_lshl_add_u32 v10, v0, 2, 0
	s_delay_alu instid0(VALU_DEP_3)
	s_and_saveexec_b32 s1, s0
	s_cbranch_execz .LBB180_9
; %bb.7:
	v_or_b32_e32 v1, 0xffffff00, v0
	v_lshl_add_u32 v2, v0, 2, 0
	s_waitcnt lgkmcnt(0)
	v_dual_mov_b32 v3, s14 :: v_dual_mov_b32 v4, 0
	s_mov_b32 s2, 0
.LBB180_8:                              ; =>This Inner Loop Header: Depth=1
	v_add_co_u32 v1, s3, 0x100, v1
	s_delay_alu instid0(VALU_DEP_1) | instskip(SKIP_3) | instid1(SALU_CYCLE_1)
	s_xor_b32 s3, s3, -1
	ds_store_2addr_stride64_b32 v2, v3, v4 offset1:8
	v_add_nc_u32_e32 v2, 0x400, v2
	s_and_b32 s3, exec_lo, s3
	s_or_b32 s2, s3, s2
	s_delay_alu instid0(SALU_CYCLE_1)
	s_and_not1_b32 exec_lo, exec_lo, s2
	s_cbranch_execnz .LBB180_8
.LBB180_9:
	s_or_b32 exec_lo, exec_lo, s1
	s_waitcnt lgkmcnt(0)
	s_barrier
	buffer_gl0_inv
	s_load_b32 s1, s[40:41], 0x0
	s_mov_b32 s3, 0
	v_lshrrev_b32_e32 v12, 5, v0
	s_waitcnt lgkmcnt(0)
	s_add_i32 s2, s1, s15
	s_delay_alu instid0(SALU_CYCLE_1) | instskip(NEXT) | instid1(SALU_CYCLE_1)
	s_lshl_b64 s[2:3], s[2:3], 2
	s_add_u32 s2, s42, s2
	s_addc_u32 s3, s43, s3
	s_and_b32 vcc_lo, exec_lo, s13
	s_load_b32 s12, s[2:3], 0x0
	s_cbranch_vccz .LBB180_29
; %bb.10:
	s_waitcnt lgkmcnt(0)
	s_ashr_i32 s13, s12, 31
	v_sub_co_u32 v1, s1, v12, s24
	s_lshl_b64 s[2:3], s[12:13], 3
	v_sub_co_ci_u32_e64 v2, null, 0, 0, s1
	s_add_u32 s2, s16, s2
	s_addc_u32 s3, s17, s3
	s_mov_b32 s1, exec_lo
	s_load_b128 s[40:43], s[2:3], 0x0
	s_waitcnt lgkmcnt(0)
	v_add_co_u32 v1, vcc_lo, s40, v1
	v_add_co_ci_u32_e32 v2, vcc_lo, s41, v2, vcc_lo
	s_sub_u32 s2, s42, s24
	s_subb_u32 s3, s43, 0
	s_delay_alu instid0(VALU_DEP_1) | instid1(SALU_CYCLE_1)
	v_cmpx_gt_i64_e64 s[2:3], v[1:2]
	s_cbranch_execz .LBB180_28
; %bb.11:
	v_and_b32_e32 v3, 31, v0
	s_mov_b32 s15, s25
	s_delay_alu instid0(VALU_DEP_1) | instskip(NEXT) | instid1(VALU_DEP_1)
	v_sub_co_u32 v14, s13, v3, s25
	v_sub_co_ci_u32_e64 v15, null, 0, 0, s13
	s_mov_b32 s13, 0
	s_branch .LBB180_13
.LBB180_12:                             ;   in Loop: Header=BB180_13 Depth=1
	s_or_b32 exec_lo, exec_lo, s16
	v_add_co_u32 v1, vcc_lo, v1, 8
	v_add_co_ci_u32_e32 v2, vcc_lo, 0, v2, vcc_lo
	s_delay_alu instid0(VALU_DEP_1) | instskip(SKIP_1) | instid1(SALU_CYCLE_1)
	v_cmp_le_i64_e32 vcc_lo, s[2:3], v[1:2]
	s_or_b32 s13, vcc_lo, s13
	s_and_not1_b32 exec_lo, exec_lo, s13
	s_cbranch_execz .LBB180_28
.LBB180_13:                             ; =>This Loop Header: Depth=1
                                        ;     Child Loop BB180_16 Depth 2
                                        ;       Child Loop BB180_18 Depth 3
	v_lshlrev_b64 v[7:8], 2, v[1:2]
	s_mov_b32 s16, exec_lo
	s_delay_alu instid0(VALU_DEP_1) | instskip(NEXT) | instid1(VALU_DEP_2)
	v_add_co_u32 v3, vcc_lo, s18, v7
	v_add_co_ci_u32_e32 v4, vcc_lo, s19, v8, vcc_lo
	global_load_b32 v3, v[3:4], off
	s_waitcnt vmcnt(0)
	v_subrev_nc_u32_e32 v3, s24, v3
	s_delay_alu instid0(VALU_DEP_1) | instskip(NEXT) | instid1(VALU_DEP_1)
	v_ashrrev_i32_e32 v4, 31, v3
	v_lshlrev_b64 v[3:4], 3, v[3:4]
	s_delay_alu instid0(VALU_DEP_1) | instskip(NEXT) | instid1(VALU_DEP_2)
	v_add_co_u32 v3, vcc_lo, s22, v3
	v_add_co_ci_u32_e32 v4, vcc_lo, s23, v4, vcc_lo
	global_load_b128 v[16:19], v[3:4], off
	s_waitcnt vmcnt(0)
	v_sub_co_u32 v3, vcc_lo, v18, s15
	v_subrev_co_ci_u32_e32 v4, vcc_lo, 0, v19, vcc_lo
	v_add_co_u32 v5, vcc_lo, v16, v14
	v_add_co_ci_u32_e32 v6, vcc_lo, v17, v15, vcc_lo
	s_delay_alu instid0(VALU_DEP_1)
	v_cmpx_lt_i64_e64 v[5:6], v[3:4]
	s_cbranch_execz .LBB180_12
; %bb.14:                               ;   in Loop: Header=BB180_13 Depth=1
	v_add_co_u32 v7, vcc_lo, s20, v7
	v_add_co_ci_u32_e32 v8, vcc_lo, s21, v8, vcc_lo
	s_mov_b32 s17, 0
	global_load_b32 v7, v[7:8], off
	s_waitcnt vmcnt(0)
	v_mul_f32_e32 v7, v13, v7
	s_branch .LBB180_16
.LBB180_15:                             ;   in Loop: Header=BB180_16 Depth=2
	s_or_b32 exec_lo, exec_lo, s34
	v_add_co_u32 v5, vcc_lo, v5, 32
	v_add_co_ci_u32_e32 v6, vcc_lo, 0, v6, vcc_lo
	s_delay_alu instid0(VALU_DEP_1) | instskip(SKIP_1) | instid1(SALU_CYCLE_1)
	v_cmp_ge_i64_e32 vcc_lo, v[5:6], v[3:4]
	s_or_b32 s17, vcc_lo, s17
	s_and_not1_b32 exec_lo, exec_lo, s17
	s_cbranch_execz .LBB180_12
.LBB180_16:                             ;   Parent Loop BB180_13 Depth=1
                                        ; =>  This Loop Header: Depth=2
                                        ;       Child Loop BB180_18 Depth 3
	v_lshlrev_b64 v[16:17], 2, v[5:6]
	s_mov_b32 s34, 0
	s_delay_alu instid0(VALU_DEP_1) | instskip(NEXT) | instid1(VALU_DEP_2)
	v_add_co_u32 v18, vcc_lo, s36, v16
	v_add_co_ci_u32_e32 v19, vcc_lo, s37, v17, vcc_lo
	v_add_co_u32 v16, vcc_lo, s38, v16
	v_add_co_ci_u32_e32 v17, vcc_lo, s39, v17, vcc_lo
	global_load_b32 v8, v[18:19], off
	global_load_b32 v16, v[16:17], off
	s_waitcnt vmcnt(1)
	v_subrev_nc_u32_e32 v8, s25, v8
	s_delay_alu instid0(VALU_DEP_1) | instskip(SKIP_1) | instid1(VALU_DEP_1)
	v_mul_lo_u32 v17, 0x89, v8
	s_waitcnt vmcnt(0)
	v_dual_mul_f32 v16, v7, v16 :: v_dual_and_b32 v17, 0x1ff, v17
	s_branch .LBB180_18
.LBB180_17:                             ;   in Loop: Header=BB180_18 Depth=3
	s_or_b32 exec_lo, exec_lo, s35
	s_xor_b32 s35, s40, -1
	s_delay_alu instid0(SALU_CYCLE_1) | instskip(NEXT) | instid1(SALU_CYCLE_1)
	s_and_b32 s35, exec_lo, s35
	s_or_b32 s34, s35, s34
	s_delay_alu instid0(SALU_CYCLE_1)
	s_and_not1_b32 exec_lo, exec_lo, s34
	s_cbranch_execz .LBB180_15
.LBB180_18:                             ;   Parent Loop BB180_13 Depth=1
                                        ;     Parent Loop BB180_16 Depth=2
                                        ; =>    This Inner Loop Header: Depth=3
	s_delay_alu instid0(VALU_DEP_1)
	v_lshl_add_u32 v18, v17, 2, 0
	s_mov_b32 s35, exec_lo
                                        ; implicit-def: $sgpr40
	ds_load_b32 v19, v18
	s_waitcnt lgkmcnt(0)
	v_cmpx_ne_u32_e64 v19, v8
	s_xor_b32 s35, exec_lo, s35
	s_cbranch_execz .LBB180_26
; %bb.19:                               ;   in Loop: Header=BB180_18 Depth=3
	s_mov_b32 s41, exec_lo
                                        ; implicit-def: $sgpr40
	v_cmpx_ne_u32_e64 s14, v19
	s_xor_b32 s41, exec_lo, s41
; %bb.20:                               ;   in Loop: Header=BB180_18 Depth=3
	v_add_nc_u32_e32 v17, 1, v17
	s_mov_b32 s40, -1
                                        ; implicit-def: $vgpr18
	s_delay_alu instid0(VALU_DEP_1)
	v_and_b32_e32 v17, 0x1ff, v17
; %bb.21:                               ;   in Loop: Header=BB180_18 Depth=3
	s_and_not1_saveexec_b32 s41, s41
	s_cbranch_execz .LBB180_25
; %bb.22:                               ;   in Loop: Header=BB180_18 Depth=3
	v_mov_b32_e32 v19, s14
	s_mov_b32 s42, -1
	s_mov_b32 s43, exec_lo
	ds_cmpstore_rtn_b32 v19, v18, v8, v19
	s_waitcnt lgkmcnt(0)
	v_cmpx_eq_u32_e64 s14, v19
	s_cbranch_execz .LBB180_24
; %bb.23:                               ;   in Loop: Header=BB180_18 Depth=3
	ds_add_f32 v18, v16 offset:2048
	s_xor_b32 s42, exec_lo, -1
.LBB180_24:                             ;   in Loop: Header=BB180_18 Depth=3
	s_or_b32 exec_lo, exec_lo, s43
	s_delay_alu instid0(SALU_CYCLE_1) | instskip(SKIP_1) | instid1(SALU_CYCLE_1)
	s_and_not1_b32 s40, s40, exec_lo
	s_and_b32 s42, s42, exec_lo
	s_or_b32 s40, s40, s42
.LBB180_25:                             ;   in Loop: Header=BB180_18 Depth=3
	s_or_b32 exec_lo, exec_lo, s41
	s_delay_alu instid0(SALU_CYCLE_1)
	s_and_b32 s40, s40, exec_lo
                                        ; implicit-def: $vgpr18
.LBB180_26:                             ;   in Loop: Header=BB180_18 Depth=3
	s_and_not1_saveexec_b32 s35, s35
	s_cbranch_execz .LBB180_17
; %bb.27:                               ;   in Loop: Header=BB180_18 Depth=3
	ds_add_f32 v18, v16 offset:2048
	s_and_not1_b32 s40, s40, exec_lo
	s_branch .LBB180_17
.LBB180_28:
	s_or_b32 exec_lo, exec_lo, s1
.LBB180_29:
	s_delay_alu instid0(SALU_CYCLE_1)
	s_and_not1_b32 vcc_lo, exec_lo, s33
	s_cbranch_vccnz .LBB180_32
; %bb.30:
	s_waitcnt lgkmcnt(0)
	s_ashr_i32 s13, s12, 31
	v_sub_co_u32 v1, s1, v0, s27
	s_lshl_b64 s[2:3], s[12:13], 3
	v_sub_co_ci_u32_e64 v2, null, 0, 0, s1
	s_add_u32 s2, s4, s2
	s_addc_u32 s3, s5, s3
	s_mov_b32 s4, 0
	s_load_b128 s[16:19], s[2:3], 0x0
	s_mov_b32 s1, exec_lo
	s_waitcnt lgkmcnt(0)
	v_add_co_u32 v1, vcc_lo, s16, v1
	v_add_co_ci_u32_e32 v2, vcc_lo, s17, v2, vcc_lo
	s_sub_u32 s2, s18, s27
	s_subb_u32 s3, s19, 0
	s_delay_alu instid0(VALU_DEP_1) | instid1(SALU_CYCLE_1)
	v_cmpx_gt_i64_e64 s[2:3], v[1:2]
	s_cbranch_execnz .LBB180_54
.LBB180_31:
	s_or_b32 exec_lo, exec_lo, s1
.LBB180_32:
	s_waitcnt lgkmcnt(0)
	s_barrier
	buffer_gl0_inv
	s_and_saveexec_b32 s8, s0
	s_cbranch_execz .LBB180_66
; %bb.33:
	v_mbcnt_lo_u32_b32 v1, -1, 0
	v_lshl_add_u32 v4, v12, 2, 0
	v_cmp_eq_u32_e32 vcc_lo, 0xff, v0
	v_cmp_lt_u32_e64 s0, 31, v0
	v_cmp_lt_u32_e64 s1, 63, v0
	v_xor_b32_e32 v1, 63, v1
	v_cmp_lt_u32_e64 s2, 0x5f, v0
	v_cmp_lt_u32_e64 s3, 0x7f, v0
	;; [unrolled: 1-line block ×4, first 2 shown]
	v_lshrrev_b64 v[1:2], v1, -1
	v_cmp_lt_u32_e64 s6, 0xdf, v0
	v_dual_mov_b32 v5, 0 :: v_dual_mov_b32 v6, 0
	s_mov_b32 s9, 0
	s_branch .LBB180_35
.LBB180_34:                             ;   in Loop: Header=BB180_35 Depth=1
	s_or_b32 exec_lo, exec_lo, s7
	s_waitcnt lgkmcnt(0)
	s_barrier
	buffer_gl0_inv
	ds_load_b32 v2, v5 offset:4124
	v_add_co_u32 v9, s7, 0x100, v9
	s_delay_alu instid0(VALU_DEP_1) | instskip(SKIP_2) | instid1(SALU_CYCLE_1)
	s_xor_b32 s7, s7, -1
	v_add_nc_u32_e32 v10, 0x400, v10
	s_and_b32 s7, exec_lo, s7
	s_or_b32 s9, s7, s9
	s_waitcnt lgkmcnt(0)
	v_add_nc_u32_e32 v6, v2, v6
	s_and_not1_b32 exec_lo, exec_lo, s9
	s_cbranch_execz .LBB180_66
.LBB180_35:                             ; =>This Inner Loop Header: Depth=1
	ds_load_2addr_stride64_b32 v[2:3], v10 offset1:8
	s_waitcnt lgkmcnt(0)
	s_barrier
	buffer_gl0_inv
	v_cmp_gt_i32_e64 s7, s14, v2
	s_delay_alu instid0(VALU_DEP_1) | instskip(NEXT) | instid1(SALU_CYCLE_1)
	s_bcnt1_i32_b32 s13, s7
	v_dual_mov_b32 v8, s13 :: v_dual_and_b32 v7, s7, v1
	s_delay_alu instid0(VALU_DEP_1)
	v_bcnt_u32_b32 v7, v7, 0
	ds_store_b32 v4, v8 offset:4096
	s_waitcnt lgkmcnt(0)
	s_barrier
	buffer_gl0_inv
	s_and_saveexec_b32 s13, s0
	s_cbranch_execnz .LBB180_44
; %bb.36:                               ;   in Loop: Header=BB180_35 Depth=1
	s_or_b32 exec_lo, exec_lo, s13
	s_and_saveexec_b32 s13, s1
	s_cbranch_execnz .LBB180_45
.LBB180_37:                             ;   in Loop: Header=BB180_35 Depth=1
	s_or_b32 exec_lo, exec_lo, s13
	s_and_saveexec_b32 s13, s2
	s_cbranch_execnz .LBB180_46
.LBB180_38:                             ;   in Loop: Header=BB180_35 Depth=1
	s_or_b32 exec_lo, exec_lo, s13
	s_and_saveexec_b32 s13, s3
	s_cbranch_execnz .LBB180_47
.LBB180_39:                             ;   in Loop: Header=BB180_35 Depth=1
	s_or_b32 exec_lo, exec_lo, s13
	s_and_saveexec_b32 s13, s4
	s_cbranch_execnz .LBB180_48
.LBB180_40:                             ;   in Loop: Header=BB180_35 Depth=1
	s_or_b32 exec_lo, exec_lo, s13
	s_and_saveexec_b32 s13, s5
	s_cbranch_execnz .LBB180_49
.LBB180_41:                             ;   in Loop: Header=BB180_35 Depth=1
	s_or_b32 exec_lo, exec_lo, s13
	s_and_saveexec_b32 s13, s6
	s_cbranch_execnz .LBB180_50
.LBB180_42:                             ;   in Loop: Header=BB180_35 Depth=1
	s_or_b32 exec_lo, exec_lo, s13
	s_and_saveexec_b32 s13, s7
	s_cbranch_execnz .LBB180_51
.LBB180_43:                             ;   in Loop: Header=BB180_35 Depth=1
	s_or_b32 exec_lo, exec_lo, s13
	s_and_saveexec_b32 s7, vcc_lo
	s_cbranch_execz .LBB180_34
	s_branch .LBB180_52
.LBB180_44:                             ;   in Loop: Header=BB180_35 Depth=1
	ds_load_b32 v8, v5 offset:4096
	s_waitcnt lgkmcnt(0)
	v_add_nc_u32_e32 v7, v8, v7
	s_or_b32 exec_lo, exec_lo, s13
	s_and_saveexec_b32 s13, s1
	s_cbranch_execz .LBB180_37
.LBB180_45:                             ;   in Loop: Header=BB180_35 Depth=1
	ds_load_b32 v8, v5 offset:4100
	s_waitcnt lgkmcnt(0)
	v_add_nc_u32_e32 v7, v8, v7
	s_or_b32 exec_lo, exec_lo, s13
	s_and_saveexec_b32 s13, s2
	s_cbranch_execz .LBB180_38
.LBB180_46:                             ;   in Loop: Header=BB180_35 Depth=1
	ds_load_b32 v8, v5 offset:4104
	s_waitcnt lgkmcnt(0)
	v_add_nc_u32_e32 v7, v8, v7
	s_or_b32 exec_lo, exec_lo, s13
	s_and_saveexec_b32 s13, s3
	s_cbranch_execz .LBB180_39
.LBB180_47:                             ;   in Loop: Header=BB180_35 Depth=1
	ds_load_b32 v8, v5 offset:4108
	s_waitcnt lgkmcnt(0)
	v_add_nc_u32_e32 v7, v8, v7
	s_or_b32 exec_lo, exec_lo, s13
	s_and_saveexec_b32 s13, s4
	s_cbranch_execz .LBB180_40
.LBB180_48:                             ;   in Loop: Header=BB180_35 Depth=1
	ds_load_b32 v8, v5 offset:4112
	s_waitcnt lgkmcnt(0)
	v_add_nc_u32_e32 v7, v8, v7
	s_or_b32 exec_lo, exec_lo, s13
	s_and_saveexec_b32 s13, s5
	s_cbranch_execz .LBB180_41
.LBB180_49:                             ;   in Loop: Header=BB180_35 Depth=1
	ds_load_b32 v8, v5 offset:4116
	s_waitcnt lgkmcnt(0)
	v_add_nc_u32_e32 v7, v8, v7
	s_or_b32 exec_lo, exec_lo, s13
	s_and_saveexec_b32 s13, s6
	s_cbranch_execz .LBB180_42
.LBB180_50:                             ;   in Loop: Header=BB180_35 Depth=1
	ds_load_b32 v8, v5 offset:4120
	s_waitcnt lgkmcnt(0)
	v_add_nc_u32_e32 v7, v8, v7
	s_or_b32 exec_lo, exec_lo, s13
	s_and_saveexec_b32 s13, s7
	s_cbranch_execz .LBB180_43
.LBB180_51:                             ;   in Loop: Header=BB180_35 Depth=1
	s_delay_alu instid0(VALU_DEP_1) | instskip(NEXT) | instid1(VALU_DEP_1)
	v_add3_u32 v8, v6, -1, v7
	v_lshl_add_u32 v8, v8, 2, 0
	ds_store_2addr_stride64_b32 v8, v2, v3 offset1:8
	s_or_b32 exec_lo, exec_lo, s13
	s_and_saveexec_b32 s7, vcc_lo
	s_cbranch_execz .LBB180_34
.LBB180_52:                             ;   in Loop: Header=BB180_35 Depth=1
	ds_store_b32 v5, v7 offset:4124
	s_branch .LBB180_34
.LBB180_53:                             ;   in Loop: Header=BB180_54 Depth=1
	s_or_b32 exec_lo, exec_lo, s5
	v_add_co_u32 v1, vcc_lo, 0x100, v1
	v_add_co_ci_u32_e32 v2, vcc_lo, 0, v2, vcc_lo
	s_delay_alu instid0(VALU_DEP_1) | instskip(SKIP_1) | instid1(SALU_CYCLE_1)
	v_cmp_le_i64_e32 vcc_lo, s[2:3], v[1:2]
	s_or_b32 s4, vcc_lo, s4
	s_and_not1_b32 exec_lo, exec_lo, s4
	s_cbranch_execz .LBB180_31
.LBB180_54:                             ; =>This Loop Header: Depth=1
                                        ;     Child Loop BB180_56 Depth 2
	v_lshlrev_b64 v[3:4], 2, v[1:2]
	s_mov_b32 s5, 0
	s_delay_alu instid0(VALU_DEP_1) | instskip(NEXT) | instid1(VALU_DEP_2)
	v_add_co_u32 v5, vcc_lo, s6, v3
	v_add_co_ci_u32_e32 v6, vcc_lo, s7, v4, vcc_lo
	v_add_co_u32 v3, vcc_lo, s8, v3
	v_add_co_ci_u32_e32 v4, vcc_lo, s9, v4, vcc_lo
	global_load_b32 v5, v[5:6], off
	global_load_b32 v4, v[3:4], off
	s_waitcnt vmcnt(1)
	v_subrev_nc_u32_e32 v3, s27, v5
	s_delay_alu instid0(VALU_DEP_1) | instskip(SKIP_1) | instid1(VALU_DEP_1)
	v_mul_lo_u32 v5, 0x89, v3
	s_waitcnt vmcnt(0)
	v_dual_mul_f32 v4, v11, v4 :: v_dual_and_b32 v5, 0x1ff, v5
	s_branch .LBB180_56
.LBB180_55:                             ;   in Loop: Header=BB180_56 Depth=2
	s_or_b32 exec_lo, exec_lo, s13
	s_xor_b32 s13, s15, -1
	s_delay_alu instid0(SALU_CYCLE_1) | instskip(NEXT) | instid1(SALU_CYCLE_1)
	s_and_b32 s13, exec_lo, s13
	s_or_b32 s5, s13, s5
	s_delay_alu instid0(SALU_CYCLE_1)
	s_and_not1_b32 exec_lo, exec_lo, s5
	s_cbranch_execz .LBB180_53
.LBB180_56:                             ;   Parent Loop BB180_54 Depth=1
                                        ; =>  This Inner Loop Header: Depth=2
	s_delay_alu instid0(VALU_DEP_1)
	v_lshl_add_u32 v6, v5, 2, 0
	s_mov_b32 s13, exec_lo
                                        ; implicit-def: $sgpr15
	ds_load_b32 v7, v6
	s_waitcnt lgkmcnt(0)
	v_cmpx_ne_u32_e64 v7, v3
	s_xor_b32 s13, exec_lo, s13
	s_cbranch_execz .LBB180_64
; %bb.57:                               ;   in Loop: Header=BB180_56 Depth=2
	s_mov_b32 s16, exec_lo
                                        ; implicit-def: $sgpr15
	v_cmpx_ne_u32_e64 s14, v7
	s_xor_b32 s16, exec_lo, s16
; %bb.58:                               ;   in Loop: Header=BB180_56 Depth=2
	v_add_nc_u32_e32 v5, 1, v5
	s_mov_b32 s15, -1
                                        ; implicit-def: $vgpr6
	s_delay_alu instid0(VALU_DEP_1)
	v_and_b32_e32 v5, 0x1ff, v5
; %bb.59:                               ;   in Loop: Header=BB180_56 Depth=2
	s_and_not1_saveexec_b32 s16, s16
	s_cbranch_execz .LBB180_63
; %bb.60:                               ;   in Loop: Header=BB180_56 Depth=2
	v_mov_b32_e32 v7, s14
	s_mov_b32 s17, -1
	s_mov_b32 s18, exec_lo
	ds_cmpstore_rtn_b32 v7, v6, v3, v7
	s_waitcnt lgkmcnt(0)
	v_cmpx_eq_u32_e64 s14, v7
	s_cbranch_execz .LBB180_62
; %bb.61:                               ;   in Loop: Header=BB180_56 Depth=2
	ds_add_f32 v6, v4 offset:2048
	s_xor_b32 s17, exec_lo, -1
.LBB180_62:                             ;   in Loop: Header=BB180_56 Depth=2
	s_or_b32 exec_lo, exec_lo, s18
	s_delay_alu instid0(SALU_CYCLE_1) | instskip(SKIP_1) | instid1(SALU_CYCLE_1)
	s_and_not1_b32 s15, s15, exec_lo
	s_and_b32 s17, s17, exec_lo
	s_or_b32 s15, s15, s17
.LBB180_63:                             ;   in Loop: Header=BB180_56 Depth=2
	s_or_b32 exec_lo, exec_lo, s16
	s_delay_alu instid0(SALU_CYCLE_1)
	s_and_b32 s15, s15, exec_lo
                                        ; implicit-def: $vgpr6
.LBB180_64:                             ;   in Loop: Header=BB180_56 Depth=2
	s_and_not1_saveexec_b32 s13, s13
	s_cbranch_execz .LBB180_55
; %bb.65:                               ;   in Loop: Header=BB180_56 Depth=2
	ds_add_f32 v6, v4 offset:2048
	s_and_not1_b32 s15, s15, exec_lo
	s_branch .LBB180_55
.LBB180_66:
	s_or_b32 exec_lo, exec_lo, s8
	s_ashr_i32 s13, s12, 31
	s_mov_b32 s4, exec_lo
	s_lshl_b64 s[0:1], s[12:13], 3
	s_delay_alu instid0(SALU_CYCLE_1) | instskip(SKIP_4) | instid1(SALU_CYCLE_1)
	s_add_u32 s0, s10, s0
	s_addc_u32 s1, s11, s1
	s_load_b128 s[0:3], s[0:1], 0x0
	s_waitcnt lgkmcnt(0)
	s_sub_i32 s3, s2, s0
	v_cmpx_gt_i32_e64 s3, v0
	s_cbranch_execz .LBB180_76
; %bb.67:
	s_sub_u32 s4, s0, s26
	s_subb_u32 s5, s1, 0
	s_sub_i32 s0, s0, s2
	s_and_b32 s1, s3, 7
	s_cmp_lt_u32 s0, -7
	s_mov_b32 s8, 0
	s_cselect_b32 s2, -1, 0
	s_and_b32 s6, s3, -8
	s_cmp_lg_u32 s1, 0
	s_cselect_b32 s7, -1, 0
	s_branch .LBB180_69
.LBB180_68:                             ;   in Loop: Header=BB180_69 Depth=1
	s_delay_alu instid0(VALU_DEP_1) | instskip(SKIP_3) | instid1(VALU_DEP_3)
	v_lshlrev_b64 v[3:4], 2, v[3:4]
	v_add_nc_u32_e32 v0, 0x100, v0
	s_waitcnt lgkmcnt(0)
	v_add_nc_u32_e32 v1, s26, v1
	v_add_co_u32 v5, vcc_lo, s28, v3
	s_delay_alu instid0(VALU_DEP_4) | instskip(SKIP_2) | instid1(VALU_DEP_1)
	v_add_co_ci_u32_e32 v6, vcc_lo, s29, v4, vcc_lo
	v_cmp_le_i32_e32 vcc_lo, s3, v0
	v_add_co_u32 v3, s0, s30, v3
	v_add_co_ci_u32_e64 v4, s0, s31, v4, s0
	s_or_b32 s8, vcc_lo, s8
	global_store_b32 v[5:6], v1, off
	global_store_b32 v[3:4], v2, off
	s_and_not1_b32 exec_lo, exec_lo, s8
	s_cbranch_execz .LBB180_76
.LBB180_69:                             ; =>This Loop Header: Depth=1
                                        ;     Child Loop BB180_71 Depth 2
                                        ;     Child Loop BB180_75 Depth 2
	v_lshl_add_u32 v1, v0, 2, 0
	v_dual_mov_b32 v3, s4 :: v_dual_mov_b32 v4, s5
	s_and_not1_b32 vcc_lo, exec_lo, s2
	s_mov_b32 s0, 0
	ds_load_2addr_stride64_b32 v[1:2], v1 offset1:8
	s_cbranch_vccnz .LBB180_73
; %bb.70:                               ;   in Loop: Header=BB180_69 Depth=1
	v_dual_mov_b32 v3, s4 :: v_dual_mov_b32 v4, s5
	s_mov_b32 s9, 0
	s_mov_b32 s10, 0
.LBB180_71:                             ;   Parent Loop BB180_69 Depth=1
                                        ; =>  This Inner Loop Header: Depth=2
	s_delay_alu instid0(SALU_CYCLE_1)
	v_mov_b32_e32 v11, s10
	s_add_i32 s9, s9, 8
	s_add_i32 s10, s10, 32
	s_cmp_eq_u32 s6, s9
	ds_load_2addr_b32 v[5:6], v11 offset1:1
	ds_load_2addr_b32 v[7:8], v11 offset0:2 offset1:3
	ds_load_2addr_b32 v[9:10], v11 offset0:4 offset1:5
	;; [unrolled: 1-line block ×3, first 2 shown]
	s_waitcnt lgkmcnt(3)
	v_cmp_gt_i32_e32 vcc_lo, v1, v5
	v_cndmask_b32_e64 v5, 0, 1, vcc_lo
	v_cmp_gt_i32_e32 vcc_lo, v1, v6
	v_cndmask_b32_e64 v6, 0, 1, vcc_lo
	s_waitcnt lgkmcnt(2)
	v_cmp_gt_i32_e32 vcc_lo, v1, v7
	v_cndmask_b32_e64 v7, 0, 1, vcc_lo
	v_cmp_gt_i32_e32 vcc_lo, v1, v8
	v_cndmask_b32_e64 v8, 0, 1, vcc_lo
	s_waitcnt lgkmcnt(1)
	v_cmp_gt_i32_e32 vcc_lo, v1, v9
	v_cndmask_b32_e64 v9, 0, 1, vcc_lo
	v_add_co_u32 v3, vcc_lo, v3, v5
	v_add_co_ci_u32_e32 v4, vcc_lo, 0, v4, vcc_lo
	v_cmp_gt_i32_e32 vcc_lo, v1, v10
	s_delay_alu instid0(VALU_DEP_3) | instskip(NEXT) | instid1(VALU_DEP_1)
	v_add_co_u32 v3, s0, v3, v6
	v_add_co_ci_u32_e64 v4, s0, 0, v4, s0
	v_cndmask_b32_e64 v5, 0, 1, vcc_lo
	s_delay_alu instid0(VALU_DEP_3) | instskip(NEXT) | instid1(VALU_DEP_3)
	v_add_co_u32 v3, vcc_lo, v3, v7
	v_add_co_ci_u32_e32 v4, vcc_lo, 0, v4, vcc_lo
	s_waitcnt lgkmcnt(0)
	v_cmp_gt_i32_e32 vcc_lo, v1, v11
	s_delay_alu instid0(VALU_DEP_3) | instskip(NEXT) | instid1(VALU_DEP_1)
	v_add_co_u32 v3, s0, v3, v8
	v_add_co_ci_u32_e64 v4, s0, 0, v4, s0
	v_cndmask_b32_e64 v6, 0, 1, vcc_lo
	s_delay_alu instid0(VALU_DEP_3) | instskip(NEXT) | instid1(VALU_DEP_3)
	v_add_co_u32 v3, vcc_lo, v3, v9
	v_add_co_ci_u32_e32 v4, vcc_lo, 0, v4, vcc_lo
	v_cmp_gt_i32_e32 vcc_lo, v1, v12
	s_delay_alu instid0(VALU_DEP_3) | instskip(NEXT) | instid1(VALU_DEP_1)
	v_add_co_u32 v3, s0, v3, v5
	v_add_co_ci_u32_e64 v4, s0, 0, v4, s0
	v_cndmask_b32_e64 v5, 0, 1, vcc_lo
	s_delay_alu instid0(VALU_DEP_3) | instskip(NEXT) | instid1(VALU_DEP_3)
	v_add_co_u32 v3, vcc_lo, v3, v6
	v_add_co_ci_u32_e32 v4, vcc_lo, 0, v4, vcc_lo
	s_delay_alu instid0(VALU_DEP_2) | instskip(NEXT) | instid1(VALU_DEP_2)
	v_add_co_u32 v3, vcc_lo, v3, v5
	v_add_co_ci_u32_e32 v4, vcc_lo, 0, v4, vcc_lo
	s_cbranch_scc0 .LBB180_71
; %bb.72:                               ;   in Loop: Header=BB180_69 Depth=1
	s_mov_b32 s0, s6
.LBB180_73:                             ;   in Loop: Header=BB180_69 Depth=1
	s_and_not1_b32 vcc_lo, exec_lo, s7
	s_cbranch_vccnz .LBB180_68
; %bb.74:                               ;   in Loop: Header=BB180_69 Depth=1
	s_lshl_b32 s0, s0, 2
	s_mov_b32 s9, s1
	s_add_i32 s0, s0, 0
.LBB180_75:                             ;   Parent Loop BB180_69 Depth=1
                                        ; =>  This Inner Loop Header: Depth=2
	s_delay_alu instid0(SALU_CYCLE_1)
	v_mov_b32_e32 v5, s0
	s_add_i32 s9, s9, -1
	s_add_i32 s0, s0, 4
	s_cmp_lg_u32 s9, 0
	ds_load_b32 v5, v5
	s_waitcnt lgkmcnt(0)
	v_cmp_gt_i32_e32 vcc_lo, v1, v5
	v_cndmask_b32_e64 v5, 0, 1, vcc_lo
	s_delay_alu instid0(VALU_DEP_1)
	v_add_co_u32 v3, vcc_lo, v3, v5
	v_add_co_ci_u32_e32 v4, vcc_lo, 0, v4, vcc_lo
	s_cbranch_scc1 .LBB180_75
	s_branch .LBB180_68
.LBB180_76:
	s_nop 0
	s_sendmsg sendmsg(MSG_DEALLOC_VGPRS)
	s_endpgm
	.section	.rodata,"a",@progbits
	.p2align	6, 0x0
	.amdhsa_kernel _ZN9rocsparseL26csrgemm_fill_block_per_rowILj256ELj32ELj512ELj137ELj32ElifEEvT5_PKS1_S3_NS_24const_host_device_scalarIT6_EEPKT4_S3_PKS5_S9_S3_SB_S6_S9_S3_SB_S9_PS1_PS5_21rocsparse_index_base_SE_SE_SE_bbb
		.amdhsa_group_segment_fixed_size 0
		.amdhsa_private_segment_fixed_size 0
		.amdhsa_kernarg_size 156
		.amdhsa_user_sgpr_count 15
		.amdhsa_user_sgpr_dispatch_ptr 0
		.amdhsa_user_sgpr_queue_ptr 0
		.amdhsa_user_sgpr_kernarg_segment_ptr 1
		.amdhsa_user_sgpr_dispatch_id 0
		.amdhsa_user_sgpr_private_segment_size 0
		.amdhsa_wavefront_size32 1
		.amdhsa_uses_dynamic_stack 0
		.amdhsa_enable_private_segment 0
		.amdhsa_system_sgpr_workgroup_id_x 1
		.amdhsa_system_sgpr_workgroup_id_y 0
		.amdhsa_system_sgpr_workgroup_id_z 0
		.amdhsa_system_sgpr_workgroup_info 0
		.amdhsa_system_vgpr_workitem_id 0
		.amdhsa_next_free_vgpr 20
		.amdhsa_next_free_sgpr 44
		.amdhsa_reserve_vcc 1
		.amdhsa_float_round_mode_32 0
		.amdhsa_float_round_mode_16_64 0
		.amdhsa_float_denorm_mode_32 3
		.amdhsa_float_denorm_mode_16_64 3
		.amdhsa_dx10_clamp 1
		.amdhsa_ieee_mode 1
		.amdhsa_fp16_overflow 0
		.amdhsa_workgroup_processor_mode 1
		.amdhsa_memory_ordered 1
		.amdhsa_forward_progress 0
		.amdhsa_shared_vgpr_count 0
		.amdhsa_exception_fp_ieee_invalid_op 0
		.amdhsa_exception_fp_denorm_src 0
		.amdhsa_exception_fp_ieee_div_zero 0
		.amdhsa_exception_fp_ieee_overflow 0
		.amdhsa_exception_fp_ieee_underflow 0
		.amdhsa_exception_fp_ieee_inexact 0
		.amdhsa_exception_int_div_zero 0
	.end_amdhsa_kernel
	.section	.text._ZN9rocsparseL26csrgemm_fill_block_per_rowILj256ELj32ELj512ELj137ELj32ElifEEvT5_PKS1_S3_NS_24const_host_device_scalarIT6_EEPKT4_S3_PKS5_S9_S3_SB_S6_S9_S3_SB_S9_PS1_PS5_21rocsparse_index_base_SE_SE_SE_bbb,"axG",@progbits,_ZN9rocsparseL26csrgemm_fill_block_per_rowILj256ELj32ELj512ELj137ELj32ElifEEvT5_PKS1_S3_NS_24const_host_device_scalarIT6_EEPKT4_S3_PKS5_S9_S3_SB_S6_S9_S3_SB_S9_PS1_PS5_21rocsparse_index_base_SE_SE_SE_bbb,comdat
.Lfunc_end180:
	.size	_ZN9rocsparseL26csrgemm_fill_block_per_rowILj256ELj32ELj512ELj137ELj32ElifEEvT5_PKS1_S3_NS_24const_host_device_scalarIT6_EEPKT4_S3_PKS5_S9_S3_SB_S6_S9_S3_SB_S9_PS1_PS5_21rocsparse_index_base_SE_SE_SE_bbb, .Lfunc_end180-_ZN9rocsparseL26csrgemm_fill_block_per_rowILj256ELj32ELj512ELj137ELj32ElifEEvT5_PKS1_S3_NS_24const_host_device_scalarIT6_EEPKT4_S3_PKS5_S9_S3_SB_S6_S9_S3_SB_S9_PS1_PS5_21rocsparse_index_base_SE_SE_SE_bbb
                                        ; -- End function
	.section	.AMDGPU.csdata,"",@progbits
; Kernel info:
; codeLenInByte = 2904
; NumSgprs: 46
; NumVgprs: 20
; ScratchSize: 0
; MemoryBound: 0
; FloatMode: 240
; IeeeMode: 1
; LDSByteSize: 0 bytes/workgroup (compile time only)
; SGPRBlocks: 5
; VGPRBlocks: 2
; NumSGPRsForWavesPerEU: 46
; NumVGPRsForWavesPerEU: 20
; Occupancy: 16
; WaveLimiterHint : 1
; COMPUTE_PGM_RSRC2:SCRATCH_EN: 0
; COMPUTE_PGM_RSRC2:USER_SGPR: 15
; COMPUTE_PGM_RSRC2:TRAP_HANDLER: 0
; COMPUTE_PGM_RSRC2:TGID_X_EN: 1
; COMPUTE_PGM_RSRC2:TGID_Y_EN: 0
; COMPUTE_PGM_RSRC2:TGID_Z_EN: 0
; COMPUTE_PGM_RSRC2:TIDIG_COMP_CNT: 0
	.section	.text._ZN9rocsparseL26csrgemm_fill_block_per_rowILj256ELj32ELj512ELj137ELj64ElifEEvT5_PKS1_S3_NS_24const_host_device_scalarIT6_EEPKT4_S3_PKS5_S9_S3_SB_S6_S9_S3_SB_S9_PS1_PS5_21rocsparse_index_base_SE_SE_SE_bbb,"axG",@progbits,_ZN9rocsparseL26csrgemm_fill_block_per_rowILj256ELj32ELj512ELj137ELj64ElifEEvT5_PKS1_S3_NS_24const_host_device_scalarIT6_EEPKT4_S3_PKS5_S9_S3_SB_S6_S9_S3_SB_S9_PS1_PS5_21rocsparse_index_base_SE_SE_SE_bbb,comdat
	.globl	_ZN9rocsparseL26csrgemm_fill_block_per_rowILj256ELj32ELj512ELj137ELj64ElifEEvT5_PKS1_S3_NS_24const_host_device_scalarIT6_EEPKT4_S3_PKS5_S9_S3_SB_S6_S9_S3_SB_S9_PS1_PS5_21rocsparse_index_base_SE_SE_SE_bbb ; -- Begin function _ZN9rocsparseL26csrgemm_fill_block_per_rowILj256ELj32ELj512ELj137ELj64ElifEEvT5_PKS1_S3_NS_24const_host_device_scalarIT6_EEPKT4_S3_PKS5_S9_S3_SB_S6_S9_S3_SB_S9_PS1_PS5_21rocsparse_index_base_SE_SE_SE_bbb
	.p2align	8
	.type	_ZN9rocsparseL26csrgemm_fill_block_per_rowILj256ELj32ELj512ELj137ELj64ElifEEvT5_PKS1_S3_NS_24const_host_device_scalarIT6_EEPKT4_S3_PKS5_S9_S3_SB_S6_S9_S3_SB_S9_PS1_PS5_21rocsparse_index_base_SE_SE_SE_bbb,@function
_ZN9rocsparseL26csrgemm_fill_block_per_rowILj256ELj32ELj512ELj137ELj64ElifEEvT5_PKS1_S3_NS_24const_host_device_scalarIT6_EEPKT4_S3_PKS5_S9_S3_SB_S6_S9_S3_SB_S9_PS1_PS5_21rocsparse_index_base_SE_SE_SE_bbb: ; @_ZN9rocsparseL26csrgemm_fill_block_per_rowILj256ELj32ELj512ELj137ELj64ElifEEvT5_PKS1_S3_NS_24const_host_device_scalarIT6_EEPKT4_S3_PKS5_S9_S3_SB_S6_S9_S3_SB_S9_PS1_PS5_21rocsparse_index_base_SE_SE_SE_bbb
; %bb.0:
	s_clause 0x2
	s_load_b32 s6, s[0:1], 0x98
	s_load_b64 s[4:5], s[0:1], 0x18
	s_load_b64 s[2:3], s[0:1], 0x50
	s_waitcnt lgkmcnt(0)
	s_bitcmp1_b32 s6, 0
	s_cselect_b32 s13, -1, 0
	s_bitcmp1_b32 s6, 16
	s_cselect_b32 s7, -1, 0
	s_xor_b32 s8, s13, -1
	s_delay_alu instid0(SALU_CYCLE_1) | instskip(NEXT) | instid1(SALU_CYCLE_1)
	s_or_b32 s8, s8, s7
	s_and_b32 vcc_lo, exec_lo, s8
	s_cbranch_vccnz .LBB181_2
; %bb.1:
	s_load_b32 s4, s[4:5], 0x0
	s_waitcnt lgkmcnt(0)
	v_mov_b32_e32 v12, s4
	s_branch .LBB181_3
.LBB181_2:
	v_cndmask_b32_e64 v12, 0, s4, s13
.LBB181_3:
	s_load_b128 s[24:27], s[0:1], 0x88
	s_bitcmp1_b32 s6, 8
	s_cselect_b32 s33, -1, 0
	s_delay_alu instid0(SALU_CYCLE_1) | instskip(NEXT) | instid1(SALU_CYCLE_1)
	s_xor_b32 s4, s33, -1
	s_or_b32 s4, s4, s7
	s_delay_alu instid0(SALU_CYCLE_1)
	s_and_b32 vcc_lo, exec_lo, s4
	s_cbranch_vccnz .LBB181_5
; %bb.4:
	s_load_b32 s2, s[2:3], 0x0
	s_waitcnt lgkmcnt(0)
	v_mov_b32_e32 v11, s2
	s_branch .LBB181_6
.LBB181_5:
	v_cndmask_b32_e64 v11, 0, s2, s33
.LBB181_6:
	s_clause 0x5
	s_load_b128 s[28:31], s[0:1], 0x78
	s_load_b256 s[4:11], s[0:1], 0x58
	s_load_b128 s[36:39], s[0:1], 0x40
	s_load_b256 s[16:23], s[0:1], 0x20
	s_load_b128 s[40:43], s[0:1], 0x8
	s_load_b32 s14, s[0:1], 0x0
	v_cmp_gt_u32_e64 s0, 0x200, v0
	v_or_b32_e32 v9, 0xffffff00, v0
	v_lshl_add_u32 v10, v0, 2, 0
	s_delay_alu instid0(VALU_DEP_3)
	s_and_saveexec_b32 s1, s0
	s_cbranch_execz .LBB181_9
; %bb.7:
	v_or_b32_e32 v1, 0xffffff00, v0
	v_lshl_add_u32 v2, v0, 2, 0
	s_waitcnt lgkmcnt(0)
	v_dual_mov_b32 v3, s14 :: v_dual_mov_b32 v4, 0
	s_mov_b32 s2, 0
.LBB181_8:                              ; =>This Inner Loop Header: Depth=1
	v_add_co_u32 v1, s3, 0x100, v1
	s_delay_alu instid0(VALU_DEP_1) | instskip(SKIP_3) | instid1(SALU_CYCLE_1)
	s_xor_b32 s3, s3, -1
	ds_store_2addr_stride64_b32 v2, v3, v4 offset1:8
	v_add_nc_u32_e32 v2, 0x400, v2
	s_and_b32 s3, exec_lo, s3
	s_or_b32 s2, s3, s2
	s_delay_alu instid0(SALU_CYCLE_1)
	s_and_not1_b32 exec_lo, exec_lo, s2
	s_cbranch_execnz .LBB181_8
.LBB181_9:
	s_or_b32 exec_lo, exec_lo, s1
	s_waitcnt lgkmcnt(0)
	s_barrier
	buffer_gl0_inv
	s_load_b32 s1, s[40:41], 0x0
	s_mov_b32 s3, 0
	s_waitcnt lgkmcnt(0)
	s_add_i32 s2, s1, s15
	s_delay_alu instid0(SALU_CYCLE_1) | instskip(NEXT) | instid1(SALU_CYCLE_1)
	s_lshl_b64 s[2:3], s[2:3], 2
	s_add_u32 s2, s42, s2
	s_addc_u32 s3, s43, s3
	s_and_b32 vcc_lo, exec_lo, s13
	s_load_b32 s12, s[2:3], 0x0
	s_cbranch_vccz .LBB181_29
; %bb.10:
	s_waitcnt lgkmcnt(0)
	s_ashr_i32 s13, s12, 31
	v_lshrrev_b32_e32 v1, 5, v0
	s_lshl_b64 s[2:3], s[12:13], 3
	s_delay_alu instid0(SALU_CYCLE_1) | instskip(SKIP_1) | instid1(VALU_DEP_1)
	s_add_u32 s2, s16, s2
	s_addc_u32 s3, s17, s3
	v_sub_co_u32 v1, s1, v1, s24
	s_load_b128 s[40:43], s[2:3], 0x0
	v_sub_co_ci_u32_e64 v2, null, 0, 0, s1
	s_mov_b32 s1, exec_lo
	s_waitcnt lgkmcnt(0)
	v_add_co_u32 v1, vcc_lo, s40, v1
	s_delay_alu instid0(VALU_DEP_2)
	v_add_co_ci_u32_e32 v2, vcc_lo, s41, v2, vcc_lo
	s_sub_u32 s2, s42, s24
	s_subb_u32 s3, s43, 0
	s_delay_alu instid0(VALU_DEP_1) | instid1(SALU_CYCLE_1)
	v_cmpx_gt_i64_e64 s[2:3], v[1:2]
	s_cbranch_execz .LBB181_28
; %bb.11:
	v_and_b32_e32 v3, 31, v0
	s_mov_b32 s15, s25
	s_delay_alu instid0(VALU_DEP_1) | instskip(NEXT) | instid1(VALU_DEP_1)
	v_sub_co_u32 v13, s13, v3, s25
	v_sub_co_ci_u32_e64 v14, null, 0, 0, s13
	s_mov_b32 s13, 0
	s_branch .LBB181_13
.LBB181_12:                             ;   in Loop: Header=BB181_13 Depth=1
	s_or_b32 exec_lo, exec_lo, s16
	v_add_co_u32 v1, vcc_lo, v1, 8
	v_add_co_ci_u32_e32 v2, vcc_lo, 0, v2, vcc_lo
	s_delay_alu instid0(VALU_DEP_1) | instskip(SKIP_1) | instid1(SALU_CYCLE_1)
	v_cmp_le_i64_e32 vcc_lo, s[2:3], v[1:2]
	s_or_b32 s13, vcc_lo, s13
	s_and_not1_b32 exec_lo, exec_lo, s13
	s_cbranch_execz .LBB181_28
.LBB181_13:                             ; =>This Loop Header: Depth=1
                                        ;     Child Loop BB181_16 Depth 2
                                        ;       Child Loop BB181_18 Depth 3
	v_lshlrev_b64 v[7:8], 2, v[1:2]
	s_mov_b32 s16, exec_lo
	s_delay_alu instid0(VALU_DEP_1) | instskip(NEXT) | instid1(VALU_DEP_2)
	v_add_co_u32 v3, vcc_lo, s18, v7
	v_add_co_ci_u32_e32 v4, vcc_lo, s19, v8, vcc_lo
	global_load_b32 v3, v[3:4], off
	s_waitcnt vmcnt(0)
	v_subrev_nc_u32_e32 v3, s24, v3
	s_delay_alu instid0(VALU_DEP_1) | instskip(NEXT) | instid1(VALU_DEP_1)
	v_ashrrev_i32_e32 v4, 31, v3
	v_lshlrev_b64 v[3:4], 3, v[3:4]
	s_delay_alu instid0(VALU_DEP_1) | instskip(NEXT) | instid1(VALU_DEP_2)
	v_add_co_u32 v3, vcc_lo, s22, v3
	v_add_co_ci_u32_e32 v4, vcc_lo, s23, v4, vcc_lo
	global_load_b128 v[15:18], v[3:4], off
	s_waitcnt vmcnt(0)
	v_sub_co_u32 v3, vcc_lo, v17, s15
	v_subrev_co_ci_u32_e32 v4, vcc_lo, 0, v18, vcc_lo
	v_add_co_u32 v5, vcc_lo, v15, v13
	v_add_co_ci_u32_e32 v6, vcc_lo, v16, v14, vcc_lo
	s_delay_alu instid0(VALU_DEP_1)
	v_cmpx_lt_i64_e64 v[5:6], v[3:4]
	s_cbranch_execz .LBB181_12
; %bb.14:                               ;   in Loop: Header=BB181_13 Depth=1
	v_add_co_u32 v7, vcc_lo, s20, v7
	v_add_co_ci_u32_e32 v8, vcc_lo, s21, v8, vcc_lo
	s_mov_b32 s17, 0
	global_load_b32 v7, v[7:8], off
	s_waitcnt vmcnt(0)
	v_mul_f32_e32 v7, v12, v7
	s_branch .LBB181_16
.LBB181_15:                             ;   in Loop: Header=BB181_16 Depth=2
	s_or_b32 exec_lo, exec_lo, s34
	v_add_co_u32 v5, vcc_lo, v5, 32
	v_add_co_ci_u32_e32 v6, vcc_lo, 0, v6, vcc_lo
	s_delay_alu instid0(VALU_DEP_1) | instskip(SKIP_1) | instid1(SALU_CYCLE_1)
	v_cmp_ge_i64_e32 vcc_lo, v[5:6], v[3:4]
	s_or_b32 s17, vcc_lo, s17
	s_and_not1_b32 exec_lo, exec_lo, s17
	s_cbranch_execz .LBB181_12
.LBB181_16:                             ;   Parent Loop BB181_13 Depth=1
                                        ; =>  This Loop Header: Depth=2
                                        ;       Child Loop BB181_18 Depth 3
	v_lshlrev_b64 v[15:16], 2, v[5:6]
	s_mov_b32 s34, 0
	s_delay_alu instid0(VALU_DEP_1) | instskip(NEXT) | instid1(VALU_DEP_2)
	v_add_co_u32 v17, vcc_lo, s36, v15
	v_add_co_ci_u32_e32 v18, vcc_lo, s37, v16, vcc_lo
	v_add_co_u32 v15, vcc_lo, s38, v15
	v_add_co_ci_u32_e32 v16, vcc_lo, s39, v16, vcc_lo
	global_load_b32 v8, v[17:18], off
	global_load_b32 v15, v[15:16], off
	s_waitcnt vmcnt(1)
	v_subrev_nc_u32_e32 v8, s25, v8
	s_delay_alu instid0(VALU_DEP_1) | instskip(SKIP_1) | instid1(VALU_DEP_1)
	v_mul_lo_u32 v16, 0x89, v8
	s_waitcnt vmcnt(0)
	v_dual_mul_f32 v15, v7, v15 :: v_dual_and_b32 v16, 0x1ff, v16
	s_branch .LBB181_18
.LBB181_17:                             ;   in Loop: Header=BB181_18 Depth=3
	s_or_b32 exec_lo, exec_lo, s35
	s_xor_b32 s35, s40, -1
	s_delay_alu instid0(SALU_CYCLE_1) | instskip(NEXT) | instid1(SALU_CYCLE_1)
	s_and_b32 s35, exec_lo, s35
	s_or_b32 s34, s35, s34
	s_delay_alu instid0(SALU_CYCLE_1)
	s_and_not1_b32 exec_lo, exec_lo, s34
	s_cbranch_execz .LBB181_15
.LBB181_18:                             ;   Parent Loop BB181_13 Depth=1
                                        ;     Parent Loop BB181_16 Depth=2
                                        ; =>    This Inner Loop Header: Depth=3
	s_delay_alu instid0(VALU_DEP_1)
	v_lshl_add_u32 v17, v16, 2, 0
	s_mov_b32 s35, exec_lo
                                        ; implicit-def: $sgpr40
	ds_load_b32 v18, v17
	s_waitcnt lgkmcnt(0)
	v_cmpx_ne_u32_e64 v18, v8
	s_xor_b32 s35, exec_lo, s35
	s_cbranch_execz .LBB181_26
; %bb.19:                               ;   in Loop: Header=BB181_18 Depth=3
	s_mov_b32 s41, exec_lo
                                        ; implicit-def: $sgpr40
	v_cmpx_ne_u32_e64 s14, v18
	s_xor_b32 s41, exec_lo, s41
; %bb.20:                               ;   in Loop: Header=BB181_18 Depth=3
	v_add_nc_u32_e32 v16, 1, v16
	s_mov_b32 s40, -1
                                        ; implicit-def: $vgpr17
	s_delay_alu instid0(VALU_DEP_1)
	v_and_b32_e32 v16, 0x1ff, v16
; %bb.21:                               ;   in Loop: Header=BB181_18 Depth=3
	s_and_not1_saveexec_b32 s41, s41
	s_cbranch_execz .LBB181_25
; %bb.22:                               ;   in Loop: Header=BB181_18 Depth=3
	v_mov_b32_e32 v18, s14
	s_mov_b32 s42, -1
	s_mov_b32 s43, exec_lo
	ds_cmpstore_rtn_b32 v18, v17, v8, v18
	s_waitcnt lgkmcnt(0)
	v_cmpx_eq_u32_e64 s14, v18
	s_cbranch_execz .LBB181_24
; %bb.23:                               ;   in Loop: Header=BB181_18 Depth=3
	ds_add_f32 v17, v15 offset:2048
	s_xor_b32 s42, exec_lo, -1
.LBB181_24:                             ;   in Loop: Header=BB181_18 Depth=3
	s_or_b32 exec_lo, exec_lo, s43
	s_delay_alu instid0(SALU_CYCLE_1) | instskip(SKIP_1) | instid1(SALU_CYCLE_1)
	s_and_not1_b32 s40, s40, exec_lo
	s_and_b32 s42, s42, exec_lo
	s_or_b32 s40, s40, s42
.LBB181_25:                             ;   in Loop: Header=BB181_18 Depth=3
	s_or_b32 exec_lo, exec_lo, s41
	s_delay_alu instid0(SALU_CYCLE_1)
	s_and_b32 s40, s40, exec_lo
                                        ; implicit-def: $vgpr17
.LBB181_26:                             ;   in Loop: Header=BB181_18 Depth=3
	s_and_not1_saveexec_b32 s35, s35
	s_cbranch_execz .LBB181_17
; %bb.27:                               ;   in Loop: Header=BB181_18 Depth=3
	ds_add_f32 v17, v15 offset:2048
	s_and_not1_b32 s40, s40, exec_lo
	s_branch .LBB181_17
.LBB181_28:
	s_or_b32 exec_lo, exec_lo, s1
.LBB181_29:
	s_delay_alu instid0(SALU_CYCLE_1)
	s_and_not1_b32 vcc_lo, exec_lo, s33
	s_cbranch_vccnz .LBB181_32
; %bb.30:
	s_waitcnt lgkmcnt(0)
	s_ashr_i32 s13, s12, 31
	v_sub_co_u32 v1, s1, v0, s27
	s_lshl_b64 s[2:3], s[12:13], 3
	v_sub_co_ci_u32_e64 v2, null, 0, 0, s1
	s_add_u32 s2, s4, s2
	s_addc_u32 s3, s5, s3
	s_mov_b32 s4, 0
	s_load_b128 s[16:19], s[2:3], 0x0
	s_mov_b32 s1, exec_lo
	s_waitcnt lgkmcnt(0)
	v_add_co_u32 v1, vcc_lo, s16, v1
	v_add_co_ci_u32_e32 v2, vcc_lo, s17, v2, vcc_lo
	s_sub_u32 s2, s18, s27
	s_subb_u32 s3, s19, 0
	s_delay_alu instid0(VALU_DEP_1) | instid1(SALU_CYCLE_1)
	v_cmpx_gt_i64_e64 s[2:3], v[1:2]
	s_cbranch_execnz .LBB181_46
.LBB181_31:
	s_or_b32 exec_lo, exec_lo, s1
.LBB181_32:
	s_waitcnt lgkmcnt(0)
	s_barrier
	buffer_gl0_inv
	s_and_saveexec_b32 s4, s0
	s_cbranch_execz .LBB181_58
; %bb.33:
	v_mbcnt_lo_u32_b32 v1, -1, 0
	v_lshrrev_b32_e32 v2, 4, v0
	v_cmp_eq_u32_e32 vcc_lo, 0xff, v0
	v_cmp_lt_u32_e64 s0, 63, v0
	v_cmp_lt_u32_e64 s1, 0x7f, v0
	v_xor_b32_e32 v1, 63, v1
	v_dual_mov_b32 v6, 0 :: v_dual_and_b32 v3, 12, v2
	v_cmp_lt_u32_e64 s2, 0xbf, v0
	s_mov_b32 s5, 0
	s_delay_alu instid0(VALU_DEP_3) | instskip(NEXT) | instid1(VALU_DEP_3)
	v_lshrrev_b64 v[1:2], v1, -1
	v_dual_mov_b32 v5, 0 :: v_dual_add_nc_u32 v4, 0, v3
	s_branch .LBB181_35
.LBB181_34:                             ;   in Loop: Header=BB181_35 Depth=1
	s_or_b32 exec_lo, exec_lo, s3
	s_waitcnt lgkmcnt(0)
	s_barrier
	buffer_gl0_inv
	ds_load_b32 v2, v5 offset:4108
	v_add_co_u32 v9, s3, 0x100, v9
	s_delay_alu instid0(VALU_DEP_1) | instskip(SKIP_2) | instid1(SALU_CYCLE_1)
	s_xor_b32 s3, s3, -1
	v_add_nc_u32_e32 v10, 0x400, v10
	s_and_b32 s3, exec_lo, s3
	s_or_b32 s5, s3, s5
	s_waitcnt lgkmcnt(0)
	v_add_nc_u32_e32 v6, v2, v6
	s_and_not1_b32 exec_lo, exec_lo, s5
	s_cbranch_execz .LBB181_58
.LBB181_35:                             ; =>This Inner Loop Header: Depth=1
	ds_load_2addr_stride64_b32 v[2:3], v10 offset1:8
	s_waitcnt lgkmcnt(0)
	s_barrier
	buffer_gl0_inv
	v_cmp_gt_i32_e64 s3, s14, v2
	s_delay_alu instid0(VALU_DEP_1) | instskip(NEXT) | instid1(SALU_CYCLE_1)
	s_bcnt1_i32_b32 s6, s3
	v_dual_mov_b32 v8, s6 :: v_dual_and_b32 v7, s3, v1
	s_delay_alu instid0(VALU_DEP_1)
	v_bcnt_u32_b32 v7, v7, 0
	ds_store_b32 v4, v8 offset:4096
	s_waitcnt lgkmcnt(0)
	s_barrier
	buffer_gl0_inv
	s_and_saveexec_b32 s6, s0
	s_cbranch_execnz .LBB181_40
; %bb.36:                               ;   in Loop: Header=BB181_35 Depth=1
	s_or_b32 exec_lo, exec_lo, s6
	s_and_saveexec_b32 s6, s1
	s_cbranch_execnz .LBB181_41
.LBB181_37:                             ;   in Loop: Header=BB181_35 Depth=1
	s_or_b32 exec_lo, exec_lo, s6
	s_and_saveexec_b32 s6, s2
	s_cbranch_execnz .LBB181_42
.LBB181_38:                             ;   in Loop: Header=BB181_35 Depth=1
	s_or_b32 exec_lo, exec_lo, s6
	s_and_saveexec_b32 s6, s3
	s_cbranch_execnz .LBB181_43
.LBB181_39:                             ;   in Loop: Header=BB181_35 Depth=1
	s_or_b32 exec_lo, exec_lo, s6
	s_and_saveexec_b32 s3, vcc_lo
	s_cbranch_execz .LBB181_34
	s_branch .LBB181_44
.LBB181_40:                             ;   in Loop: Header=BB181_35 Depth=1
	ds_load_b32 v8, v5 offset:4096
	s_waitcnt lgkmcnt(0)
	v_add_nc_u32_e32 v7, v8, v7
	s_or_b32 exec_lo, exec_lo, s6
	s_and_saveexec_b32 s6, s1
	s_cbranch_execz .LBB181_37
.LBB181_41:                             ;   in Loop: Header=BB181_35 Depth=1
	ds_load_b32 v8, v5 offset:4100
	s_waitcnt lgkmcnt(0)
	v_add_nc_u32_e32 v7, v8, v7
	s_or_b32 exec_lo, exec_lo, s6
	s_and_saveexec_b32 s6, s2
	s_cbranch_execz .LBB181_38
.LBB181_42:                             ;   in Loop: Header=BB181_35 Depth=1
	ds_load_b32 v8, v5 offset:4104
	s_waitcnt lgkmcnt(0)
	v_add_nc_u32_e32 v7, v8, v7
	s_or_b32 exec_lo, exec_lo, s6
	s_and_saveexec_b32 s6, s3
	s_cbranch_execz .LBB181_39
.LBB181_43:                             ;   in Loop: Header=BB181_35 Depth=1
	s_delay_alu instid0(VALU_DEP_1) | instskip(NEXT) | instid1(VALU_DEP_1)
	v_add3_u32 v8, v6, -1, v7
	v_lshl_add_u32 v8, v8, 2, 0
	ds_store_2addr_stride64_b32 v8, v2, v3 offset1:8
	s_or_b32 exec_lo, exec_lo, s6
	s_and_saveexec_b32 s3, vcc_lo
	s_cbranch_execz .LBB181_34
.LBB181_44:                             ;   in Loop: Header=BB181_35 Depth=1
	ds_store_b32 v5, v7 offset:4108
	s_branch .LBB181_34
.LBB181_45:                             ;   in Loop: Header=BB181_46 Depth=1
	s_or_b32 exec_lo, exec_lo, s5
	v_add_co_u32 v1, vcc_lo, 0x100, v1
	v_add_co_ci_u32_e32 v2, vcc_lo, 0, v2, vcc_lo
	s_delay_alu instid0(VALU_DEP_1) | instskip(SKIP_1) | instid1(SALU_CYCLE_1)
	v_cmp_le_i64_e32 vcc_lo, s[2:3], v[1:2]
	s_or_b32 s4, vcc_lo, s4
	s_and_not1_b32 exec_lo, exec_lo, s4
	s_cbranch_execz .LBB181_31
.LBB181_46:                             ; =>This Loop Header: Depth=1
                                        ;     Child Loop BB181_48 Depth 2
	v_lshlrev_b64 v[3:4], 2, v[1:2]
	s_mov_b32 s5, 0
	s_delay_alu instid0(VALU_DEP_1) | instskip(NEXT) | instid1(VALU_DEP_2)
	v_add_co_u32 v5, vcc_lo, s6, v3
	v_add_co_ci_u32_e32 v6, vcc_lo, s7, v4, vcc_lo
	v_add_co_u32 v3, vcc_lo, s8, v3
	v_add_co_ci_u32_e32 v4, vcc_lo, s9, v4, vcc_lo
	global_load_b32 v5, v[5:6], off
	global_load_b32 v4, v[3:4], off
	s_waitcnt vmcnt(1)
	v_subrev_nc_u32_e32 v3, s27, v5
	s_delay_alu instid0(VALU_DEP_1) | instskip(SKIP_1) | instid1(VALU_DEP_1)
	v_mul_lo_u32 v5, 0x89, v3
	s_waitcnt vmcnt(0)
	v_dual_mul_f32 v4, v11, v4 :: v_dual_and_b32 v5, 0x1ff, v5
	s_branch .LBB181_48
.LBB181_47:                             ;   in Loop: Header=BB181_48 Depth=2
	s_or_b32 exec_lo, exec_lo, s13
	s_xor_b32 s13, s15, -1
	s_delay_alu instid0(SALU_CYCLE_1) | instskip(NEXT) | instid1(SALU_CYCLE_1)
	s_and_b32 s13, exec_lo, s13
	s_or_b32 s5, s13, s5
	s_delay_alu instid0(SALU_CYCLE_1)
	s_and_not1_b32 exec_lo, exec_lo, s5
	s_cbranch_execz .LBB181_45
.LBB181_48:                             ;   Parent Loop BB181_46 Depth=1
                                        ; =>  This Inner Loop Header: Depth=2
	s_delay_alu instid0(VALU_DEP_1)
	v_lshl_add_u32 v6, v5, 2, 0
	s_mov_b32 s13, exec_lo
                                        ; implicit-def: $sgpr15
	ds_load_b32 v7, v6
	s_waitcnt lgkmcnt(0)
	v_cmpx_ne_u32_e64 v7, v3
	s_xor_b32 s13, exec_lo, s13
	s_cbranch_execz .LBB181_56
; %bb.49:                               ;   in Loop: Header=BB181_48 Depth=2
	s_mov_b32 s16, exec_lo
                                        ; implicit-def: $sgpr15
	v_cmpx_ne_u32_e64 s14, v7
	s_xor_b32 s16, exec_lo, s16
; %bb.50:                               ;   in Loop: Header=BB181_48 Depth=2
	v_add_nc_u32_e32 v5, 1, v5
	s_mov_b32 s15, -1
                                        ; implicit-def: $vgpr6
	s_delay_alu instid0(VALU_DEP_1)
	v_and_b32_e32 v5, 0x1ff, v5
; %bb.51:                               ;   in Loop: Header=BB181_48 Depth=2
	s_and_not1_saveexec_b32 s16, s16
	s_cbranch_execz .LBB181_55
; %bb.52:                               ;   in Loop: Header=BB181_48 Depth=2
	v_mov_b32_e32 v7, s14
	s_mov_b32 s17, -1
	s_mov_b32 s18, exec_lo
	ds_cmpstore_rtn_b32 v7, v6, v3, v7
	s_waitcnt lgkmcnt(0)
	v_cmpx_eq_u32_e64 s14, v7
	s_cbranch_execz .LBB181_54
; %bb.53:                               ;   in Loop: Header=BB181_48 Depth=2
	ds_add_f32 v6, v4 offset:2048
	s_xor_b32 s17, exec_lo, -1
.LBB181_54:                             ;   in Loop: Header=BB181_48 Depth=2
	s_or_b32 exec_lo, exec_lo, s18
	s_delay_alu instid0(SALU_CYCLE_1) | instskip(SKIP_1) | instid1(SALU_CYCLE_1)
	s_and_not1_b32 s15, s15, exec_lo
	s_and_b32 s17, s17, exec_lo
	s_or_b32 s15, s15, s17
.LBB181_55:                             ;   in Loop: Header=BB181_48 Depth=2
	s_or_b32 exec_lo, exec_lo, s16
	s_delay_alu instid0(SALU_CYCLE_1)
	s_and_b32 s15, s15, exec_lo
                                        ; implicit-def: $vgpr6
.LBB181_56:                             ;   in Loop: Header=BB181_48 Depth=2
	s_and_not1_saveexec_b32 s13, s13
	s_cbranch_execz .LBB181_47
; %bb.57:                               ;   in Loop: Header=BB181_48 Depth=2
	ds_add_f32 v6, v4 offset:2048
	s_and_not1_b32 s15, s15, exec_lo
	s_branch .LBB181_47
.LBB181_58:
	s_or_b32 exec_lo, exec_lo, s4
	s_ashr_i32 s13, s12, 31
	s_mov_b32 s4, exec_lo
	s_lshl_b64 s[0:1], s[12:13], 3
	s_delay_alu instid0(SALU_CYCLE_1) | instskip(SKIP_4) | instid1(SALU_CYCLE_1)
	s_add_u32 s0, s10, s0
	s_addc_u32 s1, s11, s1
	s_load_b128 s[0:3], s[0:1], 0x0
	s_waitcnt lgkmcnt(0)
	s_sub_i32 s3, s2, s0
	v_cmpx_gt_i32_e64 s3, v0
	s_cbranch_execz .LBB181_68
; %bb.59:
	s_sub_u32 s4, s0, s26
	s_subb_u32 s5, s1, 0
	s_sub_i32 s0, s0, s2
	s_and_b32 s1, s3, 7
	s_cmp_lt_u32 s0, -7
	s_mov_b32 s8, 0
	s_cselect_b32 s2, -1, 0
	s_and_b32 s6, s3, -8
	s_cmp_lg_u32 s1, 0
	s_cselect_b32 s7, -1, 0
	s_branch .LBB181_61
.LBB181_60:                             ;   in Loop: Header=BB181_61 Depth=1
	s_delay_alu instid0(VALU_DEP_1) | instskip(SKIP_3) | instid1(VALU_DEP_3)
	v_lshlrev_b64 v[3:4], 2, v[3:4]
	v_add_nc_u32_e32 v0, 0x100, v0
	s_waitcnt lgkmcnt(0)
	v_add_nc_u32_e32 v1, s26, v1
	v_add_co_u32 v5, vcc_lo, s28, v3
	s_delay_alu instid0(VALU_DEP_4) | instskip(SKIP_2) | instid1(VALU_DEP_1)
	v_add_co_ci_u32_e32 v6, vcc_lo, s29, v4, vcc_lo
	v_cmp_le_i32_e32 vcc_lo, s3, v0
	v_add_co_u32 v3, s0, s30, v3
	v_add_co_ci_u32_e64 v4, s0, s31, v4, s0
	s_or_b32 s8, vcc_lo, s8
	global_store_b32 v[5:6], v1, off
	global_store_b32 v[3:4], v2, off
	s_and_not1_b32 exec_lo, exec_lo, s8
	s_cbranch_execz .LBB181_68
.LBB181_61:                             ; =>This Loop Header: Depth=1
                                        ;     Child Loop BB181_63 Depth 2
                                        ;     Child Loop BB181_67 Depth 2
	v_lshl_add_u32 v1, v0, 2, 0
	v_dual_mov_b32 v3, s4 :: v_dual_mov_b32 v4, s5
	s_and_not1_b32 vcc_lo, exec_lo, s2
	s_mov_b32 s0, 0
	ds_load_2addr_stride64_b32 v[1:2], v1 offset1:8
	s_cbranch_vccnz .LBB181_65
; %bb.62:                               ;   in Loop: Header=BB181_61 Depth=1
	v_dual_mov_b32 v3, s4 :: v_dual_mov_b32 v4, s5
	s_mov_b32 s9, 0
	s_mov_b32 s10, 0
.LBB181_63:                             ;   Parent Loop BB181_61 Depth=1
                                        ; =>  This Inner Loop Header: Depth=2
	s_delay_alu instid0(SALU_CYCLE_1)
	v_mov_b32_e32 v11, s10
	s_add_i32 s9, s9, 8
	s_add_i32 s10, s10, 32
	s_cmp_eq_u32 s6, s9
	ds_load_2addr_b32 v[5:6], v11 offset1:1
	ds_load_2addr_b32 v[7:8], v11 offset0:2 offset1:3
	ds_load_2addr_b32 v[9:10], v11 offset0:4 offset1:5
	;; [unrolled: 1-line block ×3, first 2 shown]
	s_waitcnt lgkmcnt(3)
	v_cmp_gt_i32_e32 vcc_lo, v1, v5
	v_cndmask_b32_e64 v5, 0, 1, vcc_lo
	v_cmp_gt_i32_e32 vcc_lo, v1, v6
	v_cndmask_b32_e64 v6, 0, 1, vcc_lo
	s_waitcnt lgkmcnt(2)
	v_cmp_gt_i32_e32 vcc_lo, v1, v7
	v_cndmask_b32_e64 v7, 0, 1, vcc_lo
	v_cmp_gt_i32_e32 vcc_lo, v1, v8
	v_cndmask_b32_e64 v8, 0, 1, vcc_lo
	s_waitcnt lgkmcnt(1)
	v_cmp_gt_i32_e32 vcc_lo, v1, v9
	v_cndmask_b32_e64 v9, 0, 1, vcc_lo
	v_add_co_u32 v3, vcc_lo, v3, v5
	v_add_co_ci_u32_e32 v4, vcc_lo, 0, v4, vcc_lo
	v_cmp_gt_i32_e32 vcc_lo, v1, v10
	s_delay_alu instid0(VALU_DEP_3) | instskip(NEXT) | instid1(VALU_DEP_1)
	v_add_co_u32 v3, s0, v3, v6
	v_add_co_ci_u32_e64 v4, s0, 0, v4, s0
	v_cndmask_b32_e64 v5, 0, 1, vcc_lo
	s_delay_alu instid0(VALU_DEP_3) | instskip(NEXT) | instid1(VALU_DEP_3)
	v_add_co_u32 v3, vcc_lo, v3, v7
	v_add_co_ci_u32_e32 v4, vcc_lo, 0, v4, vcc_lo
	s_waitcnt lgkmcnt(0)
	v_cmp_gt_i32_e32 vcc_lo, v1, v11
	s_delay_alu instid0(VALU_DEP_3) | instskip(NEXT) | instid1(VALU_DEP_1)
	v_add_co_u32 v3, s0, v3, v8
	v_add_co_ci_u32_e64 v4, s0, 0, v4, s0
	v_cndmask_b32_e64 v6, 0, 1, vcc_lo
	s_delay_alu instid0(VALU_DEP_3) | instskip(NEXT) | instid1(VALU_DEP_3)
	v_add_co_u32 v3, vcc_lo, v3, v9
	v_add_co_ci_u32_e32 v4, vcc_lo, 0, v4, vcc_lo
	v_cmp_gt_i32_e32 vcc_lo, v1, v12
	s_delay_alu instid0(VALU_DEP_3) | instskip(NEXT) | instid1(VALU_DEP_1)
	v_add_co_u32 v3, s0, v3, v5
	v_add_co_ci_u32_e64 v4, s0, 0, v4, s0
	v_cndmask_b32_e64 v5, 0, 1, vcc_lo
	s_delay_alu instid0(VALU_DEP_3) | instskip(NEXT) | instid1(VALU_DEP_3)
	v_add_co_u32 v3, vcc_lo, v3, v6
	v_add_co_ci_u32_e32 v4, vcc_lo, 0, v4, vcc_lo
	s_delay_alu instid0(VALU_DEP_2) | instskip(NEXT) | instid1(VALU_DEP_2)
	v_add_co_u32 v3, vcc_lo, v3, v5
	v_add_co_ci_u32_e32 v4, vcc_lo, 0, v4, vcc_lo
	s_cbranch_scc0 .LBB181_63
; %bb.64:                               ;   in Loop: Header=BB181_61 Depth=1
	s_mov_b32 s0, s6
.LBB181_65:                             ;   in Loop: Header=BB181_61 Depth=1
	s_and_not1_b32 vcc_lo, exec_lo, s7
	s_cbranch_vccnz .LBB181_60
; %bb.66:                               ;   in Loop: Header=BB181_61 Depth=1
	s_lshl_b32 s0, s0, 2
	s_mov_b32 s9, s1
	s_add_i32 s0, s0, 0
.LBB181_67:                             ;   Parent Loop BB181_61 Depth=1
                                        ; =>  This Inner Loop Header: Depth=2
	s_delay_alu instid0(SALU_CYCLE_1)
	v_mov_b32_e32 v5, s0
	s_add_i32 s9, s9, -1
	s_add_i32 s0, s0, 4
	s_cmp_lg_u32 s9, 0
	ds_load_b32 v5, v5
	s_waitcnt lgkmcnt(0)
	v_cmp_gt_i32_e32 vcc_lo, v1, v5
	v_cndmask_b32_e64 v5, 0, 1, vcc_lo
	s_delay_alu instid0(VALU_DEP_1)
	v_add_co_u32 v3, vcc_lo, v3, v5
	v_add_co_ci_u32_e32 v4, vcc_lo, 0, v4, vcc_lo
	s_cbranch_scc1 .LBB181_67
	s_branch .LBB181_60
.LBB181_68:
	s_nop 0
	s_sendmsg sendmsg(MSG_DEALLOC_VGPRS)
	s_endpgm
	.section	.rodata,"a",@progbits
	.p2align	6, 0x0
	.amdhsa_kernel _ZN9rocsparseL26csrgemm_fill_block_per_rowILj256ELj32ELj512ELj137ELj64ElifEEvT5_PKS1_S3_NS_24const_host_device_scalarIT6_EEPKT4_S3_PKS5_S9_S3_SB_S6_S9_S3_SB_S9_PS1_PS5_21rocsparse_index_base_SE_SE_SE_bbb
		.amdhsa_group_segment_fixed_size 0
		.amdhsa_private_segment_fixed_size 0
		.amdhsa_kernarg_size 156
		.amdhsa_user_sgpr_count 15
		.amdhsa_user_sgpr_dispatch_ptr 0
		.amdhsa_user_sgpr_queue_ptr 0
		.amdhsa_user_sgpr_kernarg_segment_ptr 1
		.amdhsa_user_sgpr_dispatch_id 0
		.amdhsa_user_sgpr_private_segment_size 0
		.amdhsa_wavefront_size32 1
		.amdhsa_uses_dynamic_stack 0
		.amdhsa_enable_private_segment 0
		.amdhsa_system_sgpr_workgroup_id_x 1
		.amdhsa_system_sgpr_workgroup_id_y 0
		.amdhsa_system_sgpr_workgroup_id_z 0
		.amdhsa_system_sgpr_workgroup_info 0
		.amdhsa_system_vgpr_workitem_id 0
		.amdhsa_next_free_vgpr 19
		.amdhsa_next_free_sgpr 44
		.amdhsa_reserve_vcc 1
		.amdhsa_float_round_mode_32 0
		.amdhsa_float_round_mode_16_64 0
		.amdhsa_float_denorm_mode_32 3
		.amdhsa_float_denorm_mode_16_64 3
		.amdhsa_dx10_clamp 1
		.amdhsa_ieee_mode 1
		.amdhsa_fp16_overflow 0
		.amdhsa_workgroup_processor_mode 1
		.amdhsa_memory_ordered 1
		.amdhsa_forward_progress 0
		.amdhsa_shared_vgpr_count 0
		.amdhsa_exception_fp_ieee_invalid_op 0
		.amdhsa_exception_fp_denorm_src 0
		.amdhsa_exception_fp_ieee_div_zero 0
		.amdhsa_exception_fp_ieee_overflow 0
		.amdhsa_exception_fp_ieee_underflow 0
		.amdhsa_exception_fp_ieee_inexact 0
		.amdhsa_exception_int_div_zero 0
	.end_amdhsa_kernel
	.section	.text._ZN9rocsparseL26csrgemm_fill_block_per_rowILj256ELj32ELj512ELj137ELj64ElifEEvT5_PKS1_S3_NS_24const_host_device_scalarIT6_EEPKT4_S3_PKS5_S9_S3_SB_S6_S9_S3_SB_S9_PS1_PS5_21rocsparse_index_base_SE_SE_SE_bbb,"axG",@progbits,_ZN9rocsparseL26csrgemm_fill_block_per_rowILj256ELj32ELj512ELj137ELj64ElifEEvT5_PKS1_S3_NS_24const_host_device_scalarIT6_EEPKT4_S3_PKS5_S9_S3_SB_S6_S9_S3_SB_S9_PS1_PS5_21rocsparse_index_base_SE_SE_SE_bbb,comdat
.Lfunc_end181:
	.size	_ZN9rocsparseL26csrgemm_fill_block_per_rowILj256ELj32ELj512ELj137ELj64ElifEEvT5_PKS1_S3_NS_24const_host_device_scalarIT6_EEPKT4_S3_PKS5_S9_S3_SB_S6_S9_S3_SB_S9_PS1_PS5_21rocsparse_index_base_SE_SE_SE_bbb, .Lfunc_end181-_ZN9rocsparseL26csrgemm_fill_block_per_rowILj256ELj32ELj512ELj137ELj64ElifEEvT5_PKS1_S3_NS_24const_host_device_scalarIT6_EEPKT4_S3_PKS5_S9_S3_SB_S6_S9_S3_SB_S9_PS1_PS5_21rocsparse_index_base_SE_SE_SE_bbb
                                        ; -- End function
	.section	.AMDGPU.csdata,"",@progbits
; Kernel info:
; codeLenInByte = 2716
; NumSgprs: 46
; NumVgprs: 19
; ScratchSize: 0
; MemoryBound: 0
; FloatMode: 240
; IeeeMode: 1
; LDSByteSize: 0 bytes/workgroup (compile time only)
; SGPRBlocks: 5
; VGPRBlocks: 2
; NumSGPRsForWavesPerEU: 46
; NumVGPRsForWavesPerEU: 19
; Occupancy: 16
; WaveLimiterHint : 1
; COMPUTE_PGM_RSRC2:SCRATCH_EN: 0
; COMPUTE_PGM_RSRC2:USER_SGPR: 15
; COMPUTE_PGM_RSRC2:TRAP_HANDLER: 0
; COMPUTE_PGM_RSRC2:TGID_X_EN: 1
; COMPUTE_PGM_RSRC2:TGID_Y_EN: 0
; COMPUTE_PGM_RSRC2:TGID_Z_EN: 0
; COMPUTE_PGM_RSRC2:TIDIG_COMP_CNT: 0
	.section	.text._ZN9rocsparseL26csrgemm_fill_block_per_rowILj512ELj32ELj1024ELj137ELj32ElifEEvT5_PKS1_S3_NS_24const_host_device_scalarIT6_EEPKT4_S3_PKS5_S9_S3_SB_S6_S9_S3_SB_S9_PS1_PS5_21rocsparse_index_base_SE_SE_SE_bbb,"axG",@progbits,_ZN9rocsparseL26csrgemm_fill_block_per_rowILj512ELj32ELj1024ELj137ELj32ElifEEvT5_PKS1_S3_NS_24const_host_device_scalarIT6_EEPKT4_S3_PKS5_S9_S3_SB_S6_S9_S3_SB_S9_PS1_PS5_21rocsparse_index_base_SE_SE_SE_bbb,comdat
	.globl	_ZN9rocsparseL26csrgemm_fill_block_per_rowILj512ELj32ELj1024ELj137ELj32ElifEEvT5_PKS1_S3_NS_24const_host_device_scalarIT6_EEPKT4_S3_PKS5_S9_S3_SB_S6_S9_S3_SB_S9_PS1_PS5_21rocsparse_index_base_SE_SE_SE_bbb ; -- Begin function _ZN9rocsparseL26csrgemm_fill_block_per_rowILj512ELj32ELj1024ELj137ELj32ElifEEvT5_PKS1_S3_NS_24const_host_device_scalarIT6_EEPKT4_S3_PKS5_S9_S3_SB_S6_S9_S3_SB_S9_PS1_PS5_21rocsparse_index_base_SE_SE_SE_bbb
	.p2align	8
	.type	_ZN9rocsparseL26csrgemm_fill_block_per_rowILj512ELj32ELj1024ELj137ELj32ElifEEvT5_PKS1_S3_NS_24const_host_device_scalarIT6_EEPKT4_S3_PKS5_S9_S3_SB_S6_S9_S3_SB_S9_PS1_PS5_21rocsparse_index_base_SE_SE_SE_bbb,@function
_ZN9rocsparseL26csrgemm_fill_block_per_rowILj512ELj32ELj1024ELj137ELj32ElifEEvT5_PKS1_S3_NS_24const_host_device_scalarIT6_EEPKT4_S3_PKS5_S9_S3_SB_S6_S9_S3_SB_S9_PS1_PS5_21rocsparse_index_base_SE_SE_SE_bbb: ; @_ZN9rocsparseL26csrgemm_fill_block_per_rowILj512ELj32ELj1024ELj137ELj32ElifEEvT5_PKS1_S3_NS_24const_host_device_scalarIT6_EEPKT4_S3_PKS5_S9_S3_SB_S6_S9_S3_SB_S9_PS1_PS5_21rocsparse_index_base_SE_SE_SE_bbb
; %bb.0:
	s_clause 0x3
	s_load_b32 s12, s[0:1], 0x98
	s_load_b128 s[24:27], s[0:1], 0x88
	s_load_b64 s[4:5], s[0:1], 0x18
	s_load_b64 s[2:3], s[0:1], 0x50
	s_waitcnt lgkmcnt(0)
	s_bitcmp1_b32 s12, 0
	s_cselect_b32 s13, -1, 0
	s_bitcmp1_b32 s12, 16
	s_cselect_b32 s14, -1, 0
	s_xor_b32 s6, s13, -1
	s_delay_alu instid0(SALU_CYCLE_1) | instskip(NEXT) | instid1(SALU_CYCLE_1)
	s_or_b32 s6, s6, s14
	s_and_b32 vcc_lo, exec_lo, s6
	s_cbranch_vccnz .LBB182_2
; %bb.1:
	s_load_b32 s4, s[4:5], 0x0
	s_waitcnt lgkmcnt(0)
	v_mov_b32_e32 v13, s4
	s_branch .LBB182_3
.LBB182_2:
	v_cndmask_b32_e64 v13, 0, s4, s13
.LBB182_3:
	s_clause 0x4
	s_load_b128 s[28:31], s[0:1], 0x78
	s_load_b256 s[16:23], s[0:1], 0x58
	s_load_b128 s[36:39], s[0:1], 0x40
	s_load_b128 s[40:43], s[0:1], 0x8
	s_load_b256 s[4:11], s[0:1], 0x20
	s_bitcmp1_b32 s12, 8
	s_cselect_b32 s12, -1, 0
	s_delay_alu instid0(SALU_CYCLE_1) | instskip(NEXT) | instid1(SALU_CYCLE_1)
	s_xor_b32 s33, s12, -1
	s_or_b32 s14, s33, s14
	s_delay_alu instid0(SALU_CYCLE_1)
	s_and_b32 vcc_lo, exec_lo, s14
	s_cbranch_vccnz .LBB182_5
; %bb.4:
	s_load_b32 s2, s[2:3], 0x0
	s_waitcnt lgkmcnt(0)
	v_mov_b32_e32 v11, s2
	s_branch .LBB182_6
.LBB182_5:
	v_cndmask_b32_e64 v11, 0, s2, s12
.LBB182_6:
	s_load_b32 s33, s[0:1], 0x0
	v_lshl_add_u32 v9, v0, 2, 0
	v_or_b32_e32 v10, 0xfffffe00, v0
	v_mov_b32_e32 v1, 0
	s_mov_b32 s0, 0
	s_delay_alu instid0(VALU_DEP_3)
	v_mov_b32_e32 v2, v9
	s_waitcnt lgkmcnt(0)
	v_dual_mov_b32 v4, v10 :: v_dual_mov_b32 v3, s33
.LBB182_7:                              ; =>This Inner Loop Header: Depth=1
	s_delay_alu instid0(VALU_DEP_1) | instskip(NEXT) | instid1(VALU_DEP_1)
	v_add_co_u32 v4, s1, 0x200, v4
	s_xor_b32 s1, s1, -1
	ds_store_2addr_stride64_b32 v2, v3, v1 offset1:16
	v_add_nc_u32_e32 v2, 0x800, v2
	s_and_b32 s1, exec_lo, s1
	s_delay_alu instid0(SALU_CYCLE_1) | instskip(NEXT) | instid1(SALU_CYCLE_1)
	s_or_b32 s0, s1, s0
	s_and_not1_b32 exec_lo, exec_lo, s0
	s_cbranch_execnz .LBB182_7
; %bb.8:
	s_or_b32 exec_lo, exec_lo, s0
	s_waitcnt lgkmcnt(0)
	s_barrier
	buffer_gl0_inv
	s_load_b32 s0, s[40:41], 0x0
	s_mov_b32 s1, 0
	v_lshrrev_b32_e32 v12, 5, v0
	s_waitcnt lgkmcnt(0)
	s_add_i32 s0, s0, s15
	s_delay_alu instid0(SALU_CYCLE_1) | instskip(NEXT) | instid1(SALU_CYCLE_1)
	s_lshl_b64 s[0:1], s[0:1], 2
	s_add_u32 s0, s42, s0
	s_addc_u32 s1, s43, s1
	s_and_b32 vcc_lo, exec_lo, s13
	s_load_b32 s34, s[0:1], 0x0
	s_cbranch_vccz .LBB182_28
; %bb.9:
	s_waitcnt lgkmcnt(0)
	s_ashr_i32 s35, s34, 31
	s_delay_alu instid0(SALU_CYCLE_1) | instskip(NEXT) | instid1(SALU_CYCLE_1)
	s_lshl_b64 s[0:1], s[34:35], 3
	s_add_u32 s0, s4, s0
	s_addc_u32 s1, s5, s1
	v_sub_co_u32 v1, s4, v12, s24
	s_load_b128 s[0:3], s[0:1], 0x0
	v_sub_co_ci_u32_e64 v2, null, 0, 0, s4
	s_waitcnt lgkmcnt(0)
	s_delay_alu instid0(VALU_DEP_2) | instskip(NEXT) | instid1(VALU_DEP_2)
	v_add_co_u32 v1, vcc_lo, s0, v1
	v_add_co_ci_u32_e32 v2, vcc_lo, s1, v2, vcc_lo
	s_sub_u32 s0, s2, s24
	s_subb_u32 s1, s3, 0
	s_mov_b32 s2, exec_lo
	s_delay_alu instid0(VALU_DEP_1)
	v_cmpx_gt_i64_e64 s[0:1], v[1:2]
	s_cbranch_execz .LBB182_27
; %bb.10:
	v_and_b32_e32 v3, 31, v0
	s_mov_b32 s4, s25
	s_delay_alu instid0(VALU_DEP_1) | instskip(NEXT) | instid1(VALU_DEP_1)
	v_sub_co_u32 v14, s3, v3, s25
	v_sub_co_ci_u32_e64 v15, null, 0, 0, s3
	s_mov_b32 s3, 0
	s_branch .LBB182_12
.LBB182_11:                             ;   in Loop: Header=BB182_12 Depth=1
	s_or_b32 exec_lo, exec_lo, s5
	v_add_co_u32 v1, vcc_lo, v1, 16
	v_add_co_ci_u32_e32 v2, vcc_lo, 0, v2, vcc_lo
	s_delay_alu instid0(VALU_DEP_1) | instskip(SKIP_1) | instid1(SALU_CYCLE_1)
	v_cmp_le_i64_e32 vcc_lo, s[0:1], v[1:2]
	s_or_b32 s3, vcc_lo, s3
	s_and_not1_b32 exec_lo, exec_lo, s3
	s_cbranch_execz .LBB182_27
.LBB182_12:                             ; =>This Loop Header: Depth=1
                                        ;     Child Loop BB182_15 Depth 2
                                        ;       Child Loop BB182_17 Depth 3
	v_lshlrev_b64 v[7:8], 2, v[1:2]
	s_mov_b32 s5, exec_lo
	s_delay_alu instid0(VALU_DEP_1) | instskip(NEXT) | instid1(VALU_DEP_2)
	v_add_co_u32 v3, vcc_lo, s6, v7
	v_add_co_ci_u32_e32 v4, vcc_lo, s7, v8, vcc_lo
	global_load_b32 v3, v[3:4], off
	s_waitcnt vmcnt(0)
	v_subrev_nc_u32_e32 v3, s24, v3
	s_delay_alu instid0(VALU_DEP_1) | instskip(NEXT) | instid1(VALU_DEP_1)
	v_ashrrev_i32_e32 v4, 31, v3
	v_lshlrev_b64 v[3:4], 3, v[3:4]
	s_delay_alu instid0(VALU_DEP_1) | instskip(NEXT) | instid1(VALU_DEP_2)
	v_add_co_u32 v3, vcc_lo, s10, v3
	v_add_co_ci_u32_e32 v4, vcc_lo, s11, v4, vcc_lo
	global_load_b128 v[16:19], v[3:4], off
	s_waitcnt vmcnt(0)
	v_sub_co_u32 v3, vcc_lo, v18, s4
	v_subrev_co_ci_u32_e32 v4, vcc_lo, 0, v19, vcc_lo
	v_add_co_u32 v5, vcc_lo, v16, v14
	v_add_co_ci_u32_e32 v6, vcc_lo, v17, v15, vcc_lo
	s_delay_alu instid0(VALU_DEP_1)
	v_cmpx_lt_i64_e64 v[5:6], v[3:4]
	s_cbranch_execz .LBB182_11
; %bb.13:                               ;   in Loop: Header=BB182_12 Depth=1
	v_add_co_u32 v7, vcc_lo, s8, v7
	v_add_co_ci_u32_e32 v8, vcc_lo, s9, v8, vcc_lo
	s_mov_b32 s13, 0
	global_load_b32 v7, v[7:8], off
	s_waitcnt vmcnt(0)
	v_mul_f32_e32 v7, v13, v7
	s_branch .LBB182_15
.LBB182_14:                             ;   in Loop: Header=BB182_15 Depth=2
	s_or_b32 exec_lo, exec_lo, s14
	v_add_co_u32 v5, vcc_lo, v5, 32
	v_add_co_ci_u32_e32 v6, vcc_lo, 0, v6, vcc_lo
	s_delay_alu instid0(VALU_DEP_1) | instskip(SKIP_1) | instid1(SALU_CYCLE_1)
	v_cmp_ge_i64_e32 vcc_lo, v[5:6], v[3:4]
	s_or_b32 s13, vcc_lo, s13
	s_and_not1_b32 exec_lo, exec_lo, s13
	s_cbranch_execz .LBB182_11
.LBB182_15:                             ;   Parent Loop BB182_12 Depth=1
                                        ; =>  This Loop Header: Depth=2
                                        ;       Child Loop BB182_17 Depth 3
	v_lshlrev_b64 v[16:17], 2, v[5:6]
	s_mov_b32 s14, 0
	s_delay_alu instid0(VALU_DEP_1) | instskip(NEXT) | instid1(VALU_DEP_2)
	v_add_co_u32 v18, vcc_lo, s36, v16
	v_add_co_ci_u32_e32 v19, vcc_lo, s37, v17, vcc_lo
	v_add_co_u32 v16, vcc_lo, s38, v16
	v_add_co_ci_u32_e32 v17, vcc_lo, s39, v17, vcc_lo
	global_load_b32 v8, v[18:19], off
	global_load_b32 v16, v[16:17], off
	s_waitcnt vmcnt(1)
	v_subrev_nc_u32_e32 v8, s25, v8
	s_delay_alu instid0(VALU_DEP_1) | instskip(SKIP_1) | instid1(VALU_DEP_1)
	v_mul_lo_u32 v17, 0x89, v8
	s_waitcnt vmcnt(0)
	v_dual_mul_f32 v16, v7, v16 :: v_dual_and_b32 v17, 0x3ff, v17
	s_branch .LBB182_17
.LBB182_16:                             ;   in Loop: Header=BB182_17 Depth=3
	s_or_b32 exec_lo, exec_lo, s15
	s_xor_b32 s15, s35, -1
	s_delay_alu instid0(SALU_CYCLE_1) | instskip(NEXT) | instid1(SALU_CYCLE_1)
	s_and_b32 s15, exec_lo, s15
	s_or_b32 s14, s15, s14
	s_delay_alu instid0(SALU_CYCLE_1)
	s_and_not1_b32 exec_lo, exec_lo, s14
	s_cbranch_execz .LBB182_14
.LBB182_17:                             ;   Parent Loop BB182_12 Depth=1
                                        ;     Parent Loop BB182_15 Depth=2
                                        ; =>    This Inner Loop Header: Depth=3
	s_delay_alu instid0(VALU_DEP_1)
	v_lshl_add_u32 v18, v17, 2, 0
	s_mov_b32 s15, exec_lo
                                        ; implicit-def: $sgpr35
	ds_load_b32 v19, v18
	s_waitcnt lgkmcnt(0)
	v_cmpx_ne_u32_e64 v19, v8
	s_xor_b32 s15, exec_lo, s15
	s_cbranch_execz .LBB182_25
; %bb.18:                               ;   in Loop: Header=BB182_17 Depth=3
	s_mov_b32 s40, exec_lo
                                        ; implicit-def: $sgpr35
	v_cmpx_ne_u32_e64 s33, v19
	s_xor_b32 s40, exec_lo, s40
; %bb.19:                               ;   in Loop: Header=BB182_17 Depth=3
	v_add_nc_u32_e32 v17, 1, v17
	s_mov_b32 s35, -1
                                        ; implicit-def: $vgpr18
	s_delay_alu instid0(VALU_DEP_1)
	v_and_b32_e32 v17, 0x3ff, v17
; %bb.20:                               ;   in Loop: Header=BB182_17 Depth=3
	s_and_not1_saveexec_b32 s40, s40
	s_cbranch_execz .LBB182_24
; %bb.21:                               ;   in Loop: Header=BB182_17 Depth=3
	v_mov_b32_e32 v19, s33
	s_mov_b32 s41, -1
	s_mov_b32 s42, exec_lo
	ds_cmpstore_rtn_b32 v19, v18, v8, v19
	s_waitcnt lgkmcnt(0)
	v_cmpx_eq_u32_e64 s33, v19
	s_cbranch_execz .LBB182_23
; %bb.22:                               ;   in Loop: Header=BB182_17 Depth=3
	ds_add_f32 v18, v16 offset:4096
	s_xor_b32 s41, exec_lo, -1
.LBB182_23:                             ;   in Loop: Header=BB182_17 Depth=3
	s_or_b32 exec_lo, exec_lo, s42
	s_delay_alu instid0(SALU_CYCLE_1) | instskip(SKIP_1) | instid1(SALU_CYCLE_1)
	s_and_not1_b32 s35, s35, exec_lo
	s_and_b32 s41, s41, exec_lo
	s_or_b32 s35, s35, s41
.LBB182_24:                             ;   in Loop: Header=BB182_17 Depth=3
	s_or_b32 exec_lo, exec_lo, s40
	s_delay_alu instid0(SALU_CYCLE_1)
	s_and_b32 s35, s35, exec_lo
                                        ; implicit-def: $vgpr18
.LBB182_25:                             ;   in Loop: Header=BB182_17 Depth=3
	s_and_not1_saveexec_b32 s15, s15
	s_cbranch_execz .LBB182_16
; %bb.26:                               ;   in Loop: Header=BB182_17 Depth=3
	ds_add_f32 v18, v16 offset:4096
	s_and_not1_b32 s35, s35, exec_lo
	s_branch .LBB182_16
.LBB182_27:
	s_or_b32 exec_lo, exec_lo, s2
.LBB182_28:
	s_delay_alu instid0(SALU_CYCLE_1)
	s_and_not1_b32 vcc_lo, exec_lo, s12
	s_cbranch_vccnz .LBB182_31
; %bb.29:
	s_waitcnt lgkmcnt(0)
	s_ashr_i32 s35, s34, 31
	v_sub_co_u32 v1, s4, v0, s27
	s_lshl_b64 s[0:1], s[34:35], 3
	v_sub_co_ci_u32_e64 v2, null, 0, 0, s4
	s_add_u32 s0, s16, s0
	s_addc_u32 s1, s17, s1
	s_load_b128 s[0:3], s[0:1], 0x0
	s_waitcnt lgkmcnt(0)
	v_add_co_u32 v1, vcc_lo, s0, v1
	v_add_co_ci_u32_e32 v2, vcc_lo, s1, v2, vcc_lo
	s_sub_u32 s0, s2, s27
	s_subb_u32 s1, s3, 0
	s_mov_b32 s3, 0
	s_mov_b32 s2, exec_lo
	v_cmpx_gt_i64_e64 s[0:1], v[1:2]
	s_cbranch_execnz .LBB182_68
.LBB182_30:
	s_or_b32 exec_lo, exec_lo, s2
.LBB182_31:
	v_mbcnt_lo_u32_b32 v1, -1, 0
	v_lshl_add_u32 v4, v12, 2, 0
	v_cmp_eq_u32_e32 vcc_lo, 0x1ff, v0
	v_cmp_lt_u32_e64 s0, 31, v0
	v_cmp_lt_u32_e64 s1, 63, v0
	v_xor_b32_e32 v1, 63, v1
	v_cmp_lt_u32_e64 s2, 0x5f, v0
	v_cmp_lt_u32_e64 s3, 0x7f, v0
	;; [unrolled: 1-line block ×4, first 2 shown]
	v_lshrrev_b64 v[1:2], v1, -1
	v_cmp_lt_u32_e64 s6, 0xdf, v0
	v_cmp_lt_u32_e64 s7, 0xff, v0
	;; [unrolled: 1-line block ×9, first 2 shown]
	v_dual_mov_b32 v5, 0 :: v_dual_mov_b32 v6, 0
	s_mov_b32 s16, 0
	s_waitcnt lgkmcnt(0)
	s_barrier
	buffer_gl0_inv
	s_branch .LBB182_33
.LBB182_32:                             ;   in Loop: Header=BB182_33 Depth=1
	s_or_b32 exec_lo, exec_lo, s15
	s_waitcnt lgkmcnt(0)
	s_barrier
	buffer_gl0_inv
	ds_load_b32 v2, v5 offset:8252
	v_add_co_u32 v10, s15, 0x200, v10
	s_delay_alu instid0(VALU_DEP_1) | instskip(SKIP_2) | instid1(SALU_CYCLE_1)
	s_xor_b32 s15, s15, -1
	v_add_nc_u32_e32 v9, 0x800, v9
	s_and_b32 s15, exec_lo, s15
	s_or_b32 s16, s15, s16
	s_waitcnt lgkmcnt(0)
	v_add_nc_u32_e32 v6, v2, v6
	s_and_not1_b32 exec_lo, exec_lo, s16
	s_cbranch_execz .LBB182_80
.LBB182_33:                             ; =>This Inner Loop Header: Depth=1
	ds_load_2addr_stride64_b32 v[2:3], v9 offset1:16
	s_waitcnt lgkmcnt(0)
	s_barrier
	buffer_gl0_inv
	v_cmp_gt_i32_e64 s15, s33, v2
	s_delay_alu instid0(VALU_DEP_1) | instskip(NEXT) | instid1(SALU_CYCLE_1)
	s_bcnt1_i32_b32 s17, s15
	v_dual_mov_b32 v8, s17 :: v_dual_and_b32 v7, s15, v1
	s_delay_alu instid0(VALU_DEP_1)
	v_bcnt_u32_b32 v7, v7, 0
	ds_store_b32 v4, v8 offset:8192
	s_waitcnt lgkmcnt(0)
	s_barrier
	buffer_gl0_inv
	s_and_saveexec_b32 s17, s0
	s_cbranch_execnz .LBB182_50
; %bb.34:                               ;   in Loop: Header=BB182_33 Depth=1
	s_or_b32 exec_lo, exec_lo, s17
	s_and_saveexec_b32 s17, s1
	s_cbranch_execnz .LBB182_51
.LBB182_35:                             ;   in Loop: Header=BB182_33 Depth=1
	s_or_b32 exec_lo, exec_lo, s17
	s_and_saveexec_b32 s17, s2
	s_cbranch_execnz .LBB182_52
.LBB182_36:                             ;   in Loop: Header=BB182_33 Depth=1
	s_or_b32 exec_lo, exec_lo, s17
	s_and_saveexec_b32 s17, s3
	s_cbranch_execnz .LBB182_53
.LBB182_37:                             ;   in Loop: Header=BB182_33 Depth=1
	s_or_b32 exec_lo, exec_lo, s17
	s_and_saveexec_b32 s17, s4
	s_cbranch_execnz .LBB182_54
.LBB182_38:                             ;   in Loop: Header=BB182_33 Depth=1
	s_or_b32 exec_lo, exec_lo, s17
	s_and_saveexec_b32 s17, s5
	s_cbranch_execnz .LBB182_55
.LBB182_39:                             ;   in Loop: Header=BB182_33 Depth=1
	s_or_b32 exec_lo, exec_lo, s17
	s_and_saveexec_b32 s17, s6
	s_cbranch_execnz .LBB182_56
.LBB182_40:                             ;   in Loop: Header=BB182_33 Depth=1
	s_or_b32 exec_lo, exec_lo, s17
	s_and_saveexec_b32 s17, s7
	s_cbranch_execnz .LBB182_57
.LBB182_41:                             ;   in Loop: Header=BB182_33 Depth=1
	s_or_b32 exec_lo, exec_lo, s17
	s_and_saveexec_b32 s17, s8
	s_cbranch_execnz .LBB182_58
.LBB182_42:                             ;   in Loop: Header=BB182_33 Depth=1
	s_or_b32 exec_lo, exec_lo, s17
	s_and_saveexec_b32 s17, s9
	s_cbranch_execnz .LBB182_59
.LBB182_43:                             ;   in Loop: Header=BB182_33 Depth=1
	s_or_b32 exec_lo, exec_lo, s17
	s_and_saveexec_b32 s17, s10
	s_cbranch_execnz .LBB182_60
.LBB182_44:                             ;   in Loop: Header=BB182_33 Depth=1
	s_or_b32 exec_lo, exec_lo, s17
	s_and_saveexec_b32 s17, s11
	s_cbranch_execnz .LBB182_61
.LBB182_45:                             ;   in Loop: Header=BB182_33 Depth=1
	s_or_b32 exec_lo, exec_lo, s17
	s_and_saveexec_b32 s17, s12
	s_cbranch_execnz .LBB182_62
.LBB182_46:                             ;   in Loop: Header=BB182_33 Depth=1
	s_or_b32 exec_lo, exec_lo, s17
	s_and_saveexec_b32 s17, s13
	s_cbranch_execnz .LBB182_63
.LBB182_47:                             ;   in Loop: Header=BB182_33 Depth=1
	s_or_b32 exec_lo, exec_lo, s17
	s_and_saveexec_b32 s17, s14
	s_cbranch_execnz .LBB182_64
.LBB182_48:                             ;   in Loop: Header=BB182_33 Depth=1
	s_or_b32 exec_lo, exec_lo, s17
	s_and_saveexec_b32 s17, s15
	s_cbranch_execnz .LBB182_65
.LBB182_49:                             ;   in Loop: Header=BB182_33 Depth=1
	s_or_b32 exec_lo, exec_lo, s17
	s_and_saveexec_b32 s15, vcc_lo
	s_cbranch_execz .LBB182_32
	s_branch .LBB182_66
.LBB182_50:                             ;   in Loop: Header=BB182_33 Depth=1
	ds_load_b32 v8, v5 offset:8192
	s_waitcnt lgkmcnt(0)
	v_add_nc_u32_e32 v7, v8, v7
	s_or_b32 exec_lo, exec_lo, s17
	s_and_saveexec_b32 s17, s1
	s_cbranch_execz .LBB182_35
.LBB182_51:                             ;   in Loop: Header=BB182_33 Depth=1
	ds_load_b32 v8, v5 offset:8196
	s_waitcnt lgkmcnt(0)
	v_add_nc_u32_e32 v7, v8, v7
	s_or_b32 exec_lo, exec_lo, s17
	s_and_saveexec_b32 s17, s2
	s_cbranch_execz .LBB182_36
.LBB182_52:                             ;   in Loop: Header=BB182_33 Depth=1
	ds_load_b32 v8, v5 offset:8200
	s_waitcnt lgkmcnt(0)
	v_add_nc_u32_e32 v7, v8, v7
	s_or_b32 exec_lo, exec_lo, s17
	s_and_saveexec_b32 s17, s3
	s_cbranch_execz .LBB182_37
.LBB182_53:                             ;   in Loop: Header=BB182_33 Depth=1
	ds_load_b32 v8, v5 offset:8204
	s_waitcnt lgkmcnt(0)
	v_add_nc_u32_e32 v7, v8, v7
	s_or_b32 exec_lo, exec_lo, s17
	s_and_saveexec_b32 s17, s4
	s_cbranch_execz .LBB182_38
.LBB182_54:                             ;   in Loop: Header=BB182_33 Depth=1
	ds_load_b32 v8, v5 offset:8208
	s_waitcnt lgkmcnt(0)
	v_add_nc_u32_e32 v7, v8, v7
	s_or_b32 exec_lo, exec_lo, s17
	s_and_saveexec_b32 s17, s5
	s_cbranch_execz .LBB182_39
.LBB182_55:                             ;   in Loop: Header=BB182_33 Depth=1
	ds_load_b32 v8, v5 offset:8212
	s_waitcnt lgkmcnt(0)
	v_add_nc_u32_e32 v7, v8, v7
	s_or_b32 exec_lo, exec_lo, s17
	s_and_saveexec_b32 s17, s6
	s_cbranch_execz .LBB182_40
.LBB182_56:                             ;   in Loop: Header=BB182_33 Depth=1
	ds_load_b32 v8, v5 offset:8216
	s_waitcnt lgkmcnt(0)
	v_add_nc_u32_e32 v7, v8, v7
	s_or_b32 exec_lo, exec_lo, s17
	s_and_saveexec_b32 s17, s7
	s_cbranch_execz .LBB182_41
.LBB182_57:                             ;   in Loop: Header=BB182_33 Depth=1
	ds_load_b32 v8, v5 offset:8220
	s_waitcnt lgkmcnt(0)
	v_add_nc_u32_e32 v7, v8, v7
	s_or_b32 exec_lo, exec_lo, s17
	s_and_saveexec_b32 s17, s8
	s_cbranch_execz .LBB182_42
.LBB182_58:                             ;   in Loop: Header=BB182_33 Depth=1
	ds_load_b32 v8, v5 offset:8224
	s_waitcnt lgkmcnt(0)
	v_add_nc_u32_e32 v7, v8, v7
	s_or_b32 exec_lo, exec_lo, s17
	s_and_saveexec_b32 s17, s9
	s_cbranch_execz .LBB182_43
.LBB182_59:                             ;   in Loop: Header=BB182_33 Depth=1
	ds_load_b32 v8, v5 offset:8228
	s_waitcnt lgkmcnt(0)
	v_add_nc_u32_e32 v7, v8, v7
	s_or_b32 exec_lo, exec_lo, s17
	s_and_saveexec_b32 s17, s10
	s_cbranch_execz .LBB182_44
.LBB182_60:                             ;   in Loop: Header=BB182_33 Depth=1
	ds_load_b32 v8, v5 offset:8232
	s_waitcnt lgkmcnt(0)
	v_add_nc_u32_e32 v7, v8, v7
	s_or_b32 exec_lo, exec_lo, s17
	s_and_saveexec_b32 s17, s11
	s_cbranch_execz .LBB182_45
.LBB182_61:                             ;   in Loop: Header=BB182_33 Depth=1
	ds_load_b32 v8, v5 offset:8236
	s_waitcnt lgkmcnt(0)
	v_add_nc_u32_e32 v7, v8, v7
	s_or_b32 exec_lo, exec_lo, s17
	s_and_saveexec_b32 s17, s12
	s_cbranch_execz .LBB182_46
.LBB182_62:                             ;   in Loop: Header=BB182_33 Depth=1
	ds_load_b32 v8, v5 offset:8240
	s_waitcnt lgkmcnt(0)
	v_add_nc_u32_e32 v7, v8, v7
	s_or_b32 exec_lo, exec_lo, s17
	s_and_saveexec_b32 s17, s13
	s_cbranch_execz .LBB182_47
.LBB182_63:                             ;   in Loop: Header=BB182_33 Depth=1
	ds_load_b32 v8, v5 offset:8244
	s_waitcnt lgkmcnt(0)
	v_add_nc_u32_e32 v7, v8, v7
	s_or_b32 exec_lo, exec_lo, s17
	s_and_saveexec_b32 s17, s14
	s_cbranch_execz .LBB182_48
.LBB182_64:                             ;   in Loop: Header=BB182_33 Depth=1
	ds_load_b32 v8, v5 offset:8248
	s_waitcnt lgkmcnt(0)
	v_add_nc_u32_e32 v7, v8, v7
	s_or_b32 exec_lo, exec_lo, s17
	s_and_saveexec_b32 s17, s15
	s_cbranch_execz .LBB182_49
.LBB182_65:                             ;   in Loop: Header=BB182_33 Depth=1
	s_delay_alu instid0(VALU_DEP_1) | instskip(NEXT) | instid1(VALU_DEP_1)
	v_add3_u32 v8, v6, -1, v7
	v_lshl_add_u32 v8, v8, 2, 0
	ds_store_2addr_stride64_b32 v8, v2, v3 offset1:16
	s_or_b32 exec_lo, exec_lo, s17
	s_and_saveexec_b32 s15, vcc_lo
	s_cbranch_execz .LBB182_32
.LBB182_66:                             ;   in Loop: Header=BB182_33 Depth=1
	ds_store_b32 v5, v7 offset:8252
	s_branch .LBB182_32
.LBB182_67:                             ;   in Loop: Header=BB182_68 Depth=1
	s_or_b32 exec_lo, exec_lo, s4
	v_add_co_u32 v1, vcc_lo, 0x200, v1
	v_add_co_ci_u32_e32 v2, vcc_lo, 0, v2, vcc_lo
	s_delay_alu instid0(VALU_DEP_1) | instskip(SKIP_1) | instid1(SALU_CYCLE_1)
	v_cmp_le_i64_e32 vcc_lo, s[0:1], v[1:2]
	s_or_b32 s3, vcc_lo, s3
	s_and_not1_b32 exec_lo, exec_lo, s3
	s_cbranch_execz .LBB182_30
.LBB182_68:                             ; =>This Loop Header: Depth=1
                                        ;     Child Loop BB182_70 Depth 2
	v_lshlrev_b64 v[3:4], 2, v[1:2]
	s_mov_b32 s4, 0
	s_delay_alu instid0(VALU_DEP_1) | instskip(NEXT) | instid1(VALU_DEP_2)
	v_add_co_u32 v5, vcc_lo, s18, v3
	v_add_co_ci_u32_e32 v6, vcc_lo, s19, v4, vcc_lo
	v_add_co_u32 v3, vcc_lo, s20, v3
	v_add_co_ci_u32_e32 v4, vcc_lo, s21, v4, vcc_lo
	global_load_b32 v5, v[5:6], off
	global_load_b32 v4, v[3:4], off
	s_waitcnt vmcnt(1)
	v_subrev_nc_u32_e32 v3, s27, v5
	s_delay_alu instid0(VALU_DEP_1) | instskip(SKIP_1) | instid1(VALU_DEP_1)
	v_mul_lo_u32 v5, 0x89, v3
	s_waitcnt vmcnt(0)
	v_dual_mul_f32 v4, v11, v4 :: v_dual_and_b32 v5, 0x3ff, v5
	s_branch .LBB182_70
.LBB182_69:                             ;   in Loop: Header=BB182_70 Depth=2
	s_or_b32 exec_lo, exec_lo, s5
	s_xor_b32 s5, s6, -1
	s_delay_alu instid0(SALU_CYCLE_1) | instskip(NEXT) | instid1(SALU_CYCLE_1)
	s_and_b32 s5, exec_lo, s5
	s_or_b32 s4, s5, s4
	s_delay_alu instid0(SALU_CYCLE_1)
	s_and_not1_b32 exec_lo, exec_lo, s4
	s_cbranch_execz .LBB182_67
.LBB182_70:                             ;   Parent Loop BB182_68 Depth=1
                                        ; =>  This Inner Loop Header: Depth=2
	s_delay_alu instid0(VALU_DEP_1)
	v_lshl_add_u32 v6, v5, 2, 0
	s_mov_b32 s5, exec_lo
                                        ; implicit-def: $sgpr6
	ds_load_b32 v7, v6
	s_waitcnt lgkmcnt(0)
	v_cmpx_ne_u32_e64 v7, v3
	s_xor_b32 s5, exec_lo, s5
	s_cbranch_execz .LBB182_78
; %bb.71:                               ;   in Loop: Header=BB182_70 Depth=2
	s_mov_b32 s7, exec_lo
                                        ; implicit-def: $sgpr6
	v_cmpx_ne_u32_e64 s33, v7
	s_xor_b32 s7, exec_lo, s7
; %bb.72:                               ;   in Loop: Header=BB182_70 Depth=2
	v_add_nc_u32_e32 v5, 1, v5
	s_mov_b32 s6, -1
                                        ; implicit-def: $vgpr6
	s_delay_alu instid0(VALU_DEP_1)
	v_and_b32_e32 v5, 0x3ff, v5
; %bb.73:                               ;   in Loop: Header=BB182_70 Depth=2
	s_and_not1_saveexec_b32 s7, s7
	s_cbranch_execz .LBB182_77
; %bb.74:                               ;   in Loop: Header=BB182_70 Depth=2
	v_mov_b32_e32 v7, s33
	s_mov_b32 s8, -1
	s_mov_b32 s9, exec_lo
	ds_cmpstore_rtn_b32 v7, v6, v3, v7
	s_waitcnt lgkmcnt(0)
	v_cmpx_eq_u32_e64 s33, v7
	s_cbranch_execz .LBB182_76
; %bb.75:                               ;   in Loop: Header=BB182_70 Depth=2
	ds_add_f32 v6, v4 offset:4096
	s_xor_b32 s8, exec_lo, -1
.LBB182_76:                             ;   in Loop: Header=BB182_70 Depth=2
	s_or_b32 exec_lo, exec_lo, s9
	s_delay_alu instid0(SALU_CYCLE_1) | instskip(SKIP_1) | instid1(SALU_CYCLE_1)
	s_and_not1_b32 s6, s6, exec_lo
	s_and_b32 s8, s8, exec_lo
	s_or_b32 s6, s6, s8
.LBB182_77:                             ;   in Loop: Header=BB182_70 Depth=2
	s_or_b32 exec_lo, exec_lo, s7
	s_delay_alu instid0(SALU_CYCLE_1)
	s_and_b32 s6, s6, exec_lo
                                        ; implicit-def: $vgpr6
.LBB182_78:                             ;   in Loop: Header=BB182_70 Depth=2
	s_and_not1_saveexec_b32 s5, s5
	s_cbranch_execz .LBB182_69
; %bb.79:                               ;   in Loop: Header=BB182_70 Depth=2
	ds_add_f32 v6, v4 offset:4096
	s_and_not1_b32 s6, s6, exec_lo
	s_branch .LBB182_69
.LBB182_80:
	s_or_b32 exec_lo, exec_lo, s16
	s_ashr_i32 s35, s34, 31
	s_mov_b32 s4, exec_lo
	s_lshl_b64 s[0:1], s[34:35], 3
	s_delay_alu instid0(SALU_CYCLE_1) | instskip(SKIP_4) | instid1(SALU_CYCLE_1)
	s_add_u32 s0, s22, s0
	s_addc_u32 s1, s23, s1
	s_load_b128 s[0:3], s[0:1], 0x0
	s_waitcnt lgkmcnt(0)
	s_sub_i32 s3, s2, s0
	v_cmpx_gt_i32_e64 s3, v0
	s_cbranch_execz .LBB182_90
; %bb.81:
	s_sub_u32 s4, s0, s26
	s_subb_u32 s5, s1, 0
	s_sub_i32 s0, s0, s2
	s_and_b32 s1, s3, 7
	s_cmp_lt_u32 s0, -7
	s_mov_b32 s8, 0
	s_cselect_b32 s2, -1, 0
	s_and_b32 s6, s3, -8
	s_cmp_lg_u32 s1, 0
	s_cselect_b32 s7, -1, 0
	s_branch .LBB182_83
.LBB182_82:                             ;   in Loop: Header=BB182_83 Depth=1
	s_delay_alu instid0(VALU_DEP_1) | instskip(SKIP_3) | instid1(VALU_DEP_3)
	v_lshlrev_b64 v[3:4], 2, v[3:4]
	v_add_nc_u32_e32 v0, 0x200, v0
	s_waitcnt lgkmcnt(0)
	v_add_nc_u32_e32 v1, s26, v1
	v_add_co_u32 v5, vcc_lo, s28, v3
	s_delay_alu instid0(VALU_DEP_4) | instskip(SKIP_2) | instid1(VALU_DEP_1)
	v_add_co_ci_u32_e32 v6, vcc_lo, s29, v4, vcc_lo
	v_cmp_le_i32_e32 vcc_lo, s3, v0
	v_add_co_u32 v3, s0, s30, v3
	v_add_co_ci_u32_e64 v4, s0, s31, v4, s0
	s_or_b32 s8, vcc_lo, s8
	global_store_b32 v[5:6], v1, off
	global_store_b32 v[3:4], v2, off
	s_and_not1_b32 exec_lo, exec_lo, s8
	s_cbranch_execz .LBB182_90
.LBB182_83:                             ; =>This Loop Header: Depth=1
                                        ;     Child Loop BB182_85 Depth 2
                                        ;     Child Loop BB182_89 Depth 2
	v_lshl_add_u32 v1, v0, 2, 0
	v_dual_mov_b32 v3, s4 :: v_dual_mov_b32 v4, s5
	s_and_not1_b32 vcc_lo, exec_lo, s2
	s_mov_b32 s0, 0
	ds_load_2addr_stride64_b32 v[1:2], v1 offset1:16
	s_cbranch_vccnz .LBB182_87
; %bb.84:                               ;   in Loop: Header=BB182_83 Depth=1
	v_dual_mov_b32 v3, s4 :: v_dual_mov_b32 v4, s5
	s_mov_b32 s9, 0
	s_mov_b32 s10, 0
.LBB182_85:                             ;   Parent Loop BB182_83 Depth=1
                                        ; =>  This Inner Loop Header: Depth=2
	s_delay_alu instid0(SALU_CYCLE_1)
	v_mov_b32_e32 v11, s10
	s_add_i32 s9, s9, 8
	s_add_i32 s10, s10, 32
	s_cmp_eq_u32 s6, s9
	ds_load_2addr_b32 v[5:6], v11 offset1:1
	ds_load_2addr_b32 v[7:8], v11 offset0:2 offset1:3
	ds_load_2addr_b32 v[9:10], v11 offset0:4 offset1:5
	;; [unrolled: 1-line block ×3, first 2 shown]
	s_waitcnt lgkmcnt(3)
	v_cmp_gt_i32_e32 vcc_lo, v1, v5
	v_cndmask_b32_e64 v5, 0, 1, vcc_lo
	v_cmp_gt_i32_e32 vcc_lo, v1, v6
	v_cndmask_b32_e64 v6, 0, 1, vcc_lo
	s_waitcnt lgkmcnt(2)
	v_cmp_gt_i32_e32 vcc_lo, v1, v7
	v_cndmask_b32_e64 v7, 0, 1, vcc_lo
	v_cmp_gt_i32_e32 vcc_lo, v1, v8
	v_cndmask_b32_e64 v8, 0, 1, vcc_lo
	s_waitcnt lgkmcnt(1)
	v_cmp_gt_i32_e32 vcc_lo, v1, v9
	v_cndmask_b32_e64 v9, 0, 1, vcc_lo
	v_add_co_u32 v3, vcc_lo, v3, v5
	v_add_co_ci_u32_e32 v4, vcc_lo, 0, v4, vcc_lo
	v_cmp_gt_i32_e32 vcc_lo, v1, v10
	s_delay_alu instid0(VALU_DEP_3) | instskip(NEXT) | instid1(VALU_DEP_1)
	v_add_co_u32 v3, s0, v3, v6
	v_add_co_ci_u32_e64 v4, s0, 0, v4, s0
	v_cndmask_b32_e64 v5, 0, 1, vcc_lo
	s_delay_alu instid0(VALU_DEP_3) | instskip(NEXT) | instid1(VALU_DEP_3)
	v_add_co_u32 v3, vcc_lo, v3, v7
	v_add_co_ci_u32_e32 v4, vcc_lo, 0, v4, vcc_lo
	s_waitcnt lgkmcnt(0)
	v_cmp_gt_i32_e32 vcc_lo, v1, v11
	s_delay_alu instid0(VALU_DEP_3) | instskip(NEXT) | instid1(VALU_DEP_1)
	v_add_co_u32 v3, s0, v3, v8
	v_add_co_ci_u32_e64 v4, s0, 0, v4, s0
	v_cndmask_b32_e64 v6, 0, 1, vcc_lo
	s_delay_alu instid0(VALU_DEP_3) | instskip(NEXT) | instid1(VALU_DEP_3)
	v_add_co_u32 v3, vcc_lo, v3, v9
	v_add_co_ci_u32_e32 v4, vcc_lo, 0, v4, vcc_lo
	v_cmp_gt_i32_e32 vcc_lo, v1, v12
	s_delay_alu instid0(VALU_DEP_3) | instskip(NEXT) | instid1(VALU_DEP_1)
	v_add_co_u32 v3, s0, v3, v5
	v_add_co_ci_u32_e64 v4, s0, 0, v4, s0
	v_cndmask_b32_e64 v5, 0, 1, vcc_lo
	s_delay_alu instid0(VALU_DEP_3) | instskip(NEXT) | instid1(VALU_DEP_3)
	v_add_co_u32 v3, vcc_lo, v3, v6
	v_add_co_ci_u32_e32 v4, vcc_lo, 0, v4, vcc_lo
	s_delay_alu instid0(VALU_DEP_2) | instskip(NEXT) | instid1(VALU_DEP_2)
	v_add_co_u32 v3, vcc_lo, v3, v5
	v_add_co_ci_u32_e32 v4, vcc_lo, 0, v4, vcc_lo
	s_cbranch_scc0 .LBB182_85
; %bb.86:                               ;   in Loop: Header=BB182_83 Depth=1
	s_mov_b32 s0, s6
.LBB182_87:                             ;   in Loop: Header=BB182_83 Depth=1
	s_and_not1_b32 vcc_lo, exec_lo, s7
	s_cbranch_vccnz .LBB182_82
; %bb.88:                               ;   in Loop: Header=BB182_83 Depth=1
	s_lshl_b32 s0, s0, 2
	s_mov_b32 s9, s1
	s_add_i32 s0, s0, 0
.LBB182_89:                             ;   Parent Loop BB182_83 Depth=1
                                        ; =>  This Inner Loop Header: Depth=2
	s_delay_alu instid0(SALU_CYCLE_1)
	v_mov_b32_e32 v5, s0
	s_add_i32 s9, s9, -1
	s_add_i32 s0, s0, 4
	s_cmp_lg_u32 s9, 0
	ds_load_b32 v5, v5
	s_waitcnt lgkmcnt(0)
	v_cmp_gt_i32_e32 vcc_lo, v1, v5
	v_cndmask_b32_e64 v5, 0, 1, vcc_lo
	s_delay_alu instid0(VALU_DEP_1)
	v_add_co_u32 v3, vcc_lo, v3, v5
	v_add_co_ci_u32_e32 v4, vcc_lo, 0, v4, vcc_lo
	s_cbranch_scc1 .LBB182_89
	s_branch .LBB182_82
.LBB182_90:
	s_nop 0
	s_sendmsg sendmsg(MSG_DEALLOC_VGPRS)
	s_endpgm
	.section	.rodata,"a",@progbits
	.p2align	6, 0x0
	.amdhsa_kernel _ZN9rocsparseL26csrgemm_fill_block_per_rowILj512ELj32ELj1024ELj137ELj32ElifEEvT5_PKS1_S3_NS_24const_host_device_scalarIT6_EEPKT4_S3_PKS5_S9_S3_SB_S6_S9_S3_SB_S9_PS1_PS5_21rocsparse_index_base_SE_SE_SE_bbb
		.amdhsa_group_segment_fixed_size 0
		.amdhsa_private_segment_fixed_size 0
		.amdhsa_kernarg_size 156
		.amdhsa_user_sgpr_count 15
		.amdhsa_user_sgpr_dispatch_ptr 0
		.amdhsa_user_sgpr_queue_ptr 0
		.amdhsa_user_sgpr_kernarg_segment_ptr 1
		.amdhsa_user_sgpr_dispatch_id 0
		.amdhsa_user_sgpr_private_segment_size 0
		.amdhsa_wavefront_size32 1
		.amdhsa_uses_dynamic_stack 0
		.amdhsa_enable_private_segment 0
		.amdhsa_system_sgpr_workgroup_id_x 1
		.amdhsa_system_sgpr_workgroup_id_y 0
		.amdhsa_system_sgpr_workgroup_id_z 0
		.amdhsa_system_sgpr_workgroup_info 0
		.amdhsa_system_vgpr_workitem_id 0
		.amdhsa_next_free_vgpr 20
		.amdhsa_next_free_sgpr 44
		.amdhsa_reserve_vcc 1
		.amdhsa_float_round_mode_32 0
		.amdhsa_float_round_mode_16_64 0
		.amdhsa_float_denorm_mode_32 3
		.amdhsa_float_denorm_mode_16_64 3
		.amdhsa_dx10_clamp 1
		.amdhsa_ieee_mode 1
		.amdhsa_fp16_overflow 0
		.amdhsa_workgroup_processor_mode 1
		.amdhsa_memory_ordered 1
		.amdhsa_forward_progress 0
		.amdhsa_shared_vgpr_count 0
		.amdhsa_exception_fp_ieee_invalid_op 0
		.amdhsa_exception_fp_denorm_src 0
		.amdhsa_exception_fp_ieee_div_zero 0
		.amdhsa_exception_fp_ieee_overflow 0
		.amdhsa_exception_fp_ieee_underflow 0
		.amdhsa_exception_fp_ieee_inexact 0
		.amdhsa_exception_int_div_zero 0
	.end_amdhsa_kernel
	.section	.text._ZN9rocsparseL26csrgemm_fill_block_per_rowILj512ELj32ELj1024ELj137ELj32ElifEEvT5_PKS1_S3_NS_24const_host_device_scalarIT6_EEPKT4_S3_PKS5_S9_S3_SB_S6_S9_S3_SB_S9_PS1_PS5_21rocsparse_index_base_SE_SE_SE_bbb,"axG",@progbits,_ZN9rocsparseL26csrgemm_fill_block_per_rowILj512ELj32ELj1024ELj137ELj32ElifEEvT5_PKS1_S3_NS_24const_host_device_scalarIT6_EEPKT4_S3_PKS5_S9_S3_SB_S6_S9_S3_SB_S9_PS1_PS5_21rocsparse_index_base_SE_SE_SE_bbb,comdat
.Lfunc_end182:
	.size	_ZN9rocsparseL26csrgemm_fill_block_per_rowILj512ELj32ELj1024ELj137ELj32ElifEEvT5_PKS1_S3_NS_24const_host_device_scalarIT6_EEPKT4_S3_PKS5_S9_S3_SB_S6_S9_S3_SB_S9_PS1_PS5_21rocsparse_index_base_SE_SE_SE_bbb, .Lfunc_end182-_ZN9rocsparseL26csrgemm_fill_block_per_rowILj512ELj32ELj1024ELj137ELj32ElifEEvT5_PKS1_S3_NS_24const_host_device_scalarIT6_EEPKT4_S3_PKS5_S9_S3_SB_S6_S9_S3_SB_S9_PS1_PS5_21rocsparse_index_base_SE_SE_SE_bbb
                                        ; -- End function
	.section	.AMDGPU.csdata,"",@progbits
; Kernel info:
; codeLenInByte = 3288
; NumSgprs: 46
; NumVgprs: 20
; ScratchSize: 0
; MemoryBound: 0
; FloatMode: 240
; IeeeMode: 1
; LDSByteSize: 0 bytes/workgroup (compile time only)
; SGPRBlocks: 5
; VGPRBlocks: 2
; NumSGPRsForWavesPerEU: 46
; NumVGPRsForWavesPerEU: 20
; Occupancy: 16
; WaveLimiterHint : 1
; COMPUTE_PGM_RSRC2:SCRATCH_EN: 0
; COMPUTE_PGM_RSRC2:USER_SGPR: 15
; COMPUTE_PGM_RSRC2:TRAP_HANDLER: 0
; COMPUTE_PGM_RSRC2:TGID_X_EN: 1
; COMPUTE_PGM_RSRC2:TGID_Y_EN: 0
; COMPUTE_PGM_RSRC2:TGID_Z_EN: 0
; COMPUTE_PGM_RSRC2:TIDIG_COMP_CNT: 0
	.section	.text._ZN9rocsparseL26csrgemm_fill_block_per_rowILj512ELj32ELj1024ELj137ELj64ElifEEvT5_PKS1_S3_NS_24const_host_device_scalarIT6_EEPKT4_S3_PKS5_S9_S3_SB_S6_S9_S3_SB_S9_PS1_PS5_21rocsparse_index_base_SE_SE_SE_bbb,"axG",@progbits,_ZN9rocsparseL26csrgemm_fill_block_per_rowILj512ELj32ELj1024ELj137ELj64ElifEEvT5_PKS1_S3_NS_24const_host_device_scalarIT6_EEPKT4_S3_PKS5_S9_S3_SB_S6_S9_S3_SB_S9_PS1_PS5_21rocsparse_index_base_SE_SE_SE_bbb,comdat
	.globl	_ZN9rocsparseL26csrgemm_fill_block_per_rowILj512ELj32ELj1024ELj137ELj64ElifEEvT5_PKS1_S3_NS_24const_host_device_scalarIT6_EEPKT4_S3_PKS5_S9_S3_SB_S6_S9_S3_SB_S9_PS1_PS5_21rocsparse_index_base_SE_SE_SE_bbb ; -- Begin function _ZN9rocsparseL26csrgemm_fill_block_per_rowILj512ELj32ELj1024ELj137ELj64ElifEEvT5_PKS1_S3_NS_24const_host_device_scalarIT6_EEPKT4_S3_PKS5_S9_S3_SB_S6_S9_S3_SB_S9_PS1_PS5_21rocsparse_index_base_SE_SE_SE_bbb
	.p2align	8
	.type	_ZN9rocsparseL26csrgemm_fill_block_per_rowILj512ELj32ELj1024ELj137ELj64ElifEEvT5_PKS1_S3_NS_24const_host_device_scalarIT6_EEPKT4_S3_PKS5_S9_S3_SB_S6_S9_S3_SB_S9_PS1_PS5_21rocsparse_index_base_SE_SE_SE_bbb,@function
_ZN9rocsparseL26csrgemm_fill_block_per_rowILj512ELj32ELj1024ELj137ELj64ElifEEvT5_PKS1_S3_NS_24const_host_device_scalarIT6_EEPKT4_S3_PKS5_S9_S3_SB_S6_S9_S3_SB_S9_PS1_PS5_21rocsparse_index_base_SE_SE_SE_bbb: ; @_ZN9rocsparseL26csrgemm_fill_block_per_rowILj512ELj32ELj1024ELj137ELj64ElifEEvT5_PKS1_S3_NS_24const_host_device_scalarIT6_EEPKT4_S3_PKS5_S9_S3_SB_S6_S9_S3_SB_S9_PS1_PS5_21rocsparse_index_base_SE_SE_SE_bbb
; %bb.0:
	s_clause 0x3
	s_load_b32 s12, s[0:1], 0x98
	s_load_b128 s[24:27], s[0:1], 0x88
	s_load_b64 s[4:5], s[0:1], 0x18
	s_load_b64 s[2:3], s[0:1], 0x50
	s_waitcnt lgkmcnt(0)
	s_bitcmp1_b32 s12, 0
	s_cselect_b32 s13, -1, 0
	s_bitcmp1_b32 s12, 16
	s_cselect_b32 s14, -1, 0
	s_xor_b32 s6, s13, -1
	s_delay_alu instid0(SALU_CYCLE_1) | instskip(NEXT) | instid1(SALU_CYCLE_1)
	s_or_b32 s6, s6, s14
	s_and_b32 vcc_lo, exec_lo, s6
	s_cbranch_vccnz .LBB183_2
; %bb.1:
	s_load_b32 s4, s[4:5], 0x0
	s_waitcnt lgkmcnt(0)
	v_mov_b32_e32 v12, s4
	s_branch .LBB183_3
.LBB183_2:
	v_cndmask_b32_e64 v12, 0, s4, s13
.LBB183_3:
	s_clause 0x4
	s_load_b128 s[28:31], s[0:1], 0x78
	s_load_b256 s[4:11], s[0:1], 0x58
	s_load_b128 s[36:39], s[0:1], 0x40
	s_load_b128 s[40:43], s[0:1], 0x8
	s_load_b256 s[16:23], s[0:1], 0x20
	s_bitcmp1_b32 s12, 8
	s_cselect_b32 s33, -1, 0
	s_delay_alu instid0(SALU_CYCLE_1) | instskip(NEXT) | instid1(SALU_CYCLE_1)
	s_xor_b32 s12, s33, -1
	s_or_b32 s12, s12, s14
	s_delay_alu instid0(SALU_CYCLE_1)
	s_and_b32 vcc_lo, exec_lo, s12
	s_cbranch_vccnz .LBB183_5
; %bb.4:
	s_load_b32 s2, s[2:3], 0x0
	s_waitcnt lgkmcnt(0)
	v_mov_b32_e32 v11, s2
	s_branch .LBB183_6
.LBB183_5:
	v_cndmask_b32_e64 v11, 0, s2, s33
.LBB183_6:
	s_load_b32 s14, s[0:1], 0x0
	v_lshl_add_u32 v9, v0, 2, 0
	v_or_b32_e32 v10, 0xfffffe00, v0
	v_mov_b32_e32 v1, 0
	s_mov_b32 s0, 0
	s_delay_alu instid0(VALU_DEP_3)
	v_mov_b32_e32 v2, v9
	s_waitcnt lgkmcnt(0)
	v_dual_mov_b32 v4, v10 :: v_dual_mov_b32 v3, s14
.LBB183_7:                              ; =>This Inner Loop Header: Depth=1
	s_delay_alu instid0(VALU_DEP_1) | instskip(NEXT) | instid1(VALU_DEP_1)
	v_add_co_u32 v4, s1, 0x200, v4
	s_xor_b32 s1, s1, -1
	ds_store_2addr_stride64_b32 v2, v3, v1 offset1:16
	v_add_nc_u32_e32 v2, 0x800, v2
	s_and_b32 s1, exec_lo, s1
	s_delay_alu instid0(SALU_CYCLE_1) | instskip(NEXT) | instid1(SALU_CYCLE_1)
	s_or_b32 s0, s1, s0
	s_and_not1_b32 exec_lo, exec_lo, s0
	s_cbranch_execnz .LBB183_7
; %bb.8:
	s_or_b32 exec_lo, exec_lo, s0
	s_waitcnt lgkmcnt(0)
	s_barrier
	buffer_gl0_inv
	s_load_b32 s0, s[40:41], 0x0
	s_mov_b32 s1, 0
	s_waitcnt lgkmcnt(0)
	s_add_i32 s0, s0, s15
	s_delay_alu instid0(SALU_CYCLE_1) | instskip(NEXT) | instid1(SALU_CYCLE_1)
	s_lshl_b64 s[0:1], s[0:1], 2
	s_add_u32 s0, s42, s0
	s_addc_u32 s1, s43, s1
	s_and_b32 vcc_lo, exec_lo, s13
	s_load_b32 s12, s[0:1], 0x0
	s_cbranch_vccz .LBB183_28
; %bb.9:
	s_waitcnt lgkmcnt(0)
	s_ashr_i32 s13, s12, 31
	v_lshrrev_b32_e32 v1, 5, v0
	s_lshl_b64 s[0:1], s[12:13], 3
	s_delay_alu instid0(SALU_CYCLE_1) | instskip(SKIP_1) | instid1(VALU_DEP_1)
	s_add_u32 s0, s16, s0
	s_addc_u32 s1, s17, s1
	v_sub_co_u32 v1, s13, v1, s24
	s_load_b128 s[0:3], s[0:1], 0x0
	v_sub_co_ci_u32_e64 v2, null, 0, 0, s13
	s_waitcnt lgkmcnt(0)
	s_delay_alu instid0(VALU_DEP_2) | instskip(NEXT) | instid1(VALU_DEP_2)
	v_add_co_u32 v1, vcc_lo, s0, v1
	v_add_co_ci_u32_e32 v2, vcc_lo, s1, v2, vcc_lo
	s_sub_u32 s0, s2, s24
	s_subb_u32 s1, s3, 0
	s_mov_b32 s2, exec_lo
	s_delay_alu instid0(VALU_DEP_1)
	v_cmpx_gt_i64_e64 s[0:1], v[1:2]
	s_cbranch_execz .LBB183_27
; %bb.10:
	v_and_b32_e32 v3, 31, v0
	s_mov_b32 s13, s25
	s_delay_alu instid0(VALU_DEP_1) | instskip(NEXT) | instid1(VALU_DEP_1)
	v_sub_co_u32 v13, s3, v3, s25
	v_sub_co_ci_u32_e64 v14, null, 0, 0, s3
	s_mov_b32 s3, 0
	s_branch .LBB183_12
.LBB183_11:                             ;   in Loop: Header=BB183_12 Depth=1
	s_or_b32 exec_lo, exec_lo, s15
	v_add_co_u32 v1, vcc_lo, v1, 16
	v_add_co_ci_u32_e32 v2, vcc_lo, 0, v2, vcc_lo
	s_delay_alu instid0(VALU_DEP_1) | instskip(SKIP_1) | instid1(SALU_CYCLE_1)
	v_cmp_le_i64_e32 vcc_lo, s[0:1], v[1:2]
	s_or_b32 s3, vcc_lo, s3
	s_and_not1_b32 exec_lo, exec_lo, s3
	s_cbranch_execz .LBB183_27
.LBB183_12:                             ; =>This Loop Header: Depth=1
                                        ;     Child Loop BB183_15 Depth 2
                                        ;       Child Loop BB183_17 Depth 3
	v_lshlrev_b64 v[7:8], 2, v[1:2]
	s_mov_b32 s15, exec_lo
	s_delay_alu instid0(VALU_DEP_1) | instskip(NEXT) | instid1(VALU_DEP_2)
	v_add_co_u32 v3, vcc_lo, s18, v7
	v_add_co_ci_u32_e32 v4, vcc_lo, s19, v8, vcc_lo
	global_load_b32 v3, v[3:4], off
	s_waitcnt vmcnt(0)
	v_subrev_nc_u32_e32 v3, s24, v3
	s_delay_alu instid0(VALU_DEP_1) | instskip(NEXT) | instid1(VALU_DEP_1)
	v_ashrrev_i32_e32 v4, 31, v3
	v_lshlrev_b64 v[3:4], 3, v[3:4]
	s_delay_alu instid0(VALU_DEP_1) | instskip(NEXT) | instid1(VALU_DEP_2)
	v_add_co_u32 v3, vcc_lo, s22, v3
	v_add_co_ci_u32_e32 v4, vcc_lo, s23, v4, vcc_lo
	global_load_b128 v[15:18], v[3:4], off
	s_waitcnt vmcnt(0)
	v_sub_co_u32 v3, vcc_lo, v17, s13
	v_subrev_co_ci_u32_e32 v4, vcc_lo, 0, v18, vcc_lo
	v_add_co_u32 v5, vcc_lo, v15, v13
	v_add_co_ci_u32_e32 v6, vcc_lo, v16, v14, vcc_lo
	s_delay_alu instid0(VALU_DEP_1)
	v_cmpx_lt_i64_e64 v[5:6], v[3:4]
	s_cbranch_execz .LBB183_11
; %bb.13:                               ;   in Loop: Header=BB183_12 Depth=1
	v_add_co_u32 v7, vcc_lo, s20, v7
	v_add_co_ci_u32_e32 v8, vcc_lo, s21, v8, vcc_lo
	s_mov_b32 s16, 0
	global_load_b32 v7, v[7:8], off
	s_waitcnt vmcnt(0)
	v_mul_f32_e32 v7, v12, v7
	s_branch .LBB183_15
.LBB183_14:                             ;   in Loop: Header=BB183_15 Depth=2
	s_or_b32 exec_lo, exec_lo, s17
	v_add_co_u32 v5, vcc_lo, v5, 32
	v_add_co_ci_u32_e32 v6, vcc_lo, 0, v6, vcc_lo
	s_delay_alu instid0(VALU_DEP_1) | instskip(SKIP_1) | instid1(SALU_CYCLE_1)
	v_cmp_ge_i64_e32 vcc_lo, v[5:6], v[3:4]
	s_or_b32 s16, vcc_lo, s16
	s_and_not1_b32 exec_lo, exec_lo, s16
	s_cbranch_execz .LBB183_11
.LBB183_15:                             ;   Parent Loop BB183_12 Depth=1
                                        ; =>  This Loop Header: Depth=2
                                        ;       Child Loop BB183_17 Depth 3
	v_lshlrev_b64 v[15:16], 2, v[5:6]
	s_mov_b32 s17, 0
	s_delay_alu instid0(VALU_DEP_1) | instskip(NEXT) | instid1(VALU_DEP_2)
	v_add_co_u32 v17, vcc_lo, s36, v15
	v_add_co_ci_u32_e32 v18, vcc_lo, s37, v16, vcc_lo
	v_add_co_u32 v15, vcc_lo, s38, v15
	v_add_co_ci_u32_e32 v16, vcc_lo, s39, v16, vcc_lo
	global_load_b32 v8, v[17:18], off
	global_load_b32 v15, v[15:16], off
	s_waitcnt vmcnt(1)
	v_subrev_nc_u32_e32 v8, s25, v8
	s_delay_alu instid0(VALU_DEP_1) | instskip(SKIP_1) | instid1(VALU_DEP_1)
	v_mul_lo_u32 v16, 0x89, v8
	s_waitcnt vmcnt(0)
	v_dual_mul_f32 v15, v7, v15 :: v_dual_and_b32 v16, 0x3ff, v16
	s_branch .LBB183_17
.LBB183_16:                             ;   in Loop: Header=BB183_17 Depth=3
	s_or_b32 exec_lo, exec_lo, s34
	s_xor_b32 s34, s35, -1
	s_delay_alu instid0(SALU_CYCLE_1) | instskip(NEXT) | instid1(SALU_CYCLE_1)
	s_and_b32 s34, exec_lo, s34
	s_or_b32 s17, s34, s17
	s_delay_alu instid0(SALU_CYCLE_1)
	s_and_not1_b32 exec_lo, exec_lo, s17
	s_cbranch_execz .LBB183_14
.LBB183_17:                             ;   Parent Loop BB183_12 Depth=1
                                        ;     Parent Loop BB183_15 Depth=2
                                        ; =>    This Inner Loop Header: Depth=3
	s_delay_alu instid0(VALU_DEP_1)
	v_lshl_add_u32 v17, v16, 2, 0
	s_mov_b32 s34, exec_lo
                                        ; implicit-def: $sgpr35
	ds_load_b32 v18, v17
	s_waitcnt lgkmcnt(0)
	v_cmpx_ne_u32_e64 v18, v8
	s_xor_b32 s34, exec_lo, s34
	s_cbranch_execz .LBB183_25
; %bb.18:                               ;   in Loop: Header=BB183_17 Depth=3
	s_mov_b32 s40, exec_lo
                                        ; implicit-def: $sgpr35
	v_cmpx_ne_u32_e64 s14, v18
	s_xor_b32 s40, exec_lo, s40
; %bb.19:                               ;   in Loop: Header=BB183_17 Depth=3
	v_add_nc_u32_e32 v16, 1, v16
	s_mov_b32 s35, -1
                                        ; implicit-def: $vgpr17
	s_delay_alu instid0(VALU_DEP_1)
	v_and_b32_e32 v16, 0x3ff, v16
; %bb.20:                               ;   in Loop: Header=BB183_17 Depth=3
	s_and_not1_saveexec_b32 s40, s40
	s_cbranch_execz .LBB183_24
; %bb.21:                               ;   in Loop: Header=BB183_17 Depth=3
	v_mov_b32_e32 v18, s14
	s_mov_b32 s41, -1
	s_mov_b32 s42, exec_lo
	ds_cmpstore_rtn_b32 v18, v17, v8, v18
	s_waitcnt lgkmcnt(0)
	v_cmpx_eq_u32_e64 s14, v18
	s_cbranch_execz .LBB183_23
; %bb.22:                               ;   in Loop: Header=BB183_17 Depth=3
	ds_add_f32 v17, v15 offset:4096
	s_xor_b32 s41, exec_lo, -1
.LBB183_23:                             ;   in Loop: Header=BB183_17 Depth=3
	s_or_b32 exec_lo, exec_lo, s42
	s_delay_alu instid0(SALU_CYCLE_1) | instskip(SKIP_1) | instid1(SALU_CYCLE_1)
	s_and_not1_b32 s35, s35, exec_lo
	s_and_b32 s41, s41, exec_lo
	s_or_b32 s35, s35, s41
.LBB183_24:                             ;   in Loop: Header=BB183_17 Depth=3
	s_or_b32 exec_lo, exec_lo, s40
	s_delay_alu instid0(SALU_CYCLE_1)
	s_and_b32 s35, s35, exec_lo
                                        ; implicit-def: $vgpr17
.LBB183_25:                             ;   in Loop: Header=BB183_17 Depth=3
	s_and_not1_saveexec_b32 s34, s34
	s_cbranch_execz .LBB183_16
; %bb.26:                               ;   in Loop: Header=BB183_17 Depth=3
	ds_add_f32 v17, v15 offset:4096
	s_and_not1_b32 s35, s35, exec_lo
	s_branch .LBB183_16
.LBB183_27:
	s_or_b32 exec_lo, exec_lo, s2
.LBB183_28:
	s_delay_alu instid0(SALU_CYCLE_1)
	s_and_not1_b32 vcc_lo, exec_lo, s33
	s_cbranch_vccnz .LBB183_31
; %bb.29:
	s_waitcnt lgkmcnt(0)
	s_ashr_i32 s13, s12, 31
	s_delay_alu instid0(SALU_CYCLE_1) | instskip(NEXT) | instid1(SALU_CYCLE_1)
	s_lshl_b64 s[0:1], s[12:13], 3
	s_add_u32 s0, s4, s0
	s_addc_u32 s1, s5, s1
	v_sub_co_u32 v1, s4, v0, s27
	s_load_b128 s[0:3], s[0:1], 0x0
	v_sub_co_ci_u32_e64 v2, null, 0, 0, s4
	s_waitcnt lgkmcnt(0)
	s_delay_alu instid0(VALU_DEP_2) | instskip(NEXT) | instid1(VALU_DEP_2)
	v_add_co_u32 v1, vcc_lo, s0, v1
	v_add_co_ci_u32_e32 v2, vcc_lo, s1, v2, vcc_lo
	s_sub_u32 s0, s2, s27
	s_subb_u32 s1, s3, 0
	s_mov_b32 s3, 0
	s_mov_b32 s2, exec_lo
	v_cmpx_gt_i64_e64 s[0:1], v[1:2]
	s_cbranch_execnz .LBB183_52
.LBB183_30:
	s_or_b32 exec_lo, exec_lo, s2
.LBB183_31:
	v_mbcnt_lo_u32_b32 v1, -1, 0
	v_lshrrev_b32_e32 v2, 4, v0
	v_cmp_eq_u32_e32 vcc_lo, 0x1ff, v0
	v_cmp_lt_u32_e64 s0, 63, v0
	v_cmp_lt_u32_e64 s1, 0x7f, v0
	v_xor_b32_e32 v1, 63, v1
	v_dual_mov_b32 v6, 0 :: v_dual_and_b32 v3, 28, v2
	v_cmp_lt_u32_e64 s2, 0xbf, v0
	v_cmp_lt_u32_e64 s3, 0xff, v0
	s_delay_alu instid0(VALU_DEP_4) | instskip(NEXT) | instid1(VALU_DEP_4)
	v_lshrrev_b64 v[1:2], v1, -1
	v_dual_mov_b32 v5, 0 :: v_dual_add_nc_u32 v4, 0, v3
	v_cmp_lt_u32_e64 s4, 0x13f, v0
	v_cmp_lt_u32_e64 s5, 0x17f, v0
	;; [unrolled: 1-line block ×3, first 2 shown]
	s_mov_b32 s8, 0
	s_waitcnt lgkmcnt(0)
	s_barrier
	buffer_gl0_inv
	s_branch .LBB183_33
.LBB183_32:                             ;   in Loop: Header=BB183_33 Depth=1
	s_or_b32 exec_lo, exec_lo, s7
	s_waitcnt lgkmcnt(0)
	s_barrier
	buffer_gl0_inv
	ds_load_b32 v2, v5 offset:8220
	v_add_co_u32 v10, s7, 0x200, v10
	s_delay_alu instid0(VALU_DEP_1) | instskip(SKIP_2) | instid1(SALU_CYCLE_1)
	s_xor_b32 s7, s7, -1
	v_add_nc_u32_e32 v9, 0x800, v9
	s_and_b32 s7, exec_lo, s7
	s_or_b32 s8, s7, s8
	s_waitcnt lgkmcnt(0)
	v_add_nc_u32_e32 v6, v2, v6
	s_and_not1_b32 exec_lo, exec_lo, s8
	s_cbranch_execz .LBB183_64
.LBB183_33:                             ; =>This Inner Loop Header: Depth=1
	ds_load_2addr_stride64_b32 v[2:3], v9 offset1:16
	s_waitcnt lgkmcnt(0)
	s_barrier
	buffer_gl0_inv
	v_cmp_gt_i32_e64 s7, s14, v2
	s_delay_alu instid0(VALU_DEP_1) | instskip(NEXT) | instid1(SALU_CYCLE_1)
	s_bcnt1_i32_b32 s9, s7
	v_dual_mov_b32 v8, s9 :: v_dual_and_b32 v7, s7, v1
	s_delay_alu instid0(VALU_DEP_1)
	v_bcnt_u32_b32 v7, v7, 0
	ds_store_b32 v4, v8 offset:8192
	s_waitcnt lgkmcnt(0)
	s_barrier
	buffer_gl0_inv
	s_and_saveexec_b32 s9, s0
	s_cbranch_execnz .LBB183_42
; %bb.34:                               ;   in Loop: Header=BB183_33 Depth=1
	s_or_b32 exec_lo, exec_lo, s9
	s_and_saveexec_b32 s9, s1
	s_cbranch_execnz .LBB183_43
.LBB183_35:                             ;   in Loop: Header=BB183_33 Depth=1
	s_or_b32 exec_lo, exec_lo, s9
	s_and_saveexec_b32 s9, s2
	s_cbranch_execnz .LBB183_44
.LBB183_36:                             ;   in Loop: Header=BB183_33 Depth=1
	s_or_b32 exec_lo, exec_lo, s9
	s_and_saveexec_b32 s9, s3
	s_cbranch_execnz .LBB183_45
.LBB183_37:                             ;   in Loop: Header=BB183_33 Depth=1
	s_or_b32 exec_lo, exec_lo, s9
	s_and_saveexec_b32 s9, s4
	s_cbranch_execnz .LBB183_46
.LBB183_38:                             ;   in Loop: Header=BB183_33 Depth=1
	s_or_b32 exec_lo, exec_lo, s9
	s_and_saveexec_b32 s9, s5
	s_cbranch_execnz .LBB183_47
.LBB183_39:                             ;   in Loop: Header=BB183_33 Depth=1
	s_or_b32 exec_lo, exec_lo, s9
	s_and_saveexec_b32 s9, s6
	s_cbranch_execnz .LBB183_48
.LBB183_40:                             ;   in Loop: Header=BB183_33 Depth=1
	s_or_b32 exec_lo, exec_lo, s9
	s_and_saveexec_b32 s9, s7
	s_cbranch_execnz .LBB183_49
.LBB183_41:                             ;   in Loop: Header=BB183_33 Depth=1
	s_or_b32 exec_lo, exec_lo, s9
	s_and_saveexec_b32 s7, vcc_lo
	s_cbranch_execz .LBB183_32
	s_branch .LBB183_50
.LBB183_42:                             ;   in Loop: Header=BB183_33 Depth=1
	ds_load_b32 v8, v5 offset:8192
	s_waitcnt lgkmcnt(0)
	v_add_nc_u32_e32 v7, v8, v7
	s_or_b32 exec_lo, exec_lo, s9
	s_and_saveexec_b32 s9, s1
	s_cbranch_execz .LBB183_35
.LBB183_43:                             ;   in Loop: Header=BB183_33 Depth=1
	ds_load_b32 v8, v5 offset:8196
	s_waitcnt lgkmcnt(0)
	v_add_nc_u32_e32 v7, v8, v7
	s_or_b32 exec_lo, exec_lo, s9
	s_and_saveexec_b32 s9, s2
	s_cbranch_execz .LBB183_36
.LBB183_44:                             ;   in Loop: Header=BB183_33 Depth=1
	ds_load_b32 v8, v5 offset:8200
	s_waitcnt lgkmcnt(0)
	v_add_nc_u32_e32 v7, v8, v7
	s_or_b32 exec_lo, exec_lo, s9
	s_and_saveexec_b32 s9, s3
	s_cbranch_execz .LBB183_37
.LBB183_45:                             ;   in Loop: Header=BB183_33 Depth=1
	ds_load_b32 v8, v5 offset:8204
	s_waitcnt lgkmcnt(0)
	v_add_nc_u32_e32 v7, v8, v7
	s_or_b32 exec_lo, exec_lo, s9
	s_and_saveexec_b32 s9, s4
	s_cbranch_execz .LBB183_38
.LBB183_46:                             ;   in Loop: Header=BB183_33 Depth=1
	ds_load_b32 v8, v5 offset:8208
	s_waitcnt lgkmcnt(0)
	v_add_nc_u32_e32 v7, v8, v7
	s_or_b32 exec_lo, exec_lo, s9
	s_and_saveexec_b32 s9, s5
	s_cbranch_execz .LBB183_39
.LBB183_47:                             ;   in Loop: Header=BB183_33 Depth=1
	ds_load_b32 v8, v5 offset:8212
	s_waitcnt lgkmcnt(0)
	v_add_nc_u32_e32 v7, v8, v7
	s_or_b32 exec_lo, exec_lo, s9
	s_and_saveexec_b32 s9, s6
	s_cbranch_execz .LBB183_40
.LBB183_48:                             ;   in Loop: Header=BB183_33 Depth=1
	ds_load_b32 v8, v5 offset:8216
	s_waitcnt lgkmcnt(0)
	v_add_nc_u32_e32 v7, v8, v7
	s_or_b32 exec_lo, exec_lo, s9
	s_and_saveexec_b32 s9, s7
	s_cbranch_execz .LBB183_41
.LBB183_49:                             ;   in Loop: Header=BB183_33 Depth=1
	s_delay_alu instid0(VALU_DEP_1) | instskip(NEXT) | instid1(VALU_DEP_1)
	v_add3_u32 v8, v6, -1, v7
	v_lshl_add_u32 v8, v8, 2, 0
	ds_store_2addr_stride64_b32 v8, v2, v3 offset1:16
	s_or_b32 exec_lo, exec_lo, s9
	s_and_saveexec_b32 s7, vcc_lo
	s_cbranch_execz .LBB183_32
.LBB183_50:                             ;   in Loop: Header=BB183_33 Depth=1
	ds_store_b32 v5, v7 offset:8220
	s_branch .LBB183_32
.LBB183_51:                             ;   in Loop: Header=BB183_52 Depth=1
	s_or_b32 exec_lo, exec_lo, s4
	v_add_co_u32 v1, vcc_lo, 0x200, v1
	v_add_co_ci_u32_e32 v2, vcc_lo, 0, v2, vcc_lo
	s_delay_alu instid0(VALU_DEP_1) | instskip(SKIP_1) | instid1(SALU_CYCLE_1)
	v_cmp_le_i64_e32 vcc_lo, s[0:1], v[1:2]
	s_or_b32 s3, vcc_lo, s3
	s_and_not1_b32 exec_lo, exec_lo, s3
	s_cbranch_execz .LBB183_30
.LBB183_52:                             ; =>This Loop Header: Depth=1
                                        ;     Child Loop BB183_54 Depth 2
	v_lshlrev_b64 v[3:4], 2, v[1:2]
	s_mov_b32 s4, 0
	s_delay_alu instid0(VALU_DEP_1) | instskip(NEXT) | instid1(VALU_DEP_2)
	v_add_co_u32 v5, vcc_lo, s6, v3
	v_add_co_ci_u32_e32 v6, vcc_lo, s7, v4, vcc_lo
	v_add_co_u32 v3, vcc_lo, s8, v3
	v_add_co_ci_u32_e32 v4, vcc_lo, s9, v4, vcc_lo
	global_load_b32 v5, v[5:6], off
	global_load_b32 v4, v[3:4], off
	s_waitcnt vmcnt(1)
	v_subrev_nc_u32_e32 v3, s27, v5
	s_delay_alu instid0(VALU_DEP_1) | instskip(SKIP_1) | instid1(VALU_DEP_1)
	v_mul_lo_u32 v5, 0x89, v3
	s_waitcnt vmcnt(0)
	v_dual_mul_f32 v4, v11, v4 :: v_dual_and_b32 v5, 0x3ff, v5
	s_branch .LBB183_54
.LBB183_53:                             ;   in Loop: Header=BB183_54 Depth=2
	s_or_b32 exec_lo, exec_lo, s5
	s_xor_b32 s5, s13, -1
	s_delay_alu instid0(SALU_CYCLE_1) | instskip(NEXT) | instid1(SALU_CYCLE_1)
	s_and_b32 s5, exec_lo, s5
	s_or_b32 s4, s5, s4
	s_delay_alu instid0(SALU_CYCLE_1)
	s_and_not1_b32 exec_lo, exec_lo, s4
	s_cbranch_execz .LBB183_51
.LBB183_54:                             ;   Parent Loop BB183_52 Depth=1
                                        ; =>  This Inner Loop Header: Depth=2
	s_delay_alu instid0(VALU_DEP_1)
	v_lshl_add_u32 v6, v5, 2, 0
	s_mov_b32 s5, exec_lo
                                        ; implicit-def: $sgpr13
	ds_load_b32 v7, v6
	s_waitcnt lgkmcnt(0)
	v_cmpx_ne_u32_e64 v7, v3
	s_xor_b32 s5, exec_lo, s5
	s_cbranch_execz .LBB183_62
; %bb.55:                               ;   in Loop: Header=BB183_54 Depth=2
	s_mov_b32 s15, exec_lo
                                        ; implicit-def: $sgpr13
	v_cmpx_ne_u32_e64 s14, v7
	s_xor_b32 s15, exec_lo, s15
; %bb.56:                               ;   in Loop: Header=BB183_54 Depth=2
	v_add_nc_u32_e32 v5, 1, v5
	s_mov_b32 s13, -1
                                        ; implicit-def: $vgpr6
	s_delay_alu instid0(VALU_DEP_1)
	v_and_b32_e32 v5, 0x3ff, v5
; %bb.57:                               ;   in Loop: Header=BB183_54 Depth=2
	s_and_not1_saveexec_b32 s15, s15
	s_cbranch_execz .LBB183_61
; %bb.58:                               ;   in Loop: Header=BB183_54 Depth=2
	v_mov_b32_e32 v7, s14
	s_mov_b32 s16, -1
	s_mov_b32 s17, exec_lo
	ds_cmpstore_rtn_b32 v7, v6, v3, v7
	s_waitcnt lgkmcnt(0)
	v_cmpx_eq_u32_e64 s14, v7
	s_cbranch_execz .LBB183_60
; %bb.59:                               ;   in Loop: Header=BB183_54 Depth=2
	ds_add_f32 v6, v4 offset:4096
	s_xor_b32 s16, exec_lo, -1
.LBB183_60:                             ;   in Loop: Header=BB183_54 Depth=2
	s_or_b32 exec_lo, exec_lo, s17
	s_delay_alu instid0(SALU_CYCLE_1) | instskip(SKIP_1) | instid1(SALU_CYCLE_1)
	s_and_not1_b32 s13, s13, exec_lo
	s_and_b32 s16, s16, exec_lo
	s_or_b32 s13, s13, s16
.LBB183_61:                             ;   in Loop: Header=BB183_54 Depth=2
	s_or_b32 exec_lo, exec_lo, s15
	s_delay_alu instid0(SALU_CYCLE_1)
	s_and_b32 s13, s13, exec_lo
                                        ; implicit-def: $vgpr6
.LBB183_62:                             ;   in Loop: Header=BB183_54 Depth=2
	s_and_not1_saveexec_b32 s5, s5
	s_cbranch_execz .LBB183_53
; %bb.63:                               ;   in Loop: Header=BB183_54 Depth=2
	ds_add_f32 v6, v4 offset:4096
	s_and_not1_b32 s13, s13, exec_lo
	s_branch .LBB183_53
.LBB183_64:
	s_or_b32 exec_lo, exec_lo, s8
	s_ashr_i32 s13, s12, 31
	s_mov_b32 s4, exec_lo
	s_lshl_b64 s[0:1], s[12:13], 3
	s_delay_alu instid0(SALU_CYCLE_1) | instskip(SKIP_4) | instid1(SALU_CYCLE_1)
	s_add_u32 s0, s10, s0
	s_addc_u32 s1, s11, s1
	s_load_b128 s[0:3], s[0:1], 0x0
	s_waitcnt lgkmcnt(0)
	s_sub_i32 s3, s2, s0
	v_cmpx_gt_i32_e64 s3, v0
	s_cbranch_execz .LBB183_74
; %bb.65:
	s_sub_u32 s4, s0, s26
	s_subb_u32 s5, s1, 0
	s_sub_i32 s0, s0, s2
	s_and_b32 s1, s3, 7
	s_cmp_lt_u32 s0, -7
	s_mov_b32 s8, 0
	s_cselect_b32 s2, -1, 0
	s_and_b32 s6, s3, -8
	s_cmp_lg_u32 s1, 0
	s_cselect_b32 s7, -1, 0
	s_branch .LBB183_67
.LBB183_66:                             ;   in Loop: Header=BB183_67 Depth=1
	s_delay_alu instid0(VALU_DEP_1) | instskip(SKIP_3) | instid1(VALU_DEP_3)
	v_lshlrev_b64 v[3:4], 2, v[3:4]
	v_add_nc_u32_e32 v0, 0x200, v0
	s_waitcnt lgkmcnt(0)
	v_add_nc_u32_e32 v1, s26, v1
	v_add_co_u32 v5, vcc_lo, s28, v3
	s_delay_alu instid0(VALU_DEP_4) | instskip(SKIP_2) | instid1(VALU_DEP_1)
	v_add_co_ci_u32_e32 v6, vcc_lo, s29, v4, vcc_lo
	v_cmp_le_i32_e32 vcc_lo, s3, v0
	v_add_co_u32 v3, s0, s30, v3
	v_add_co_ci_u32_e64 v4, s0, s31, v4, s0
	s_or_b32 s8, vcc_lo, s8
	global_store_b32 v[5:6], v1, off
	global_store_b32 v[3:4], v2, off
	s_and_not1_b32 exec_lo, exec_lo, s8
	s_cbranch_execz .LBB183_74
.LBB183_67:                             ; =>This Loop Header: Depth=1
                                        ;     Child Loop BB183_69 Depth 2
                                        ;     Child Loop BB183_73 Depth 2
	v_lshl_add_u32 v1, v0, 2, 0
	v_dual_mov_b32 v3, s4 :: v_dual_mov_b32 v4, s5
	s_and_not1_b32 vcc_lo, exec_lo, s2
	s_mov_b32 s0, 0
	ds_load_2addr_stride64_b32 v[1:2], v1 offset1:16
	s_cbranch_vccnz .LBB183_71
; %bb.68:                               ;   in Loop: Header=BB183_67 Depth=1
	v_dual_mov_b32 v3, s4 :: v_dual_mov_b32 v4, s5
	s_mov_b32 s9, 0
	s_mov_b32 s10, 0
.LBB183_69:                             ;   Parent Loop BB183_67 Depth=1
                                        ; =>  This Inner Loop Header: Depth=2
	s_delay_alu instid0(SALU_CYCLE_1)
	v_mov_b32_e32 v11, s10
	s_add_i32 s9, s9, 8
	s_add_i32 s10, s10, 32
	s_cmp_eq_u32 s6, s9
	ds_load_2addr_b32 v[5:6], v11 offset1:1
	ds_load_2addr_b32 v[7:8], v11 offset0:2 offset1:3
	ds_load_2addr_b32 v[9:10], v11 offset0:4 offset1:5
	;; [unrolled: 1-line block ×3, first 2 shown]
	s_waitcnt lgkmcnt(3)
	v_cmp_gt_i32_e32 vcc_lo, v1, v5
	v_cndmask_b32_e64 v5, 0, 1, vcc_lo
	v_cmp_gt_i32_e32 vcc_lo, v1, v6
	v_cndmask_b32_e64 v6, 0, 1, vcc_lo
	s_waitcnt lgkmcnt(2)
	v_cmp_gt_i32_e32 vcc_lo, v1, v7
	v_cndmask_b32_e64 v7, 0, 1, vcc_lo
	v_cmp_gt_i32_e32 vcc_lo, v1, v8
	v_cndmask_b32_e64 v8, 0, 1, vcc_lo
	s_waitcnt lgkmcnt(1)
	v_cmp_gt_i32_e32 vcc_lo, v1, v9
	v_cndmask_b32_e64 v9, 0, 1, vcc_lo
	v_add_co_u32 v3, vcc_lo, v3, v5
	v_add_co_ci_u32_e32 v4, vcc_lo, 0, v4, vcc_lo
	v_cmp_gt_i32_e32 vcc_lo, v1, v10
	s_delay_alu instid0(VALU_DEP_3) | instskip(NEXT) | instid1(VALU_DEP_1)
	v_add_co_u32 v3, s0, v3, v6
	v_add_co_ci_u32_e64 v4, s0, 0, v4, s0
	v_cndmask_b32_e64 v5, 0, 1, vcc_lo
	s_delay_alu instid0(VALU_DEP_3) | instskip(NEXT) | instid1(VALU_DEP_3)
	v_add_co_u32 v3, vcc_lo, v3, v7
	v_add_co_ci_u32_e32 v4, vcc_lo, 0, v4, vcc_lo
	s_waitcnt lgkmcnt(0)
	v_cmp_gt_i32_e32 vcc_lo, v1, v11
	s_delay_alu instid0(VALU_DEP_3) | instskip(NEXT) | instid1(VALU_DEP_1)
	v_add_co_u32 v3, s0, v3, v8
	v_add_co_ci_u32_e64 v4, s0, 0, v4, s0
	v_cndmask_b32_e64 v6, 0, 1, vcc_lo
	s_delay_alu instid0(VALU_DEP_3) | instskip(NEXT) | instid1(VALU_DEP_3)
	v_add_co_u32 v3, vcc_lo, v3, v9
	v_add_co_ci_u32_e32 v4, vcc_lo, 0, v4, vcc_lo
	v_cmp_gt_i32_e32 vcc_lo, v1, v12
	s_delay_alu instid0(VALU_DEP_3) | instskip(NEXT) | instid1(VALU_DEP_1)
	v_add_co_u32 v3, s0, v3, v5
	v_add_co_ci_u32_e64 v4, s0, 0, v4, s0
	v_cndmask_b32_e64 v5, 0, 1, vcc_lo
	s_delay_alu instid0(VALU_DEP_3) | instskip(NEXT) | instid1(VALU_DEP_3)
	v_add_co_u32 v3, vcc_lo, v3, v6
	v_add_co_ci_u32_e32 v4, vcc_lo, 0, v4, vcc_lo
	s_delay_alu instid0(VALU_DEP_2) | instskip(NEXT) | instid1(VALU_DEP_2)
	v_add_co_u32 v3, vcc_lo, v3, v5
	v_add_co_ci_u32_e32 v4, vcc_lo, 0, v4, vcc_lo
	s_cbranch_scc0 .LBB183_69
; %bb.70:                               ;   in Loop: Header=BB183_67 Depth=1
	s_mov_b32 s0, s6
.LBB183_71:                             ;   in Loop: Header=BB183_67 Depth=1
	s_and_not1_b32 vcc_lo, exec_lo, s7
	s_cbranch_vccnz .LBB183_66
; %bb.72:                               ;   in Loop: Header=BB183_67 Depth=1
	s_lshl_b32 s0, s0, 2
	s_mov_b32 s9, s1
	s_add_i32 s0, s0, 0
.LBB183_73:                             ;   Parent Loop BB183_67 Depth=1
                                        ; =>  This Inner Loop Header: Depth=2
	s_delay_alu instid0(SALU_CYCLE_1)
	v_mov_b32_e32 v5, s0
	s_add_i32 s9, s9, -1
	s_add_i32 s0, s0, 4
	s_cmp_lg_u32 s9, 0
	ds_load_b32 v5, v5
	s_waitcnt lgkmcnt(0)
	v_cmp_gt_i32_e32 vcc_lo, v1, v5
	v_cndmask_b32_e64 v5, 0, 1, vcc_lo
	s_delay_alu instid0(VALU_DEP_1)
	v_add_co_u32 v3, vcc_lo, v3, v5
	v_add_co_ci_u32_e32 v4, vcc_lo, 0, v4, vcc_lo
	s_cbranch_scc1 .LBB183_73
	s_branch .LBB183_66
.LBB183_74:
	s_nop 0
	s_sendmsg sendmsg(MSG_DEALLOC_VGPRS)
	s_endpgm
	.section	.rodata,"a",@progbits
	.p2align	6, 0x0
	.amdhsa_kernel _ZN9rocsparseL26csrgemm_fill_block_per_rowILj512ELj32ELj1024ELj137ELj64ElifEEvT5_PKS1_S3_NS_24const_host_device_scalarIT6_EEPKT4_S3_PKS5_S9_S3_SB_S6_S9_S3_SB_S9_PS1_PS5_21rocsparse_index_base_SE_SE_SE_bbb
		.amdhsa_group_segment_fixed_size 0
		.amdhsa_private_segment_fixed_size 0
		.amdhsa_kernarg_size 156
		.amdhsa_user_sgpr_count 15
		.amdhsa_user_sgpr_dispatch_ptr 0
		.amdhsa_user_sgpr_queue_ptr 0
		.amdhsa_user_sgpr_kernarg_segment_ptr 1
		.amdhsa_user_sgpr_dispatch_id 0
		.amdhsa_user_sgpr_private_segment_size 0
		.amdhsa_wavefront_size32 1
		.amdhsa_uses_dynamic_stack 0
		.amdhsa_enable_private_segment 0
		.amdhsa_system_sgpr_workgroup_id_x 1
		.amdhsa_system_sgpr_workgroup_id_y 0
		.amdhsa_system_sgpr_workgroup_id_z 0
		.amdhsa_system_sgpr_workgroup_info 0
		.amdhsa_system_vgpr_workitem_id 0
		.amdhsa_next_free_vgpr 19
		.amdhsa_next_free_sgpr 44
		.amdhsa_reserve_vcc 1
		.amdhsa_float_round_mode_32 0
		.amdhsa_float_round_mode_16_64 0
		.amdhsa_float_denorm_mode_32 3
		.amdhsa_float_denorm_mode_16_64 3
		.amdhsa_dx10_clamp 1
		.amdhsa_ieee_mode 1
		.amdhsa_fp16_overflow 0
		.amdhsa_workgroup_processor_mode 1
		.amdhsa_memory_ordered 1
		.amdhsa_forward_progress 0
		.amdhsa_shared_vgpr_count 0
		.amdhsa_exception_fp_ieee_invalid_op 0
		.amdhsa_exception_fp_denorm_src 0
		.amdhsa_exception_fp_ieee_div_zero 0
		.amdhsa_exception_fp_ieee_overflow 0
		.amdhsa_exception_fp_ieee_underflow 0
		.amdhsa_exception_fp_ieee_inexact 0
		.amdhsa_exception_int_div_zero 0
	.end_amdhsa_kernel
	.section	.text._ZN9rocsparseL26csrgemm_fill_block_per_rowILj512ELj32ELj1024ELj137ELj64ElifEEvT5_PKS1_S3_NS_24const_host_device_scalarIT6_EEPKT4_S3_PKS5_S9_S3_SB_S6_S9_S3_SB_S9_PS1_PS5_21rocsparse_index_base_SE_SE_SE_bbb,"axG",@progbits,_ZN9rocsparseL26csrgemm_fill_block_per_rowILj512ELj32ELj1024ELj137ELj64ElifEEvT5_PKS1_S3_NS_24const_host_device_scalarIT6_EEPKT4_S3_PKS5_S9_S3_SB_S6_S9_S3_SB_S9_PS1_PS5_21rocsparse_index_base_SE_SE_SE_bbb,comdat
.Lfunc_end183:
	.size	_ZN9rocsparseL26csrgemm_fill_block_per_rowILj512ELj32ELj1024ELj137ELj64ElifEEvT5_PKS1_S3_NS_24const_host_device_scalarIT6_EEPKT4_S3_PKS5_S9_S3_SB_S6_S9_S3_SB_S9_PS1_PS5_21rocsparse_index_base_SE_SE_SE_bbb, .Lfunc_end183-_ZN9rocsparseL26csrgemm_fill_block_per_rowILj512ELj32ELj1024ELj137ELj64ElifEEvT5_PKS1_S3_NS_24const_host_device_scalarIT6_EEPKT4_S3_PKS5_S9_S3_SB_S6_S9_S3_SB_S9_PS1_PS5_21rocsparse_index_base_SE_SE_SE_bbb
                                        ; -- End function
	.section	.AMDGPU.csdata,"",@progbits
; Kernel info:
; codeLenInByte = 2892
; NumSgprs: 46
; NumVgprs: 19
; ScratchSize: 0
; MemoryBound: 0
; FloatMode: 240
; IeeeMode: 1
; LDSByteSize: 0 bytes/workgroup (compile time only)
; SGPRBlocks: 5
; VGPRBlocks: 2
; NumSGPRsForWavesPerEU: 46
; NumVGPRsForWavesPerEU: 19
; Occupancy: 16
; WaveLimiterHint : 1
; COMPUTE_PGM_RSRC2:SCRATCH_EN: 0
; COMPUTE_PGM_RSRC2:USER_SGPR: 15
; COMPUTE_PGM_RSRC2:TRAP_HANDLER: 0
; COMPUTE_PGM_RSRC2:TGID_X_EN: 1
; COMPUTE_PGM_RSRC2:TGID_Y_EN: 0
; COMPUTE_PGM_RSRC2:TGID_Z_EN: 0
; COMPUTE_PGM_RSRC2:TIDIG_COMP_CNT: 0
	.section	.text._ZN9rocsparseL26csrgemm_fill_block_per_rowILj1024ELj32ELj2048ELj137ELj32ElifEEvT5_PKS1_S3_NS_24const_host_device_scalarIT6_EEPKT4_S3_PKS5_S9_S3_SB_S6_S9_S3_SB_S9_PS1_PS5_21rocsparse_index_base_SE_SE_SE_bbb,"axG",@progbits,_ZN9rocsparseL26csrgemm_fill_block_per_rowILj1024ELj32ELj2048ELj137ELj32ElifEEvT5_PKS1_S3_NS_24const_host_device_scalarIT6_EEPKT4_S3_PKS5_S9_S3_SB_S6_S9_S3_SB_S9_PS1_PS5_21rocsparse_index_base_SE_SE_SE_bbb,comdat
	.globl	_ZN9rocsparseL26csrgemm_fill_block_per_rowILj1024ELj32ELj2048ELj137ELj32ElifEEvT5_PKS1_S3_NS_24const_host_device_scalarIT6_EEPKT4_S3_PKS5_S9_S3_SB_S6_S9_S3_SB_S9_PS1_PS5_21rocsparse_index_base_SE_SE_SE_bbb ; -- Begin function _ZN9rocsparseL26csrgemm_fill_block_per_rowILj1024ELj32ELj2048ELj137ELj32ElifEEvT5_PKS1_S3_NS_24const_host_device_scalarIT6_EEPKT4_S3_PKS5_S9_S3_SB_S6_S9_S3_SB_S9_PS1_PS5_21rocsparse_index_base_SE_SE_SE_bbb
	.p2align	8
	.type	_ZN9rocsparseL26csrgemm_fill_block_per_rowILj1024ELj32ELj2048ELj137ELj32ElifEEvT5_PKS1_S3_NS_24const_host_device_scalarIT6_EEPKT4_S3_PKS5_S9_S3_SB_S6_S9_S3_SB_S9_PS1_PS5_21rocsparse_index_base_SE_SE_SE_bbb,@function
_ZN9rocsparseL26csrgemm_fill_block_per_rowILj1024ELj32ELj2048ELj137ELj32ElifEEvT5_PKS1_S3_NS_24const_host_device_scalarIT6_EEPKT4_S3_PKS5_S9_S3_SB_S6_S9_S3_SB_S9_PS1_PS5_21rocsparse_index_base_SE_SE_SE_bbb: ; @_ZN9rocsparseL26csrgemm_fill_block_per_rowILj1024ELj32ELj2048ELj137ELj32ElifEEvT5_PKS1_S3_NS_24const_host_device_scalarIT6_EEPKT4_S3_PKS5_S9_S3_SB_S6_S9_S3_SB_S9_PS1_PS5_21rocsparse_index_base_SE_SE_SE_bbb
; %bb.0:
	s_clause 0x3
	s_load_b32 s12, s[0:1], 0x98
	s_load_b128 s[44:47], s[0:1], 0x88
	s_load_b64 s[4:5], s[0:1], 0x18
	s_load_b64 s[2:3], s[0:1], 0x50
	s_waitcnt lgkmcnt(0)
	s_bitcmp1_b32 s12, 0
	s_cselect_b32 s13, -1, 0
	s_bitcmp1_b32 s12, 16
	s_cselect_b32 s14, -1, 0
	s_xor_b32 s6, s13, -1
	s_delay_alu instid0(SALU_CYCLE_1) | instskip(NEXT) | instid1(SALU_CYCLE_1)
	s_or_b32 s6, s6, s14
	s_and_b32 vcc_lo, exec_lo, s6
	s_cbranch_vccnz .LBB184_2
; %bb.1:
	s_load_b32 s4, s[4:5], 0x0
	s_waitcnt lgkmcnt(0)
	v_mov_b32_e32 v13, s4
	s_branch .LBB184_3
.LBB184_2:
	v_cndmask_b32_e64 v13, 0, s4, s13
.LBB184_3:
	s_clause 0x4
	s_load_b128 s[48:51], s[0:1], 0x78
	s_load_b256 s[36:43], s[0:1], 0x58
	s_load_b128 s[16:19], s[0:1], 0x40
	s_load_b128 s[20:23], s[0:1], 0x8
	s_load_b256 s[4:11], s[0:1], 0x20
	s_bitcmp1_b32 s12, 8
	s_cselect_b32 s12, -1, 0
	s_delay_alu instid0(SALU_CYCLE_1) | instskip(NEXT) | instid1(SALU_CYCLE_1)
	s_xor_b32 s24, s12, -1
	s_or_b32 s14, s24, s14
	s_delay_alu instid0(SALU_CYCLE_1)
	s_and_b32 vcc_lo, exec_lo, s14
	s_cbranch_vccnz .LBB184_5
; %bb.4:
	s_load_b32 s2, s[2:3], 0x0
	s_waitcnt lgkmcnt(0)
	v_mov_b32_e32 v11, s2
	s_branch .LBB184_6
.LBB184_5:
	v_cndmask_b32_e64 v11, 0, s2, s12
.LBB184_6:
	s_load_b32 s33, s[0:1], 0x0
	v_lshl_add_u32 v9, v0, 2, 0
	v_or_b32_e32 v10, 0xfffffc00, v0
	v_mov_b32_e32 v1, 0
	s_mov_b32 s0, 0
	s_delay_alu instid0(VALU_DEP_3)
	v_mov_b32_e32 v2, v9
	s_waitcnt lgkmcnt(0)
	v_dual_mov_b32 v4, v10 :: v_dual_mov_b32 v3, s33
.LBB184_7:                              ; =>This Inner Loop Header: Depth=1
	s_delay_alu instid0(VALU_DEP_1) | instskip(NEXT) | instid1(VALU_DEP_1)
	v_add_co_u32 v4, s1, 0x400, v4
	s_xor_b32 s1, s1, -1
	ds_store_2addr_stride64_b32 v2, v3, v1 offset1:32
	v_add_nc_u32_e32 v2, 0x1000, v2
	s_and_b32 s1, exec_lo, s1
	s_delay_alu instid0(SALU_CYCLE_1) | instskip(NEXT) | instid1(SALU_CYCLE_1)
	s_or_b32 s0, s1, s0
	s_and_not1_b32 exec_lo, exec_lo, s0
	s_cbranch_execnz .LBB184_7
; %bb.8:
	s_or_b32 exec_lo, exec_lo, s0
	s_waitcnt lgkmcnt(0)
	s_barrier
	buffer_gl0_inv
	s_load_b32 s0, s[20:21], 0x0
	s_mov_b32 s1, 0
	v_lshrrev_b32_e32 v12, 5, v0
	s_waitcnt lgkmcnt(0)
	s_add_i32 s0, s0, s15
	s_delay_alu instid0(SALU_CYCLE_1) | instskip(NEXT) | instid1(SALU_CYCLE_1)
	s_lshl_b64 s[0:1], s[0:1], 2
	s_add_u32 s0, s22, s0
	s_addc_u32 s1, s23, s1
	s_and_b32 vcc_lo, exec_lo, s13
	s_load_b32 s34, s[0:1], 0x0
	s_cbranch_vccz .LBB184_28
; %bb.9:
	s_waitcnt lgkmcnt(0)
	s_ashr_i32 s35, s34, 31
	s_delay_alu instid0(SALU_CYCLE_1) | instskip(NEXT) | instid1(SALU_CYCLE_1)
	s_lshl_b64 s[0:1], s[34:35], 3
	s_add_u32 s0, s4, s0
	s_addc_u32 s1, s5, s1
	v_sub_co_u32 v1, s4, v12, s44
	s_load_b128 s[0:3], s[0:1], 0x0
	v_sub_co_ci_u32_e64 v2, null, 0, 0, s4
	s_waitcnt lgkmcnt(0)
	s_delay_alu instid0(VALU_DEP_2) | instskip(NEXT) | instid1(VALU_DEP_2)
	v_add_co_u32 v1, vcc_lo, s0, v1
	v_add_co_ci_u32_e32 v2, vcc_lo, s1, v2, vcc_lo
	s_sub_u32 s0, s2, s44
	s_subb_u32 s1, s3, 0
	s_mov_b32 s2, exec_lo
	s_delay_alu instid0(VALU_DEP_1)
	v_cmpx_gt_i64_e64 s[0:1], v[1:2]
	s_cbranch_execz .LBB184_27
; %bb.10:
	v_and_b32_e32 v3, 31, v0
	s_mov_b32 s4, s45
	s_delay_alu instid0(VALU_DEP_1) | instskip(NEXT) | instid1(VALU_DEP_1)
	v_sub_co_u32 v14, s3, v3, s45
	v_sub_co_ci_u32_e64 v15, null, 0, 0, s3
	s_mov_b32 s3, 0
	s_branch .LBB184_12
.LBB184_11:                             ;   in Loop: Header=BB184_12 Depth=1
	s_or_b32 exec_lo, exec_lo, s5
	v_add_co_u32 v1, vcc_lo, v1, 32
	v_add_co_ci_u32_e32 v2, vcc_lo, 0, v2, vcc_lo
	s_delay_alu instid0(VALU_DEP_1) | instskip(SKIP_1) | instid1(SALU_CYCLE_1)
	v_cmp_le_i64_e32 vcc_lo, s[0:1], v[1:2]
	s_or_b32 s3, vcc_lo, s3
	s_and_not1_b32 exec_lo, exec_lo, s3
	s_cbranch_execz .LBB184_27
.LBB184_12:                             ; =>This Loop Header: Depth=1
                                        ;     Child Loop BB184_15 Depth 2
                                        ;       Child Loop BB184_17 Depth 3
	v_lshlrev_b64 v[7:8], 2, v[1:2]
	s_mov_b32 s5, exec_lo
	s_delay_alu instid0(VALU_DEP_1) | instskip(NEXT) | instid1(VALU_DEP_2)
	v_add_co_u32 v3, vcc_lo, s6, v7
	v_add_co_ci_u32_e32 v4, vcc_lo, s7, v8, vcc_lo
	global_load_b32 v3, v[3:4], off
	s_waitcnt vmcnt(0)
	v_subrev_nc_u32_e32 v3, s44, v3
	s_delay_alu instid0(VALU_DEP_1) | instskip(NEXT) | instid1(VALU_DEP_1)
	v_ashrrev_i32_e32 v4, 31, v3
	v_lshlrev_b64 v[3:4], 3, v[3:4]
	s_delay_alu instid0(VALU_DEP_1) | instskip(NEXT) | instid1(VALU_DEP_2)
	v_add_co_u32 v3, vcc_lo, s10, v3
	v_add_co_ci_u32_e32 v4, vcc_lo, s11, v4, vcc_lo
	global_load_b128 v[16:19], v[3:4], off
	s_waitcnt vmcnt(0)
	v_sub_co_u32 v3, vcc_lo, v18, s4
	v_subrev_co_ci_u32_e32 v4, vcc_lo, 0, v19, vcc_lo
	v_add_co_u32 v5, vcc_lo, v16, v14
	v_add_co_ci_u32_e32 v6, vcc_lo, v17, v15, vcc_lo
	s_delay_alu instid0(VALU_DEP_1)
	v_cmpx_lt_i64_e64 v[5:6], v[3:4]
	s_cbranch_execz .LBB184_11
; %bb.13:                               ;   in Loop: Header=BB184_12 Depth=1
	v_add_co_u32 v7, vcc_lo, s8, v7
	v_add_co_ci_u32_e32 v8, vcc_lo, s9, v8, vcc_lo
	s_mov_b32 s13, 0
	global_load_b32 v7, v[7:8], off
	s_waitcnt vmcnt(0)
	v_mul_f32_e32 v7, v13, v7
	s_branch .LBB184_15
.LBB184_14:                             ;   in Loop: Header=BB184_15 Depth=2
	s_or_b32 exec_lo, exec_lo, s14
	v_add_co_u32 v5, vcc_lo, v5, 32
	v_add_co_ci_u32_e32 v6, vcc_lo, 0, v6, vcc_lo
	s_delay_alu instid0(VALU_DEP_1) | instskip(SKIP_1) | instid1(SALU_CYCLE_1)
	v_cmp_ge_i64_e32 vcc_lo, v[5:6], v[3:4]
	s_or_b32 s13, vcc_lo, s13
	s_and_not1_b32 exec_lo, exec_lo, s13
	s_cbranch_execz .LBB184_11
.LBB184_15:                             ;   Parent Loop BB184_12 Depth=1
                                        ; =>  This Loop Header: Depth=2
                                        ;       Child Loop BB184_17 Depth 3
	v_lshlrev_b64 v[16:17], 2, v[5:6]
	s_mov_b32 s14, 0
	s_delay_alu instid0(VALU_DEP_1) | instskip(NEXT) | instid1(VALU_DEP_2)
	v_add_co_u32 v18, vcc_lo, s16, v16
	v_add_co_ci_u32_e32 v19, vcc_lo, s17, v17, vcc_lo
	v_add_co_u32 v16, vcc_lo, s18, v16
	v_add_co_ci_u32_e32 v17, vcc_lo, s19, v17, vcc_lo
	global_load_b32 v8, v[18:19], off
	global_load_b32 v16, v[16:17], off
	s_waitcnt vmcnt(1)
	v_subrev_nc_u32_e32 v8, s45, v8
	s_delay_alu instid0(VALU_DEP_1) | instskip(SKIP_1) | instid1(VALU_DEP_1)
	v_mul_lo_u32 v17, 0x89, v8
	s_waitcnt vmcnt(0)
	v_dual_mul_f32 v16, v7, v16 :: v_dual_and_b32 v17, 0x7ff, v17
	s_branch .LBB184_17
.LBB184_16:                             ;   in Loop: Header=BB184_17 Depth=3
	s_or_b32 exec_lo, exec_lo, s15
	s_xor_b32 s15, s20, -1
	s_delay_alu instid0(SALU_CYCLE_1) | instskip(NEXT) | instid1(SALU_CYCLE_1)
	s_and_b32 s15, exec_lo, s15
	s_or_b32 s14, s15, s14
	s_delay_alu instid0(SALU_CYCLE_1)
	s_and_not1_b32 exec_lo, exec_lo, s14
	s_cbranch_execz .LBB184_14
.LBB184_17:                             ;   Parent Loop BB184_12 Depth=1
                                        ;     Parent Loop BB184_15 Depth=2
                                        ; =>    This Inner Loop Header: Depth=3
	s_delay_alu instid0(VALU_DEP_1)
	v_lshl_add_u32 v18, v17, 2, 0
	s_mov_b32 s15, exec_lo
                                        ; implicit-def: $sgpr20
	ds_load_b32 v19, v18
	s_waitcnt lgkmcnt(0)
	v_cmpx_ne_u32_e64 v19, v8
	s_xor_b32 s15, exec_lo, s15
	s_cbranch_execz .LBB184_25
; %bb.18:                               ;   in Loop: Header=BB184_17 Depth=3
	s_mov_b32 s21, exec_lo
                                        ; implicit-def: $sgpr20
	v_cmpx_ne_u32_e64 s33, v19
	s_xor_b32 s21, exec_lo, s21
; %bb.19:                               ;   in Loop: Header=BB184_17 Depth=3
	v_add_nc_u32_e32 v17, 1, v17
	s_mov_b32 s20, -1
                                        ; implicit-def: $vgpr18
	s_delay_alu instid0(VALU_DEP_1)
	v_and_b32_e32 v17, 0x7ff, v17
; %bb.20:                               ;   in Loop: Header=BB184_17 Depth=3
	s_and_not1_saveexec_b32 s21, s21
	s_cbranch_execz .LBB184_24
; %bb.21:                               ;   in Loop: Header=BB184_17 Depth=3
	v_mov_b32_e32 v19, s33
	s_mov_b32 s22, -1
	s_mov_b32 s23, exec_lo
	ds_cmpstore_rtn_b32 v19, v18, v8, v19
	s_waitcnt lgkmcnt(0)
	v_cmpx_eq_u32_e64 s33, v19
	s_cbranch_execz .LBB184_23
; %bb.22:                               ;   in Loop: Header=BB184_17 Depth=3
	ds_add_f32 v18, v16 offset:8192
	s_xor_b32 s22, exec_lo, -1
.LBB184_23:                             ;   in Loop: Header=BB184_17 Depth=3
	s_or_b32 exec_lo, exec_lo, s23
	s_delay_alu instid0(SALU_CYCLE_1) | instskip(SKIP_1) | instid1(SALU_CYCLE_1)
	s_and_not1_b32 s20, s20, exec_lo
	s_and_b32 s22, s22, exec_lo
	s_or_b32 s20, s20, s22
.LBB184_24:                             ;   in Loop: Header=BB184_17 Depth=3
	s_or_b32 exec_lo, exec_lo, s21
	s_delay_alu instid0(SALU_CYCLE_1)
	s_and_b32 s20, s20, exec_lo
                                        ; implicit-def: $vgpr18
.LBB184_25:                             ;   in Loop: Header=BB184_17 Depth=3
	s_and_not1_saveexec_b32 s15, s15
	s_cbranch_execz .LBB184_16
; %bb.26:                               ;   in Loop: Header=BB184_17 Depth=3
	ds_add_f32 v18, v16 offset:8192
	s_and_not1_b32 s20, s20, exec_lo
	s_branch .LBB184_16
.LBB184_27:
	s_or_b32 exec_lo, exec_lo, s2
.LBB184_28:
	s_delay_alu instid0(SALU_CYCLE_1)
	s_and_not1_b32 vcc_lo, exec_lo, s12
	s_cbranch_vccnz .LBB184_31
; %bb.29:
	s_waitcnt lgkmcnt(0)
	s_ashr_i32 s35, s34, 31
	v_sub_co_u32 v1, s4, v0, s47
	s_lshl_b64 s[0:1], s[34:35], 3
	v_sub_co_ci_u32_e64 v2, null, 0, 0, s4
	s_add_u32 s0, s36, s0
	s_addc_u32 s1, s37, s1
	s_load_b128 s[0:3], s[0:1], 0x0
	s_waitcnt lgkmcnt(0)
	v_add_co_u32 v1, vcc_lo, s0, v1
	v_add_co_ci_u32_e32 v2, vcc_lo, s1, v2, vcc_lo
	s_sub_u32 s0, s2, s47
	s_subb_u32 s1, s3, 0
	s_mov_b32 s3, 0
	s_mov_b32 s2, exec_lo
	v_cmpx_gt_i64_e64 s[0:1], v[1:2]
	s_cbranch_execnz .LBB184_100
.LBB184_30:
	s_or_b32 exec_lo, exec_lo, s2
.LBB184_31:
	v_mbcnt_lo_u32_b32 v1, -1, 0
	v_lshl_add_u32 v4, v12, 2, 0
	v_cmp_eq_u32_e32 vcc_lo, 0x3ff, v0
	v_cmp_lt_u32_e64 s0, 31, v0
	v_cmp_lt_u32_e64 s1, 63, v0
	v_xor_b32_e32 v1, 63, v1
	v_cmp_lt_u32_e64 s2, 0x5f, v0
	v_cmp_lt_u32_e64 s3, 0x7f, v0
	;; [unrolled: 1-line block ×4, first 2 shown]
	v_lshrrev_b64 v[1:2], v1, -1
	v_cmp_lt_u32_e64 s6, 0xdf, v0
	v_cmp_lt_u32_e64 s7, 0xff, v0
	;; [unrolled: 1-line block ×25, first 2 shown]
	v_dual_mov_b32 v5, 0 :: v_dual_mov_b32 v6, 0
	s_mov_b32 s35, 0
	s_waitcnt lgkmcnt(0)
	s_barrier
	buffer_gl0_inv
	s_branch .LBB184_33
.LBB184_32:                             ;   in Loop: Header=BB184_33 Depth=1
	s_or_b32 exec_lo, exec_lo, s31
	s_waitcnt lgkmcnt(0)
	s_barrier
	buffer_gl0_inv
	ds_load_b32 v2, v5 offset:16508
	v_add_co_u32 v10, s31, 0x400, v10
	s_delay_alu instid0(VALU_DEP_1) | instskip(SKIP_2) | instid1(SALU_CYCLE_1)
	s_xor_b32 s31, s31, -1
	v_add_nc_u32_e32 v9, 0x1000, v9
	s_and_b32 s31, exec_lo, s31
	s_or_b32 s35, s31, s35
	s_waitcnt lgkmcnt(0)
	v_add_nc_u32_e32 v6, v2, v6
	s_and_not1_b32 exec_lo, exec_lo, s35
	s_cbranch_execz .LBB184_112
.LBB184_33:                             ; =>This Inner Loop Header: Depth=1
	ds_load_2addr_stride64_b32 v[2:3], v9 offset1:32
	s_waitcnt lgkmcnt(0)
	s_barrier
	buffer_gl0_inv
	v_cmp_gt_i32_e64 s31, s33, v2
	s_delay_alu instid0(VALU_DEP_1) | instskip(NEXT) | instid1(SALU_CYCLE_1)
	s_bcnt1_i32_b32 s36, s31
	v_dual_mov_b32 v8, s36 :: v_dual_and_b32 v7, s31, v1
	s_delay_alu instid0(VALU_DEP_1)
	v_bcnt_u32_b32 v7, v7, 0
	ds_store_b32 v4, v8 offset:16384
	s_waitcnt lgkmcnt(0)
	s_barrier
	buffer_gl0_inv
	s_and_saveexec_b32 s36, s0
	s_cbranch_execnz .LBB184_66
; %bb.34:                               ;   in Loop: Header=BB184_33 Depth=1
	s_or_b32 exec_lo, exec_lo, s36
	s_and_saveexec_b32 s36, s1
	s_cbranch_execnz .LBB184_67
.LBB184_35:                             ;   in Loop: Header=BB184_33 Depth=1
	s_or_b32 exec_lo, exec_lo, s36
	s_and_saveexec_b32 s36, s2
	s_cbranch_execnz .LBB184_68
.LBB184_36:                             ;   in Loop: Header=BB184_33 Depth=1
	s_or_b32 exec_lo, exec_lo, s36
	s_and_saveexec_b32 s36, s3
	s_cbranch_execnz .LBB184_69
.LBB184_37:                             ;   in Loop: Header=BB184_33 Depth=1
	s_or_b32 exec_lo, exec_lo, s36
	s_and_saveexec_b32 s36, s4
	s_cbranch_execnz .LBB184_70
.LBB184_38:                             ;   in Loop: Header=BB184_33 Depth=1
	s_or_b32 exec_lo, exec_lo, s36
	s_and_saveexec_b32 s36, s5
	s_cbranch_execnz .LBB184_71
.LBB184_39:                             ;   in Loop: Header=BB184_33 Depth=1
	s_or_b32 exec_lo, exec_lo, s36
	s_and_saveexec_b32 s36, s6
	s_cbranch_execnz .LBB184_72
.LBB184_40:                             ;   in Loop: Header=BB184_33 Depth=1
	s_or_b32 exec_lo, exec_lo, s36
	s_and_saveexec_b32 s36, s7
	s_cbranch_execnz .LBB184_73
.LBB184_41:                             ;   in Loop: Header=BB184_33 Depth=1
	s_or_b32 exec_lo, exec_lo, s36
	s_and_saveexec_b32 s36, s8
	s_cbranch_execnz .LBB184_74
.LBB184_42:                             ;   in Loop: Header=BB184_33 Depth=1
	s_or_b32 exec_lo, exec_lo, s36
	s_and_saveexec_b32 s36, s9
	s_cbranch_execnz .LBB184_75
.LBB184_43:                             ;   in Loop: Header=BB184_33 Depth=1
	s_or_b32 exec_lo, exec_lo, s36
	s_and_saveexec_b32 s36, s10
	s_cbranch_execnz .LBB184_76
.LBB184_44:                             ;   in Loop: Header=BB184_33 Depth=1
	s_or_b32 exec_lo, exec_lo, s36
	s_and_saveexec_b32 s36, s11
	s_cbranch_execnz .LBB184_77
.LBB184_45:                             ;   in Loop: Header=BB184_33 Depth=1
	s_or_b32 exec_lo, exec_lo, s36
	s_and_saveexec_b32 s36, s12
	s_cbranch_execnz .LBB184_78
.LBB184_46:                             ;   in Loop: Header=BB184_33 Depth=1
	s_or_b32 exec_lo, exec_lo, s36
	s_and_saveexec_b32 s36, s13
	s_cbranch_execnz .LBB184_79
.LBB184_47:                             ;   in Loop: Header=BB184_33 Depth=1
	s_or_b32 exec_lo, exec_lo, s36
	s_and_saveexec_b32 s36, s14
	s_cbranch_execnz .LBB184_80
.LBB184_48:                             ;   in Loop: Header=BB184_33 Depth=1
	s_or_b32 exec_lo, exec_lo, s36
	s_and_saveexec_b32 s36, s15
	s_cbranch_execnz .LBB184_81
.LBB184_49:                             ;   in Loop: Header=BB184_33 Depth=1
	s_or_b32 exec_lo, exec_lo, s36
	s_and_saveexec_b32 s36, s16
	s_cbranch_execnz .LBB184_82
.LBB184_50:                             ;   in Loop: Header=BB184_33 Depth=1
	s_or_b32 exec_lo, exec_lo, s36
	s_and_saveexec_b32 s36, s17
	s_cbranch_execnz .LBB184_83
.LBB184_51:                             ;   in Loop: Header=BB184_33 Depth=1
	s_or_b32 exec_lo, exec_lo, s36
	s_and_saveexec_b32 s36, s18
	s_cbranch_execnz .LBB184_84
.LBB184_52:                             ;   in Loop: Header=BB184_33 Depth=1
	s_or_b32 exec_lo, exec_lo, s36
	s_and_saveexec_b32 s36, s19
	s_cbranch_execnz .LBB184_85
.LBB184_53:                             ;   in Loop: Header=BB184_33 Depth=1
	s_or_b32 exec_lo, exec_lo, s36
	s_and_saveexec_b32 s36, s20
	s_cbranch_execnz .LBB184_86
.LBB184_54:                             ;   in Loop: Header=BB184_33 Depth=1
	s_or_b32 exec_lo, exec_lo, s36
	s_and_saveexec_b32 s36, s21
	s_cbranch_execnz .LBB184_87
.LBB184_55:                             ;   in Loop: Header=BB184_33 Depth=1
	s_or_b32 exec_lo, exec_lo, s36
	s_and_saveexec_b32 s36, s22
	s_cbranch_execnz .LBB184_88
.LBB184_56:                             ;   in Loop: Header=BB184_33 Depth=1
	s_or_b32 exec_lo, exec_lo, s36
	s_and_saveexec_b32 s36, s23
	s_cbranch_execnz .LBB184_89
.LBB184_57:                             ;   in Loop: Header=BB184_33 Depth=1
	s_or_b32 exec_lo, exec_lo, s36
	s_and_saveexec_b32 s36, s24
	s_cbranch_execnz .LBB184_90
.LBB184_58:                             ;   in Loop: Header=BB184_33 Depth=1
	s_or_b32 exec_lo, exec_lo, s36
	s_and_saveexec_b32 s36, s25
	s_cbranch_execnz .LBB184_91
.LBB184_59:                             ;   in Loop: Header=BB184_33 Depth=1
	s_or_b32 exec_lo, exec_lo, s36
	s_and_saveexec_b32 s36, s26
	s_cbranch_execnz .LBB184_92
.LBB184_60:                             ;   in Loop: Header=BB184_33 Depth=1
	s_or_b32 exec_lo, exec_lo, s36
	s_and_saveexec_b32 s36, s27
	s_cbranch_execnz .LBB184_93
.LBB184_61:                             ;   in Loop: Header=BB184_33 Depth=1
	s_or_b32 exec_lo, exec_lo, s36
	s_and_saveexec_b32 s36, s28
	s_cbranch_execnz .LBB184_94
.LBB184_62:                             ;   in Loop: Header=BB184_33 Depth=1
	s_or_b32 exec_lo, exec_lo, s36
	s_and_saveexec_b32 s36, s29
	s_cbranch_execnz .LBB184_95
.LBB184_63:                             ;   in Loop: Header=BB184_33 Depth=1
	s_or_b32 exec_lo, exec_lo, s36
	s_and_saveexec_b32 s36, s30
	s_cbranch_execnz .LBB184_96
.LBB184_64:                             ;   in Loop: Header=BB184_33 Depth=1
	s_or_b32 exec_lo, exec_lo, s36
	s_and_saveexec_b32 s36, s31
	s_cbranch_execnz .LBB184_97
.LBB184_65:                             ;   in Loop: Header=BB184_33 Depth=1
	s_or_b32 exec_lo, exec_lo, s36
	s_and_saveexec_b32 s31, vcc_lo
	s_cbranch_execz .LBB184_32
	s_branch .LBB184_98
.LBB184_66:                             ;   in Loop: Header=BB184_33 Depth=1
	ds_load_b32 v8, v5 offset:16384
	s_waitcnt lgkmcnt(0)
	v_add_nc_u32_e32 v7, v8, v7
	s_or_b32 exec_lo, exec_lo, s36
	s_and_saveexec_b32 s36, s1
	s_cbranch_execz .LBB184_35
.LBB184_67:                             ;   in Loop: Header=BB184_33 Depth=1
	ds_load_b32 v8, v5 offset:16388
	s_waitcnt lgkmcnt(0)
	v_add_nc_u32_e32 v7, v8, v7
	s_or_b32 exec_lo, exec_lo, s36
	s_and_saveexec_b32 s36, s2
	s_cbranch_execz .LBB184_36
.LBB184_68:                             ;   in Loop: Header=BB184_33 Depth=1
	ds_load_b32 v8, v5 offset:16392
	s_waitcnt lgkmcnt(0)
	v_add_nc_u32_e32 v7, v8, v7
	s_or_b32 exec_lo, exec_lo, s36
	s_and_saveexec_b32 s36, s3
	s_cbranch_execz .LBB184_37
.LBB184_69:                             ;   in Loop: Header=BB184_33 Depth=1
	ds_load_b32 v8, v5 offset:16396
	s_waitcnt lgkmcnt(0)
	v_add_nc_u32_e32 v7, v8, v7
	s_or_b32 exec_lo, exec_lo, s36
	s_and_saveexec_b32 s36, s4
	s_cbranch_execz .LBB184_38
.LBB184_70:                             ;   in Loop: Header=BB184_33 Depth=1
	ds_load_b32 v8, v5 offset:16400
	s_waitcnt lgkmcnt(0)
	v_add_nc_u32_e32 v7, v8, v7
	s_or_b32 exec_lo, exec_lo, s36
	s_and_saveexec_b32 s36, s5
	s_cbranch_execz .LBB184_39
.LBB184_71:                             ;   in Loop: Header=BB184_33 Depth=1
	ds_load_b32 v8, v5 offset:16404
	s_waitcnt lgkmcnt(0)
	v_add_nc_u32_e32 v7, v8, v7
	s_or_b32 exec_lo, exec_lo, s36
	s_and_saveexec_b32 s36, s6
	s_cbranch_execz .LBB184_40
.LBB184_72:                             ;   in Loop: Header=BB184_33 Depth=1
	ds_load_b32 v8, v5 offset:16408
	s_waitcnt lgkmcnt(0)
	v_add_nc_u32_e32 v7, v8, v7
	s_or_b32 exec_lo, exec_lo, s36
	s_and_saveexec_b32 s36, s7
	s_cbranch_execz .LBB184_41
.LBB184_73:                             ;   in Loop: Header=BB184_33 Depth=1
	ds_load_b32 v8, v5 offset:16412
	s_waitcnt lgkmcnt(0)
	v_add_nc_u32_e32 v7, v8, v7
	s_or_b32 exec_lo, exec_lo, s36
	s_and_saveexec_b32 s36, s8
	s_cbranch_execz .LBB184_42
.LBB184_74:                             ;   in Loop: Header=BB184_33 Depth=1
	ds_load_b32 v8, v5 offset:16416
	s_waitcnt lgkmcnt(0)
	v_add_nc_u32_e32 v7, v8, v7
	s_or_b32 exec_lo, exec_lo, s36
	s_and_saveexec_b32 s36, s9
	s_cbranch_execz .LBB184_43
.LBB184_75:                             ;   in Loop: Header=BB184_33 Depth=1
	ds_load_b32 v8, v5 offset:16420
	s_waitcnt lgkmcnt(0)
	v_add_nc_u32_e32 v7, v8, v7
	s_or_b32 exec_lo, exec_lo, s36
	s_and_saveexec_b32 s36, s10
	s_cbranch_execz .LBB184_44
.LBB184_76:                             ;   in Loop: Header=BB184_33 Depth=1
	ds_load_b32 v8, v5 offset:16424
	s_waitcnt lgkmcnt(0)
	v_add_nc_u32_e32 v7, v8, v7
	s_or_b32 exec_lo, exec_lo, s36
	s_and_saveexec_b32 s36, s11
	s_cbranch_execz .LBB184_45
.LBB184_77:                             ;   in Loop: Header=BB184_33 Depth=1
	ds_load_b32 v8, v5 offset:16428
	s_waitcnt lgkmcnt(0)
	v_add_nc_u32_e32 v7, v8, v7
	s_or_b32 exec_lo, exec_lo, s36
	s_and_saveexec_b32 s36, s12
	s_cbranch_execz .LBB184_46
.LBB184_78:                             ;   in Loop: Header=BB184_33 Depth=1
	ds_load_b32 v8, v5 offset:16432
	s_waitcnt lgkmcnt(0)
	v_add_nc_u32_e32 v7, v8, v7
	s_or_b32 exec_lo, exec_lo, s36
	s_and_saveexec_b32 s36, s13
	s_cbranch_execz .LBB184_47
.LBB184_79:                             ;   in Loop: Header=BB184_33 Depth=1
	ds_load_b32 v8, v5 offset:16436
	s_waitcnt lgkmcnt(0)
	v_add_nc_u32_e32 v7, v8, v7
	s_or_b32 exec_lo, exec_lo, s36
	s_and_saveexec_b32 s36, s14
	s_cbranch_execz .LBB184_48
.LBB184_80:                             ;   in Loop: Header=BB184_33 Depth=1
	ds_load_b32 v8, v5 offset:16440
	s_waitcnt lgkmcnt(0)
	v_add_nc_u32_e32 v7, v8, v7
	s_or_b32 exec_lo, exec_lo, s36
	s_and_saveexec_b32 s36, s15
	s_cbranch_execz .LBB184_49
.LBB184_81:                             ;   in Loop: Header=BB184_33 Depth=1
	ds_load_b32 v8, v5 offset:16444
	s_waitcnt lgkmcnt(0)
	v_add_nc_u32_e32 v7, v8, v7
	s_or_b32 exec_lo, exec_lo, s36
	s_and_saveexec_b32 s36, s16
	s_cbranch_execz .LBB184_50
.LBB184_82:                             ;   in Loop: Header=BB184_33 Depth=1
	ds_load_b32 v8, v5 offset:16448
	s_waitcnt lgkmcnt(0)
	v_add_nc_u32_e32 v7, v8, v7
	s_or_b32 exec_lo, exec_lo, s36
	s_and_saveexec_b32 s36, s17
	s_cbranch_execz .LBB184_51
.LBB184_83:                             ;   in Loop: Header=BB184_33 Depth=1
	ds_load_b32 v8, v5 offset:16452
	s_waitcnt lgkmcnt(0)
	v_add_nc_u32_e32 v7, v8, v7
	s_or_b32 exec_lo, exec_lo, s36
	s_and_saveexec_b32 s36, s18
	s_cbranch_execz .LBB184_52
.LBB184_84:                             ;   in Loop: Header=BB184_33 Depth=1
	ds_load_b32 v8, v5 offset:16456
	s_waitcnt lgkmcnt(0)
	v_add_nc_u32_e32 v7, v8, v7
	s_or_b32 exec_lo, exec_lo, s36
	s_and_saveexec_b32 s36, s19
	s_cbranch_execz .LBB184_53
.LBB184_85:                             ;   in Loop: Header=BB184_33 Depth=1
	ds_load_b32 v8, v5 offset:16460
	s_waitcnt lgkmcnt(0)
	v_add_nc_u32_e32 v7, v8, v7
	s_or_b32 exec_lo, exec_lo, s36
	s_and_saveexec_b32 s36, s20
	s_cbranch_execz .LBB184_54
.LBB184_86:                             ;   in Loop: Header=BB184_33 Depth=1
	ds_load_b32 v8, v5 offset:16464
	s_waitcnt lgkmcnt(0)
	v_add_nc_u32_e32 v7, v8, v7
	s_or_b32 exec_lo, exec_lo, s36
	s_and_saveexec_b32 s36, s21
	s_cbranch_execz .LBB184_55
.LBB184_87:                             ;   in Loop: Header=BB184_33 Depth=1
	ds_load_b32 v8, v5 offset:16468
	s_waitcnt lgkmcnt(0)
	v_add_nc_u32_e32 v7, v8, v7
	s_or_b32 exec_lo, exec_lo, s36
	s_and_saveexec_b32 s36, s22
	s_cbranch_execz .LBB184_56
.LBB184_88:                             ;   in Loop: Header=BB184_33 Depth=1
	ds_load_b32 v8, v5 offset:16472
	s_waitcnt lgkmcnt(0)
	v_add_nc_u32_e32 v7, v8, v7
	s_or_b32 exec_lo, exec_lo, s36
	s_and_saveexec_b32 s36, s23
	s_cbranch_execz .LBB184_57
.LBB184_89:                             ;   in Loop: Header=BB184_33 Depth=1
	ds_load_b32 v8, v5 offset:16476
	s_waitcnt lgkmcnt(0)
	v_add_nc_u32_e32 v7, v8, v7
	s_or_b32 exec_lo, exec_lo, s36
	s_and_saveexec_b32 s36, s24
	s_cbranch_execz .LBB184_58
.LBB184_90:                             ;   in Loop: Header=BB184_33 Depth=1
	ds_load_b32 v8, v5 offset:16480
	s_waitcnt lgkmcnt(0)
	v_add_nc_u32_e32 v7, v8, v7
	s_or_b32 exec_lo, exec_lo, s36
	s_and_saveexec_b32 s36, s25
	s_cbranch_execz .LBB184_59
.LBB184_91:                             ;   in Loop: Header=BB184_33 Depth=1
	ds_load_b32 v8, v5 offset:16484
	s_waitcnt lgkmcnt(0)
	v_add_nc_u32_e32 v7, v8, v7
	s_or_b32 exec_lo, exec_lo, s36
	s_and_saveexec_b32 s36, s26
	s_cbranch_execz .LBB184_60
.LBB184_92:                             ;   in Loop: Header=BB184_33 Depth=1
	ds_load_b32 v8, v5 offset:16488
	s_waitcnt lgkmcnt(0)
	v_add_nc_u32_e32 v7, v8, v7
	s_or_b32 exec_lo, exec_lo, s36
	s_and_saveexec_b32 s36, s27
	s_cbranch_execz .LBB184_61
.LBB184_93:                             ;   in Loop: Header=BB184_33 Depth=1
	ds_load_b32 v8, v5 offset:16492
	s_waitcnt lgkmcnt(0)
	v_add_nc_u32_e32 v7, v8, v7
	s_or_b32 exec_lo, exec_lo, s36
	s_and_saveexec_b32 s36, s28
	s_cbranch_execz .LBB184_62
.LBB184_94:                             ;   in Loop: Header=BB184_33 Depth=1
	ds_load_b32 v8, v5 offset:16496
	s_waitcnt lgkmcnt(0)
	v_add_nc_u32_e32 v7, v8, v7
	s_or_b32 exec_lo, exec_lo, s36
	s_and_saveexec_b32 s36, s29
	s_cbranch_execz .LBB184_63
.LBB184_95:                             ;   in Loop: Header=BB184_33 Depth=1
	ds_load_b32 v8, v5 offset:16500
	s_waitcnt lgkmcnt(0)
	v_add_nc_u32_e32 v7, v8, v7
	s_or_b32 exec_lo, exec_lo, s36
	s_and_saveexec_b32 s36, s30
	s_cbranch_execz .LBB184_64
.LBB184_96:                             ;   in Loop: Header=BB184_33 Depth=1
	ds_load_b32 v8, v5 offset:16504
	s_waitcnt lgkmcnt(0)
	v_add_nc_u32_e32 v7, v8, v7
	s_or_b32 exec_lo, exec_lo, s36
	s_and_saveexec_b32 s36, s31
	s_cbranch_execz .LBB184_65
.LBB184_97:                             ;   in Loop: Header=BB184_33 Depth=1
	s_delay_alu instid0(VALU_DEP_1) | instskip(NEXT) | instid1(VALU_DEP_1)
	v_add3_u32 v8, v6, -1, v7
	v_lshl_add_u32 v8, v8, 2, 0
	ds_store_2addr_stride64_b32 v8, v2, v3 offset1:32
	s_or_b32 exec_lo, exec_lo, s36
	s_and_saveexec_b32 s31, vcc_lo
	s_cbranch_execz .LBB184_32
.LBB184_98:                             ;   in Loop: Header=BB184_33 Depth=1
	ds_store_b32 v5, v7 offset:16508
	s_branch .LBB184_32
.LBB184_99:                             ;   in Loop: Header=BB184_100 Depth=1
	s_or_b32 exec_lo, exec_lo, s4
	v_add_co_u32 v1, vcc_lo, 0x400, v1
	v_add_co_ci_u32_e32 v2, vcc_lo, 0, v2, vcc_lo
	s_delay_alu instid0(VALU_DEP_1) | instskip(SKIP_1) | instid1(SALU_CYCLE_1)
	v_cmp_le_i64_e32 vcc_lo, s[0:1], v[1:2]
	s_or_b32 s3, vcc_lo, s3
	s_and_not1_b32 exec_lo, exec_lo, s3
	s_cbranch_execz .LBB184_30
.LBB184_100:                            ; =>This Loop Header: Depth=1
                                        ;     Child Loop BB184_102 Depth 2
	v_lshlrev_b64 v[3:4], 2, v[1:2]
	s_mov_b32 s4, 0
	s_delay_alu instid0(VALU_DEP_1) | instskip(NEXT) | instid1(VALU_DEP_2)
	v_add_co_u32 v5, vcc_lo, s38, v3
	v_add_co_ci_u32_e32 v6, vcc_lo, s39, v4, vcc_lo
	v_add_co_u32 v3, vcc_lo, s40, v3
	v_add_co_ci_u32_e32 v4, vcc_lo, s41, v4, vcc_lo
	global_load_b32 v5, v[5:6], off
	global_load_b32 v4, v[3:4], off
	s_waitcnt vmcnt(1)
	v_subrev_nc_u32_e32 v3, s47, v5
	s_delay_alu instid0(VALU_DEP_1) | instskip(SKIP_1) | instid1(VALU_DEP_1)
	v_mul_lo_u32 v5, 0x89, v3
	s_waitcnt vmcnt(0)
	v_dual_mul_f32 v4, v11, v4 :: v_dual_and_b32 v5, 0x7ff, v5
	s_branch .LBB184_102
.LBB184_101:                            ;   in Loop: Header=BB184_102 Depth=2
	s_or_b32 exec_lo, exec_lo, s5
	s_xor_b32 s5, s6, -1
	s_delay_alu instid0(SALU_CYCLE_1) | instskip(NEXT) | instid1(SALU_CYCLE_1)
	s_and_b32 s5, exec_lo, s5
	s_or_b32 s4, s5, s4
	s_delay_alu instid0(SALU_CYCLE_1)
	s_and_not1_b32 exec_lo, exec_lo, s4
	s_cbranch_execz .LBB184_99
.LBB184_102:                            ;   Parent Loop BB184_100 Depth=1
                                        ; =>  This Inner Loop Header: Depth=2
	s_delay_alu instid0(VALU_DEP_1)
	v_lshl_add_u32 v6, v5, 2, 0
	s_mov_b32 s5, exec_lo
                                        ; implicit-def: $sgpr6
	ds_load_b32 v7, v6
	s_waitcnt lgkmcnt(0)
	v_cmpx_ne_u32_e64 v7, v3
	s_xor_b32 s5, exec_lo, s5
	s_cbranch_execz .LBB184_110
; %bb.103:                              ;   in Loop: Header=BB184_102 Depth=2
	s_mov_b32 s7, exec_lo
                                        ; implicit-def: $sgpr6
	v_cmpx_ne_u32_e64 s33, v7
	s_xor_b32 s7, exec_lo, s7
; %bb.104:                              ;   in Loop: Header=BB184_102 Depth=2
	v_add_nc_u32_e32 v5, 1, v5
	s_mov_b32 s6, -1
                                        ; implicit-def: $vgpr6
	s_delay_alu instid0(VALU_DEP_1)
	v_and_b32_e32 v5, 0x7ff, v5
; %bb.105:                              ;   in Loop: Header=BB184_102 Depth=2
	s_and_not1_saveexec_b32 s7, s7
	s_cbranch_execz .LBB184_109
; %bb.106:                              ;   in Loop: Header=BB184_102 Depth=2
	v_mov_b32_e32 v7, s33
	s_mov_b32 s8, -1
	s_mov_b32 s9, exec_lo
	ds_cmpstore_rtn_b32 v7, v6, v3, v7
	s_waitcnt lgkmcnt(0)
	v_cmpx_eq_u32_e64 s33, v7
	s_cbranch_execz .LBB184_108
; %bb.107:                              ;   in Loop: Header=BB184_102 Depth=2
	ds_add_f32 v6, v4 offset:8192
	s_xor_b32 s8, exec_lo, -1
.LBB184_108:                            ;   in Loop: Header=BB184_102 Depth=2
	s_or_b32 exec_lo, exec_lo, s9
	s_delay_alu instid0(SALU_CYCLE_1) | instskip(SKIP_1) | instid1(SALU_CYCLE_1)
	s_and_not1_b32 s6, s6, exec_lo
	s_and_b32 s8, s8, exec_lo
	s_or_b32 s6, s6, s8
.LBB184_109:                            ;   in Loop: Header=BB184_102 Depth=2
	s_or_b32 exec_lo, exec_lo, s7
	s_delay_alu instid0(SALU_CYCLE_1)
	s_and_b32 s6, s6, exec_lo
                                        ; implicit-def: $vgpr6
.LBB184_110:                            ;   in Loop: Header=BB184_102 Depth=2
	s_and_not1_saveexec_b32 s5, s5
	s_cbranch_execz .LBB184_101
; %bb.111:                              ;   in Loop: Header=BB184_102 Depth=2
	ds_add_f32 v6, v4 offset:8192
	s_and_not1_b32 s6, s6, exec_lo
	s_branch .LBB184_101
.LBB184_112:
	s_or_b32 exec_lo, exec_lo, s35
	s_ashr_i32 s35, s34, 31
	s_mov_b32 s4, exec_lo
	s_lshl_b64 s[0:1], s[34:35], 3
	s_delay_alu instid0(SALU_CYCLE_1) | instskip(SKIP_4) | instid1(SALU_CYCLE_1)
	s_add_u32 s0, s42, s0
	s_addc_u32 s1, s43, s1
	s_load_b128 s[0:3], s[0:1], 0x0
	s_waitcnt lgkmcnt(0)
	s_sub_i32 s3, s2, s0
	v_cmpx_gt_i32_e64 s3, v0
	s_cbranch_execz .LBB184_122
; %bb.113:
	s_sub_u32 s4, s0, s46
	s_subb_u32 s5, s1, 0
	s_sub_i32 s0, s0, s2
	s_and_b32 s1, s3, 7
	s_cmp_lt_u32 s0, -7
	s_mov_b32 s8, 0
	s_cselect_b32 s2, -1, 0
	s_and_b32 s6, s3, -8
	s_cmp_lg_u32 s1, 0
	s_cselect_b32 s7, -1, 0
	s_branch .LBB184_115
.LBB184_114:                            ;   in Loop: Header=BB184_115 Depth=1
	s_delay_alu instid0(VALU_DEP_1) | instskip(SKIP_3) | instid1(VALU_DEP_3)
	v_lshlrev_b64 v[3:4], 2, v[3:4]
	v_add_nc_u32_e32 v0, 0x400, v0
	s_waitcnt lgkmcnt(0)
	v_add_nc_u32_e32 v1, s46, v1
	v_add_co_u32 v5, vcc_lo, s48, v3
	s_delay_alu instid0(VALU_DEP_4) | instskip(SKIP_2) | instid1(VALU_DEP_1)
	v_add_co_ci_u32_e32 v6, vcc_lo, s49, v4, vcc_lo
	v_cmp_le_i32_e32 vcc_lo, s3, v0
	v_add_co_u32 v3, s0, s50, v3
	v_add_co_ci_u32_e64 v4, s0, s51, v4, s0
	s_or_b32 s8, vcc_lo, s8
	global_store_b32 v[5:6], v1, off
	global_store_b32 v[3:4], v2, off
	s_and_not1_b32 exec_lo, exec_lo, s8
	s_cbranch_execz .LBB184_122
.LBB184_115:                            ; =>This Loop Header: Depth=1
                                        ;     Child Loop BB184_117 Depth 2
                                        ;     Child Loop BB184_121 Depth 2
	v_lshl_add_u32 v1, v0, 2, 0
	v_dual_mov_b32 v3, s4 :: v_dual_mov_b32 v4, s5
	s_and_not1_b32 vcc_lo, exec_lo, s2
	s_mov_b32 s0, 0
	ds_load_2addr_stride64_b32 v[1:2], v1 offset1:32
	s_cbranch_vccnz .LBB184_119
; %bb.116:                              ;   in Loop: Header=BB184_115 Depth=1
	v_dual_mov_b32 v3, s4 :: v_dual_mov_b32 v4, s5
	s_mov_b32 s9, 0
	s_mov_b32 s10, 0
.LBB184_117:                            ;   Parent Loop BB184_115 Depth=1
                                        ; =>  This Inner Loop Header: Depth=2
	s_delay_alu instid0(SALU_CYCLE_1)
	v_mov_b32_e32 v11, s10
	s_add_i32 s9, s9, 8
	s_add_i32 s10, s10, 32
	s_cmp_eq_u32 s6, s9
	ds_load_2addr_b32 v[5:6], v11 offset1:1
	ds_load_2addr_b32 v[7:8], v11 offset0:2 offset1:3
	ds_load_2addr_b32 v[9:10], v11 offset0:4 offset1:5
	;; [unrolled: 1-line block ×3, first 2 shown]
	s_waitcnt lgkmcnt(3)
	v_cmp_gt_i32_e32 vcc_lo, v1, v5
	v_cndmask_b32_e64 v5, 0, 1, vcc_lo
	v_cmp_gt_i32_e32 vcc_lo, v1, v6
	v_cndmask_b32_e64 v6, 0, 1, vcc_lo
	s_waitcnt lgkmcnt(2)
	v_cmp_gt_i32_e32 vcc_lo, v1, v7
	v_cndmask_b32_e64 v7, 0, 1, vcc_lo
	v_cmp_gt_i32_e32 vcc_lo, v1, v8
	v_cndmask_b32_e64 v8, 0, 1, vcc_lo
	s_waitcnt lgkmcnt(1)
	v_cmp_gt_i32_e32 vcc_lo, v1, v9
	v_cndmask_b32_e64 v9, 0, 1, vcc_lo
	v_add_co_u32 v3, vcc_lo, v3, v5
	v_add_co_ci_u32_e32 v4, vcc_lo, 0, v4, vcc_lo
	v_cmp_gt_i32_e32 vcc_lo, v1, v10
	s_delay_alu instid0(VALU_DEP_3) | instskip(NEXT) | instid1(VALU_DEP_1)
	v_add_co_u32 v3, s0, v3, v6
	v_add_co_ci_u32_e64 v4, s0, 0, v4, s0
	v_cndmask_b32_e64 v5, 0, 1, vcc_lo
	s_delay_alu instid0(VALU_DEP_3) | instskip(NEXT) | instid1(VALU_DEP_3)
	v_add_co_u32 v3, vcc_lo, v3, v7
	v_add_co_ci_u32_e32 v4, vcc_lo, 0, v4, vcc_lo
	s_waitcnt lgkmcnt(0)
	v_cmp_gt_i32_e32 vcc_lo, v1, v11
	s_delay_alu instid0(VALU_DEP_3) | instskip(NEXT) | instid1(VALU_DEP_1)
	v_add_co_u32 v3, s0, v3, v8
	v_add_co_ci_u32_e64 v4, s0, 0, v4, s0
	v_cndmask_b32_e64 v6, 0, 1, vcc_lo
	s_delay_alu instid0(VALU_DEP_3) | instskip(NEXT) | instid1(VALU_DEP_3)
	v_add_co_u32 v3, vcc_lo, v3, v9
	v_add_co_ci_u32_e32 v4, vcc_lo, 0, v4, vcc_lo
	v_cmp_gt_i32_e32 vcc_lo, v1, v12
	s_delay_alu instid0(VALU_DEP_3) | instskip(NEXT) | instid1(VALU_DEP_1)
	v_add_co_u32 v3, s0, v3, v5
	v_add_co_ci_u32_e64 v4, s0, 0, v4, s0
	v_cndmask_b32_e64 v5, 0, 1, vcc_lo
	s_delay_alu instid0(VALU_DEP_3) | instskip(NEXT) | instid1(VALU_DEP_3)
	v_add_co_u32 v3, vcc_lo, v3, v6
	v_add_co_ci_u32_e32 v4, vcc_lo, 0, v4, vcc_lo
	s_delay_alu instid0(VALU_DEP_2) | instskip(NEXT) | instid1(VALU_DEP_2)
	v_add_co_u32 v3, vcc_lo, v3, v5
	v_add_co_ci_u32_e32 v4, vcc_lo, 0, v4, vcc_lo
	s_cbranch_scc0 .LBB184_117
; %bb.118:                              ;   in Loop: Header=BB184_115 Depth=1
	s_mov_b32 s0, s6
.LBB184_119:                            ;   in Loop: Header=BB184_115 Depth=1
	s_and_not1_b32 vcc_lo, exec_lo, s7
	s_cbranch_vccnz .LBB184_114
; %bb.120:                              ;   in Loop: Header=BB184_115 Depth=1
	s_lshl_b32 s0, s0, 2
	s_mov_b32 s9, s1
	s_add_i32 s0, s0, 0
.LBB184_121:                            ;   Parent Loop BB184_115 Depth=1
                                        ; =>  This Inner Loop Header: Depth=2
	s_delay_alu instid0(SALU_CYCLE_1)
	v_mov_b32_e32 v5, s0
	s_add_i32 s9, s9, -1
	s_add_i32 s0, s0, 4
	s_cmp_lg_u32 s9, 0
	ds_load_b32 v5, v5
	s_waitcnt lgkmcnt(0)
	v_cmp_gt_i32_e32 vcc_lo, v1, v5
	v_cndmask_b32_e64 v5, 0, 1, vcc_lo
	s_delay_alu instid0(VALU_DEP_1)
	v_add_co_u32 v3, vcc_lo, v3, v5
	v_add_co_ci_u32_e32 v4, vcc_lo, 0, v4, vcc_lo
	s_cbranch_scc1 .LBB184_121
	s_branch .LBB184_114
.LBB184_122:
	s_nop 0
	s_sendmsg sendmsg(MSG_DEALLOC_VGPRS)
	s_endpgm
	.section	.rodata,"a",@progbits
	.p2align	6, 0x0
	.amdhsa_kernel _ZN9rocsparseL26csrgemm_fill_block_per_rowILj1024ELj32ELj2048ELj137ELj32ElifEEvT5_PKS1_S3_NS_24const_host_device_scalarIT6_EEPKT4_S3_PKS5_S9_S3_SB_S6_S9_S3_SB_S9_PS1_PS5_21rocsparse_index_base_SE_SE_SE_bbb
		.amdhsa_group_segment_fixed_size 0
		.amdhsa_private_segment_fixed_size 0
		.amdhsa_kernarg_size 156
		.amdhsa_user_sgpr_count 15
		.amdhsa_user_sgpr_dispatch_ptr 0
		.amdhsa_user_sgpr_queue_ptr 0
		.amdhsa_user_sgpr_kernarg_segment_ptr 1
		.amdhsa_user_sgpr_dispatch_id 0
		.amdhsa_user_sgpr_private_segment_size 0
		.amdhsa_wavefront_size32 1
		.amdhsa_uses_dynamic_stack 0
		.amdhsa_enable_private_segment 0
		.amdhsa_system_sgpr_workgroup_id_x 1
		.amdhsa_system_sgpr_workgroup_id_y 0
		.amdhsa_system_sgpr_workgroup_id_z 0
		.amdhsa_system_sgpr_workgroup_info 0
		.amdhsa_system_vgpr_workitem_id 0
		.amdhsa_next_free_vgpr 20
		.amdhsa_next_free_sgpr 52
		.amdhsa_reserve_vcc 1
		.amdhsa_float_round_mode_32 0
		.amdhsa_float_round_mode_16_64 0
		.amdhsa_float_denorm_mode_32 3
		.amdhsa_float_denorm_mode_16_64 3
		.amdhsa_dx10_clamp 1
		.amdhsa_ieee_mode 1
		.amdhsa_fp16_overflow 0
		.amdhsa_workgroup_processor_mode 1
		.amdhsa_memory_ordered 1
		.amdhsa_forward_progress 0
		.amdhsa_shared_vgpr_count 0
		.amdhsa_exception_fp_ieee_invalid_op 0
		.amdhsa_exception_fp_denorm_src 0
		.amdhsa_exception_fp_ieee_div_zero 0
		.amdhsa_exception_fp_ieee_overflow 0
		.amdhsa_exception_fp_ieee_underflow 0
		.amdhsa_exception_fp_ieee_inexact 0
		.amdhsa_exception_int_div_zero 0
	.end_amdhsa_kernel
	.section	.text._ZN9rocsparseL26csrgemm_fill_block_per_rowILj1024ELj32ELj2048ELj137ELj32ElifEEvT5_PKS1_S3_NS_24const_host_device_scalarIT6_EEPKT4_S3_PKS5_S9_S3_SB_S6_S9_S3_SB_S9_PS1_PS5_21rocsparse_index_base_SE_SE_SE_bbb,"axG",@progbits,_ZN9rocsparseL26csrgemm_fill_block_per_rowILj1024ELj32ELj2048ELj137ELj32ElifEEvT5_PKS1_S3_NS_24const_host_device_scalarIT6_EEPKT4_S3_PKS5_S9_S3_SB_S6_S9_S3_SB_S9_PS1_PS5_21rocsparse_index_base_SE_SE_SE_bbb,comdat
.Lfunc_end184:
	.size	_ZN9rocsparseL26csrgemm_fill_block_per_rowILj1024ELj32ELj2048ELj137ELj32ElifEEvT5_PKS1_S3_NS_24const_host_device_scalarIT6_EEPKT4_S3_PKS5_S9_S3_SB_S6_S9_S3_SB_S9_PS1_PS5_21rocsparse_index_base_SE_SE_SE_bbb, .Lfunc_end184-_ZN9rocsparseL26csrgemm_fill_block_per_rowILj1024ELj32ELj2048ELj137ELj32ElifEEvT5_PKS1_S3_NS_24const_host_device_scalarIT6_EEPKT4_S3_PKS5_S9_S3_SB_S6_S9_S3_SB_S9_PS1_PS5_21rocsparse_index_base_SE_SE_SE_bbb
                                        ; -- End function
	.section	.AMDGPU.csdata,"",@progbits
; Kernel info:
; codeLenInByte = 4120
; NumSgprs: 54
; NumVgprs: 20
; ScratchSize: 0
; MemoryBound: 0
; FloatMode: 240
; IeeeMode: 1
; LDSByteSize: 0 bytes/workgroup (compile time only)
; SGPRBlocks: 6
; VGPRBlocks: 2
; NumSGPRsForWavesPerEU: 54
; NumVGPRsForWavesPerEU: 20
; Occupancy: 16
; WaveLimiterHint : 1
; COMPUTE_PGM_RSRC2:SCRATCH_EN: 0
; COMPUTE_PGM_RSRC2:USER_SGPR: 15
; COMPUTE_PGM_RSRC2:TRAP_HANDLER: 0
; COMPUTE_PGM_RSRC2:TGID_X_EN: 1
; COMPUTE_PGM_RSRC2:TGID_Y_EN: 0
; COMPUTE_PGM_RSRC2:TGID_Z_EN: 0
; COMPUTE_PGM_RSRC2:TIDIG_COMP_CNT: 0
	.section	.text._ZN9rocsparseL26csrgemm_fill_block_per_rowILj1024ELj32ELj2048ELj137ELj64ElifEEvT5_PKS1_S3_NS_24const_host_device_scalarIT6_EEPKT4_S3_PKS5_S9_S3_SB_S6_S9_S3_SB_S9_PS1_PS5_21rocsparse_index_base_SE_SE_SE_bbb,"axG",@progbits,_ZN9rocsparseL26csrgemm_fill_block_per_rowILj1024ELj32ELj2048ELj137ELj64ElifEEvT5_PKS1_S3_NS_24const_host_device_scalarIT6_EEPKT4_S3_PKS5_S9_S3_SB_S6_S9_S3_SB_S9_PS1_PS5_21rocsparse_index_base_SE_SE_SE_bbb,comdat
	.globl	_ZN9rocsparseL26csrgemm_fill_block_per_rowILj1024ELj32ELj2048ELj137ELj64ElifEEvT5_PKS1_S3_NS_24const_host_device_scalarIT6_EEPKT4_S3_PKS5_S9_S3_SB_S6_S9_S3_SB_S9_PS1_PS5_21rocsparse_index_base_SE_SE_SE_bbb ; -- Begin function _ZN9rocsparseL26csrgemm_fill_block_per_rowILj1024ELj32ELj2048ELj137ELj64ElifEEvT5_PKS1_S3_NS_24const_host_device_scalarIT6_EEPKT4_S3_PKS5_S9_S3_SB_S6_S9_S3_SB_S9_PS1_PS5_21rocsparse_index_base_SE_SE_SE_bbb
	.p2align	8
	.type	_ZN9rocsparseL26csrgemm_fill_block_per_rowILj1024ELj32ELj2048ELj137ELj64ElifEEvT5_PKS1_S3_NS_24const_host_device_scalarIT6_EEPKT4_S3_PKS5_S9_S3_SB_S6_S9_S3_SB_S9_PS1_PS5_21rocsparse_index_base_SE_SE_SE_bbb,@function
_ZN9rocsparseL26csrgemm_fill_block_per_rowILj1024ELj32ELj2048ELj137ELj64ElifEEvT5_PKS1_S3_NS_24const_host_device_scalarIT6_EEPKT4_S3_PKS5_S9_S3_SB_S6_S9_S3_SB_S9_PS1_PS5_21rocsparse_index_base_SE_SE_SE_bbb: ; @_ZN9rocsparseL26csrgemm_fill_block_per_rowILj1024ELj32ELj2048ELj137ELj64ElifEEvT5_PKS1_S3_NS_24const_host_device_scalarIT6_EEPKT4_S3_PKS5_S9_S3_SB_S6_S9_S3_SB_S9_PS1_PS5_21rocsparse_index_base_SE_SE_SE_bbb
; %bb.0:
	s_clause 0x3
	s_load_b32 s12, s[0:1], 0x98
	s_load_b128 s[24:27], s[0:1], 0x88
	s_load_b64 s[4:5], s[0:1], 0x18
	s_load_b64 s[2:3], s[0:1], 0x50
	s_waitcnt lgkmcnt(0)
	s_bitcmp1_b32 s12, 0
	s_cselect_b32 s13, -1, 0
	s_bitcmp1_b32 s12, 16
	s_cselect_b32 s14, -1, 0
	s_xor_b32 s6, s13, -1
	s_delay_alu instid0(SALU_CYCLE_1) | instskip(NEXT) | instid1(SALU_CYCLE_1)
	s_or_b32 s6, s6, s14
	s_and_b32 vcc_lo, exec_lo, s6
	s_cbranch_vccnz .LBB185_2
; %bb.1:
	s_load_b32 s4, s[4:5], 0x0
	s_waitcnt lgkmcnt(0)
	v_mov_b32_e32 v12, s4
	s_branch .LBB185_3
.LBB185_2:
	v_cndmask_b32_e64 v12, 0, s4, s13
.LBB185_3:
	s_clause 0x4
	s_load_b128 s[28:31], s[0:1], 0x78
	s_load_b256 s[16:23], s[0:1], 0x58
	s_load_b128 s[36:39], s[0:1], 0x40
	s_load_b128 s[40:43], s[0:1], 0x8
	s_load_b256 s[4:11], s[0:1], 0x20
	s_bitcmp1_b32 s12, 8
	s_cselect_b32 s12, -1, 0
	s_delay_alu instid0(SALU_CYCLE_1) | instskip(NEXT) | instid1(SALU_CYCLE_1)
	s_xor_b32 s33, s12, -1
	s_or_b32 s14, s33, s14
	s_delay_alu instid0(SALU_CYCLE_1)
	s_and_b32 vcc_lo, exec_lo, s14
	s_cbranch_vccnz .LBB185_5
; %bb.4:
	s_load_b32 s2, s[2:3], 0x0
	s_waitcnt lgkmcnt(0)
	v_mov_b32_e32 v11, s2
	s_branch .LBB185_6
.LBB185_5:
	v_cndmask_b32_e64 v11, 0, s2, s12
.LBB185_6:
	s_load_b32 s33, s[0:1], 0x0
	v_lshl_add_u32 v9, v0, 2, 0
	v_or_b32_e32 v10, 0xfffffc00, v0
	v_mov_b32_e32 v1, 0
	s_mov_b32 s0, 0
	s_delay_alu instid0(VALU_DEP_3)
	v_mov_b32_e32 v2, v9
	s_waitcnt lgkmcnt(0)
	v_dual_mov_b32 v4, v10 :: v_dual_mov_b32 v3, s33
.LBB185_7:                              ; =>This Inner Loop Header: Depth=1
	s_delay_alu instid0(VALU_DEP_1) | instskip(NEXT) | instid1(VALU_DEP_1)
	v_add_co_u32 v4, s1, 0x400, v4
	s_xor_b32 s1, s1, -1
	ds_store_2addr_stride64_b32 v2, v3, v1 offset1:32
	v_add_nc_u32_e32 v2, 0x1000, v2
	s_and_b32 s1, exec_lo, s1
	s_delay_alu instid0(SALU_CYCLE_1) | instskip(NEXT) | instid1(SALU_CYCLE_1)
	s_or_b32 s0, s1, s0
	s_and_not1_b32 exec_lo, exec_lo, s0
	s_cbranch_execnz .LBB185_7
; %bb.8:
	s_or_b32 exec_lo, exec_lo, s0
	s_waitcnt lgkmcnt(0)
	s_barrier
	buffer_gl0_inv
	s_load_b32 s0, s[40:41], 0x0
	s_mov_b32 s1, 0
	s_waitcnt lgkmcnt(0)
	s_add_i32 s0, s0, s15
	s_delay_alu instid0(SALU_CYCLE_1) | instskip(NEXT) | instid1(SALU_CYCLE_1)
	s_lshl_b64 s[0:1], s[0:1], 2
	s_add_u32 s0, s42, s0
	s_addc_u32 s1, s43, s1
	s_and_b32 vcc_lo, exec_lo, s13
	s_load_b32 s34, s[0:1], 0x0
	s_cbranch_vccz .LBB185_28
; %bb.9:
	s_waitcnt lgkmcnt(0)
	s_ashr_i32 s35, s34, 31
	v_lshrrev_b32_e32 v1, 5, v0
	s_lshl_b64 s[0:1], s[34:35], 3
	s_delay_alu instid0(SALU_CYCLE_1) | instskip(SKIP_1) | instid1(VALU_DEP_1)
	s_add_u32 s0, s4, s0
	s_addc_u32 s1, s5, s1
	v_sub_co_u32 v1, s4, v1, s24
	s_load_b128 s[0:3], s[0:1], 0x0
	v_sub_co_ci_u32_e64 v2, null, 0, 0, s4
	s_waitcnt lgkmcnt(0)
	s_delay_alu instid0(VALU_DEP_2) | instskip(NEXT) | instid1(VALU_DEP_2)
	v_add_co_u32 v1, vcc_lo, s0, v1
	v_add_co_ci_u32_e32 v2, vcc_lo, s1, v2, vcc_lo
	s_sub_u32 s0, s2, s24
	s_subb_u32 s1, s3, 0
	s_mov_b32 s2, exec_lo
	s_delay_alu instid0(VALU_DEP_1)
	v_cmpx_gt_i64_e64 s[0:1], v[1:2]
	s_cbranch_execz .LBB185_27
; %bb.10:
	v_and_b32_e32 v3, 31, v0
	s_mov_b32 s4, s25
	s_delay_alu instid0(VALU_DEP_1) | instskip(NEXT) | instid1(VALU_DEP_1)
	v_sub_co_u32 v13, s3, v3, s25
	v_sub_co_ci_u32_e64 v14, null, 0, 0, s3
	s_mov_b32 s3, 0
	s_branch .LBB185_12
.LBB185_11:                             ;   in Loop: Header=BB185_12 Depth=1
	s_or_b32 exec_lo, exec_lo, s5
	v_add_co_u32 v1, vcc_lo, v1, 32
	v_add_co_ci_u32_e32 v2, vcc_lo, 0, v2, vcc_lo
	s_delay_alu instid0(VALU_DEP_1) | instskip(SKIP_1) | instid1(SALU_CYCLE_1)
	v_cmp_le_i64_e32 vcc_lo, s[0:1], v[1:2]
	s_or_b32 s3, vcc_lo, s3
	s_and_not1_b32 exec_lo, exec_lo, s3
	s_cbranch_execz .LBB185_27
.LBB185_12:                             ; =>This Loop Header: Depth=1
                                        ;     Child Loop BB185_15 Depth 2
                                        ;       Child Loop BB185_17 Depth 3
	v_lshlrev_b64 v[7:8], 2, v[1:2]
	s_mov_b32 s5, exec_lo
	s_delay_alu instid0(VALU_DEP_1) | instskip(NEXT) | instid1(VALU_DEP_2)
	v_add_co_u32 v3, vcc_lo, s6, v7
	v_add_co_ci_u32_e32 v4, vcc_lo, s7, v8, vcc_lo
	global_load_b32 v3, v[3:4], off
	s_waitcnt vmcnt(0)
	v_subrev_nc_u32_e32 v3, s24, v3
	s_delay_alu instid0(VALU_DEP_1) | instskip(NEXT) | instid1(VALU_DEP_1)
	v_ashrrev_i32_e32 v4, 31, v3
	v_lshlrev_b64 v[3:4], 3, v[3:4]
	s_delay_alu instid0(VALU_DEP_1) | instskip(NEXT) | instid1(VALU_DEP_2)
	v_add_co_u32 v3, vcc_lo, s10, v3
	v_add_co_ci_u32_e32 v4, vcc_lo, s11, v4, vcc_lo
	global_load_b128 v[15:18], v[3:4], off
	s_waitcnt vmcnt(0)
	v_sub_co_u32 v3, vcc_lo, v17, s4
	v_subrev_co_ci_u32_e32 v4, vcc_lo, 0, v18, vcc_lo
	v_add_co_u32 v5, vcc_lo, v15, v13
	v_add_co_ci_u32_e32 v6, vcc_lo, v16, v14, vcc_lo
	s_delay_alu instid0(VALU_DEP_1)
	v_cmpx_lt_i64_e64 v[5:6], v[3:4]
	s_cbranch_execz .LBB185_11
; %bb.13:                               ;   in Loop: Header=BB185_12 Depth=1
	v_add_co_u32 v7, vcc_lo, s8, v7
	v_add_co_ci_u32_e32 v8, vcc_lo, s9, v8, vcc_lo
	s_mov_b32 s13, 0
	global_load_b32 v7, v[7:8], off
	s_waitcnt vmcnt(0)
	v_mul_f32_e32 v7, v12, v7
	s_branch .LBB185_15
.LBB185_14:                             ;   in Loop: Header=BB185_15 Depth=2
	s_or_b32 exec_lo, exec_lo, s14
	v_add_co_u32 v5, vcc_lo, v5, 32
	v_add_co_ci_u32_e32 v6, vcc_lo, 0, v6, vcc_lo
	s_delay_alu instid0(VALU_DEP_1) | instskip(SKIP_1) | instid1(SALU_CYCLE_1)
	v_cmp_ge_i64_e32 vcc_lo, v[5:6], v[3:4]
	s_or_b32 s13, vcc_lo, s13
	s_and_not1_b32 exec_lo, exec_lo, s13
	s_cbranch_execz .LBB185_11
.LBB185_15:                             ;   Parent Loop BB185_12 Depth=1
                                        ; =>  This Loop Header: Depth=2
                                        ;       Child Loop BB185_17 Depth 3
	v_lshlrev_b64 v[15:16], 2, v[5:6]
	s_mov_b32 s14, 0
	s_delay_alu instid0(VALU_DEP_1) | instskip(NEXT) | instid1(VALU_DEP_2)
	v_add_co_u32 v17, vcc_lo, s36, v15
	v_add_co_ci_u32_e32 v18, vcc_lo, s37, v16, vcc_lo
	v_add_co_u32 v15, vcc_lo, s38, v15
	v_add_co_ci_u32_e32 v16, vcc_lo, s39, v16, vcc_lo
	global_load_b32 v8, v[17:18], off
	global_load_b32 v15, v[15:16], off
	s_waitcnt vmcnt(1)
	v_subrev_nc_u32_e32 v8, s25, v8
	s_delay_alu instid0(VALU_DEP_1) | instskip(SKIP_1) | instid1(VALU_DEP_1)
	v_mul_lo_u32 v16, 0x89, v8
	s_waitcnt vmcnt(0)
	v_dual_mul_f32 v15, v7, v15 :: v_dual_and_b32 v16, 0x7ff, v16
	s_branch .LBB185_17
.LBB185_16:                             ;   in Loop: Header=BB185_17 Depth=3
	s_or_b32 exec_lo, exec_lo, s15
	s_xor_b32 s15, s35, -1
	s_delay_alu instid0(SALU_CYCLE_1) | instskip(NEXT) | instid1(SALU_CYCLE_1)
	s_and_b32 s15, exec_lo, s15
	s_or_b32 s14, s15, s14
	s_delay_alu instid0(SALU_CYCLE_1)
	s_and_not1_b32 exec_lo, exec_lo, s14
	s_cbranch_execz .LBB185_14
.LBB185_17:                             ;   Parent Loop BB185_12 Depth=1
                                        ;     Parent Loop BB185_15 Depth=2
                                        ; =>    This Inner Loop Header: Depth=3
	s_delay_alu instid0(VALU_DEP_1)
	v_lshl_add_u32 v17, v16, 2, 0
	s_mov_b32 s15, exec_lo
                                        ; implicit-def: $sgpr35
	ds_load_b32 v18, v17
	s_waitcnt lgkmcnt(0)
	v_cmpx_ne_u32_e64 v18, v8
	s_xor_b32 s15, exec_lo, s15
	s_cbranch_execz .LBB185_25
; %bb.18:                               ;   in Loop: Header=BB185_17 Depth=3
	s_mov_b32 s40, exec_lo
                                        ; implicit-def: $sgpr35
	v_cmpx_ne_u32_e64 s33, v18
	s_xor_b32 s40, exec_lo, s40
; %bb.19:                               ;   in Loop: Header=BB185_17 Depth=3
	v_add_nc_u32_e32 v16, 1, v16
	s_mov_b32 s35, -1
                                        ; implicit-def: $vgpr17
	s_delay_alu instid0(VALU_DEP_1)
	v_and_b32_e32 v16, 0x7ff, v16
; %bb.20:                               ;   in Loop: Header=BB185_17 Depth=3
	s_and_not1_saveexec_b32 s40, s40
	s_cbranch_execz .LBB185_24
; %bb.21:                               ;   in Loop: Header=BB185_17 Depth=3
	v_mov_b32_e32 v18, s33
	s_mov_b32 s41, -1
	s_mov_b32 s42, exec_lo
	ds_cmpstore_rtn_b32 v18, v17, v8, v18
	s_waitcnt lgkmcnt(0)
	v_cmpx_eq_u32_e64 s33, v18
	s_cbranch_execz .LBB185_23
; %bb.22:                               ;   in Loop: Header=BB185_17 Depth=3
	ds_add_f32 v17, v15 offset:8192
	s_xor_b32 s41, exec_lo, -1
.LBB185_23:                             ;   in Loop: Header=BB185_17 Depth=3
	s_or_b32 exec_lo, exec_lo, s42
	s_delay_alu instid0(SALU_CYCLE_1) | instskip(SKIP_1) | instid1(SALU_CYCLE_1)
	s_and_not1_b32 s35, s35, exec_lo
	s_and_b32 s41, s41, exec_lo
	s_or_b32 s35, s35, s41
.LBB185_24:                             ;   in Loop: Header=BB185_17 Depth=3
	s_or_b32 exec_lo, exec_lo, s40
	s_delay_alu instid0(SALU_CYCLE_1)
	s_and_b32 s35, s35, exec_lo
                                        ; implicit-def: $vgpr17
.LBB185_25:                             ;   in Loop: Header=BB185_17 Depth=3
	s_and_not1_saveexec_b32 s15, s15
	s_cbranch_execz .LBB185_16
; %bb.26:                               ;   in Loop: Header=BB185_17 Depth=3
	ds_add_f32 v17, v15 offset:8192
	s_and_not1_b32 s35, s35, exec_lo
	s_branch .LBB185_16
.LBB185_27:
	s_or_b32 exec_lo, exec_lo, s2
.LBB185_28:
	s_delay_alu instid0(SALU_CYCLE_1)
	s_and_not1_b32 vcc_lo, exec_lo, s12
	s_cbranch_vccnz .LBB185_31
; %bb.29:
	s_waitcnt lgkmcnt(0)
	s_ashr_i32 s35, s34, 31
	v_sub_co_u32 v1, s4, v0, s27
	s_lshl_b64 s[0:1], s[34:35], 3
	v_sub_co_ci_u32_e64 v2, null, 0, 0, s4
	s_add_u32 s0, s16, s0
	s_addc_u32 s1, s17, s1
	s_load_b128 s[0:3], s[0:1], 0x0
	s_waitcnt lgkmcnt(0)
	v_add_co_u32 v1, vcc_lo, s0, v1
	v_add_co_ci_u32_e32 v2, vcc_lo, s1, v2, vcc_lo
	s_sub_u32 s0, s2, s27
	s_subb_u32 s1, s3, 0
	s_mov_b32 s3, 0
	s_mov_b32 s2, exec_lo
	v_cmpx_gt_i64_e64 s[0:1], v[1:2]
	s_cbranch_execnz .LBB185_68
.LBB185_30:
	s_or_b32 exec_lo, exec_lo, s2
.LBB185_31:
	v_mbcnt_lo_u32_b32 v1, -1, 0
	v_lshrrev_b32_e32 v2, 4, v0
	v_cmp_eq_u32_e32 vcc_lo, 0x3ff, v0
	v_cmp_lt_u32_e64 s0, 63, v0
	v_cmp_lt_u32_e64 s1, 0x7f, v0
	v_xor_b32_e32 v1, 63, v1
	v_dual_mov_b32 v6, 0 :: v_dual_and_b32 v3, 60, v2
	v_cmp_lt_u32_e64 s2, 0xbf, v0
	v_cmp_lt_u32_e64 s3, 0xff, v0
	s_delay_alu instid0(VALU_DEP_4) | instskip(NEXT) | instid1(VALU_DEP_4)
	v_lshrrev_b64 v[1:2], v1, -1
	v_dual_mov_b32 v5, 0 :: v_dual_add_nc_u32 v4, 0, v3
	v_cmp_lt_u32_e64 s4, 0x13f, v0
	v_cmp_lt_u32_e64 s5, 0x17f, v0
	;; [unrolled: 1-line block ×11, first 2 shown]
	s_mov_b32 s16, 0
	s_waitcnt lgkmcnt(0)
	s_barrier
	buffer_gl0_inv
	s_branch .LBB185_33
.LBB185_32:                             ;   in Loop: Header=BB185_33 Depth=1
	s_or_b32 exec_lo, exec_lo, s15
	s_waitcnt lgkmcnt(0)
	s_barrier
	buffer_gl0_inv
	ds_load_b32 v2, v5 offset:16444
	v_add_co_u32 v10, s15, 0x400, v10
	s_delay_alu instid0(VALU_DEP_1) | instskip(SKIP_2) | instid1(SALU_CYCLE_1)
	s_xor_b32 s15, s15, -1
	v_add_nc_u32_e32 v9, 0x1000, v9
	s_and_b32 s15, exec_lo, s15
	s_or_b32 s16, s15, s16
	s_waitcnt lgkmcnt(0)
	v_add_nc_u32_e32 v6, v2, v6
	s_and_not1_b32 exec_lo, exec_lo, s16
	s_cbranch_execz .LBB185_80
.LBB185_33:                             ; =>This Inner Loop Header: Depth=1
	ds_load_2addr_stride64_b32 v[2:3], v9 offset1:32
	s_waitcnt lgkmcnt(0)
	s_barrier
	buffer_gl0_inv
	v_cmp_gt_i32_e64 s15, s33, v2
	s_delay_alu instid0(VALU_DEP_1) | instskip(NEXT) | instid1(SALU_CYCLE_1)
	s_bcnt1_i32_b32 s17, s15
	v_dual_mov_b32 v8, s17 :: v_dual_and_b32 v7, s15, v1
	s_delay_alu instid0(VALU_DEP_1)
	v_bcnt_u32_b32 v7, v7, 0
	ds_store_b32 v4, v8 offset:16384
	s_waitcnt lgkmcnt(0)
	s_barrier
	buffer_gl0_inv
	s_and_saveexec_b32 s17, s0
	s_cbranch_execnz .LBB185_50
; %bb.34:                               ;   in Loop: Header=BB185_33 Depth=1
	s_or_b32 exec_lo, exec_lo, s17
	s_and_saveexec_b32 s17, s1
	s_cbranch_execnz .LBB185_51
.LBB185_35:                             ;   in Loop: Header=BB185_33 Depth=1
	s_or_b32 exec_lo, exec_lo, s17
	s_and_saveexec_b32 s17, s2
	s_cbranch_execnz .LBB185_52
.LBB185_36:                             ;   in Loop: Header=BB185_33 Depth=1
	s_or_b32 exec_lo, exec_lo, s17
	s_and_saveexec_b32 s17, s3
	s_cbranch_execnz .LBB185_53
.LBB185_37:                             ;   in Loop: Header=BB185_33 Depth=1
	s_or_b32 exec_lo, exec_lo, s17
	s_and_saveexec_b32 s17, s4
	s_cbranch_execnz .LBB185_54
.LBB185_38:                             ;   in Loop: Header=BB185_33 Depth=1
	s_or_b32 exec_lo, exec_lo, s17
	s_and_saveexec_b32 s17, s5
	s_cbranch_execnz .LBB185_55
.LBB185_39:                             ;   in Loop: Header=BB185_33 Depth=1
	s_or_b32 exec_lo, exec_lo, s17
	s_and_saveexec_b32 s17, s6
	s_cbranch_execnz .LBB185_56
.LBB185_40:                             ;   in Loop: Header=BB185_33 Depth=1
	s_or_b32 exec_lo, exec_lo, s17
	s_and_saveexec_b32 s17, s7
	s_cbranch_execnz .LBB185_57
.LBB185_41:                             ;   in Loop: Header=BB185_33 Depth=1
	s_or_b32 exec_lo, exec_lo, s17
	s_and_saveexec_b32 s17, s8
	s_cbranch_execnz .LBB185_58
.LBB185_42:                             ;   in Loop: Header=BB185_33 Depth=1
	s_or_b32 exec_lo, exec_lo, s17
	s_and_saveexec_b32 s17, s9
	s_cbranch_execnz .LBB185_59
.LBB185_43:                             ;   in Loop: Header=BB185_33 Depth=1
	s_or_b32 exec_lo, exec_lo, s17
	s_and_saveexec_b32 s17, s10
	s_cbranch_execnz .LBB185_60
.LBB185_44:                             ;   in Loop: Header=BB185_33 Depth=1
	s_or_b32 exec_lo, exec_lo, s17
	s_and_saveexec_b32 s17, s11
	s_cbranch_execnz .LBB185_61
.LBB185_45:                             ;   in Loop: Header=BB185_33 Depth=1
	s_or_b32 exec_lo, exec_lo, s17
	s_and_saveexec_b32 s17, s12
	s_cbranch_execnz .LBB185_62
.LBB185_46:                             ;   in Loop: Header=BB185_33 Depth=1
	s_or_b32 exec_lo, exec_lo, s17
	s_and_saveexec_b32 s17, s13
	s_cbranch_execnz .LBB185_63
.LBB185_47:                             ;   in Loop: Header=BB185_33 Depth=1
	s_or_b32 exec_lo, exec_lo, s17
	s_and_saveexec_b32 s17, s14
	s_cbranch_execnz .LBB185_64
.LBB185_48:                             ;   in Loop: Header=BB185_33 Depth=1
	s_or_b32 exec_lo, exec_lo, s17
	s_and_saveexec_b32 s17, s15
	s_cbranch_execnz .LBB185_65
.LBB185_49:                             ;   in Loop: Header=BB185_33 Depth=1
	s_or_b32 exec_lo, exec_lo, s17
	s_and_saveexec_b32 s15, vcc_lo
	s_cbranch_execz .LBB185_32
	s_branch .LBB185_66
.LBB185_50:                             ;   in Loop: Header=BB185_33 Depth=1
	ds_load_b32 v8, v5 offset:16384
	s_waitcnt lgkmcnt(0)
	v_add_nc_u32_e32 v7, v8, v7
	s_or_b32 exec_lo, exec_lo, s17
	s_and_saveexec_b32 s17, s1
	s_cbranch_execz .LBB185_35
.LBB185_51:                             ;   in Loop: Header=BB185_33 Depth=1
	ds_load_b32 v8, v5 offset:16388
	s_waitcnt lgkmcnt(0)
	v_add_nc_u32_e32 v7, v8, v7
	s_or_b32 exec_lo, exec_lo, s17
	s_and_saveexec_b32 s17, s2
	s_cbranch_execz .LBB185_36
.LBB185_52:                             ;   in Loop: Header=BB185_33 Depth=1
	ds_load_b32 v8, v5 offset:16392
	s_waitcnt lgkmcnt(0)
	v_add_nc_u32_e32 v7, v8, v7
	s_or_b32 exec_lo, exec_lo, s17
	s_and_saveexec_b32 s17, s3
	s_cbranch_execz .LBB185_37
.LBB185_53:                             ;   in Loop: Header=BB185_33 Depth=1
	ds_load_b32 v8, v5 offset:16396
	s_waitcnt lgkmcnt(0)
	v_add_nc_u32_e32 v7, v8, v7
	s_or_b32 exec_lo, exec_lo, s17
	s_and_saveexec_b32 s17, s4
	s_cbranch_execz .LBB185_38
.LBB185_54:                             ;   in Loop: Header=BB185_33 Depth=1
	ds_load_b32 v8, v5 offset:16400
	s_waitcnt lgkmcnt(0)
	v_add_nc_u32_e32 v7, v8, v7
	s_or_b32 exec_lo, exec_lo, s17
	s_and_saveexec_b32 s17, s5
	s_cbranch_execz .LBB185_39
.LBB185_55:                             ;   in Loop: Header=BB185_33 Depth=1
	ds_load_b32 v8, v5 offset:16404
	s_waitcnt lgkmcnt(0)
	v_add_nc_u32_e32 v7, v8, v7
	s_or_b32 exec_lo, exec_lo, s17
	s_and_saveexec_b32 s17, s6
	s_cbranch_execz .LBB185_40
.LBB185_56:                             ;   in Loop: Header=BB185_33 Depth=1
	ds_load_b32 v8, v5 offset:16408
	s_waitcnt lgkmcnt(0)
	v_add_nc_u32_e32 v7, v8, v7
	s_or_b32 exec_lo, exec_lo, s17
	s_and_saveexec_b32 s17, s7
	s_cbranch_execz .LBB185_41
.LBB185_57:                             ;   in Loop: Header=BB185_33 Depth=1
	ds_load_b32 v8, v5 offset:16412
	s_waitcnt lgkmcnt(0)
	v_add_nc_u32_e32 v7, v8, v7
	s_or_b32 exec_lo, exec_lo, s17
	s_and_saveexec_b32 s17, s8
	s_cbranch_execz .LBB185_42
.LBB185_58:                             ;   in Loop: Header=BB185_33 Depth=1
	ds_load_b32 v8, v5 offset:16416
	s_waitcnt lgkmcnt(0)
	v_add_nc_u32_e32 v7, v8, v7
	s_or_b32 exec_lo, exec_lo, s17
	s_and_saveexec_b32 s17, s9
	s_cbranch_execz .LBB185_43
.LBB185_59:                             ;   in Loop: Header=BB185_33 Depth=1
	ds_load_b32 v8, v5 offset:16420
	s_waitcnt lgkmcnt(0)
	v_add_nc_u32_e32 v7, v8, v7
	s_or_b32 exec_lo, exec_lo, s17
	s_and_saveexec_b32 s17, s10
	s_cbranch_execz .LBB185_44
.LBB185_60:                             ;   in Loop: Header=BB185_33 Depth=1
	ds_load_b32 v8, v5 offset:16424
	s_waitcnt lgkmcnt(0)
	v_add_nc_u32_e32 v7, v8, v7
	s_or_b32 exec_lo, exec_lo, s17
	s_and_saveexec_b32 s17, s11
	s_cbranch_execz .LBB185_45
.LBB185_61:                             ;   in Loop: Header=BB185_33 Depth=1
	ds_load_b32 v8, v5 offset:16428
	s_waitcnt lgkmcnt(0)
	v_add_nc_u32_e32 v7, v8, v7
	s_or_b32 exec_lo, exec_lo, s17
	s_and_saveexec_b32 s17, s12
	s_cbranch_execz .LBB185_46
.LBB185_62:                             ;   in Loop: Header=BB185_33 Depth=1
	ds_load_b32 v8, v5 offset:16432
	s_waitcnt lgkmcnt(0)
	v_add_nc_u32_e32 v7, v8, v7
	s_or_b32 exec_lo, exec_lo, s17
	s_and_saveexec_b32 s17, s13
	s_cbranch_execz .LBB185_47
.LBB185_63:                             ;   in Loop: Header=BB185_33 Depth=1
	ds_load_b32 v8, v5 offset:16436
	s_waitcnt lgkmcnt(0)
	v_add_nc_u32_e32 v7, v8, v7
	s_or_b32 exec_lo, exec_lo, s17
	s_and_saveexec_b32 s17, s14
	s_cbranch_execz .LBB185_48
.LBB185_64:                             ;   in Loop: Header=BB185_33 Depth=1
	ds_load_b32 v8, v5 offset:16440
	s_waitcnt lgkmcnt(0)
	v_add_nc_u32_e32 v7, v8, v7
	s_or_b32 exec_lo, exec_lo, s17
	s_and_saveexec_b32 s17, s15
	s_cbranch_execz .LBB185_49
.LBB185_65:                             ;   in Loop: Header=BB185_33 Depth=1
	s_delay_alu instid0(VALU_DEP_1) | instskip(NEXT) | instid1(VALU_DEP_1)
	v_add3_u32 v8, v6, -1, v7
	v_lshl_add_u32 v8, v8, 2, 0
	ds_store_2addr_stride64_b32 v8, v2, v3 offset1:32
	s_or_b32 exec_lo, exec_lo, s17
	s_and_saveexec_b32 s15, vcc_lo
	s_cbranch_execz .LBB185_32
.LBB185_66:                             ;   in Loop: Header=BB185_33 Depth=1
	ds_store_b32 v5, v7 offset:16444
	s_branch .LBB185_32
.LBB185_67:                             ;   in Loop: Header=BB185_68 Depth=1
	s_or_b32 exec_lo, exec_lo, s4
	v_add_co_u32 v1, vcc_lo, 0x400, v1
	v_add_co_ci_u32_e32 v2, vcc_lo, 0, v2, vcc_lo
	s_delay_alu instid0(VALU_DEP_1) | instskip(SKIP_1) | instid1(SALU_CYCLE_1)
	v_cmp_le_i64_e32 vcc_lo, s[0:1], v[1:2]
	s_or_b32 s3, vcc_lo, s3
	s_and_not1_b32 exec_lo, exec_lo, s3
	s_cbranch_execz .LBB185_30
.LBB185_68:                             ; =>This Loop Header: Depth=1
                                        ;     Child Loop BB185_70 Depth 2
	v_lshlrev_b64 v[3:4], 2, v[1:2]
	s_mov_b32 s4, 0
	s_delay_alu instid0(VALU_DEP_1) | instskip(NEXT) | instid1(VALU_DEP_2)
	v_add_co_u32 v5, vcc_lo, s18, v3
	v_add_co_ci_u32_e32 v6, vcc_lo, s19, v4, vcc_lo
	v_add_co_u32 v3, vcc_lo, s20, v3
	v_add_co_ci_u32_e32 v4, vcc_lo, s21, v4, vcc_lo
	global_load_b32 v5, v[5:6], off
	global_load_b32 v4, v[3:4], off
	s_waitcnt vmcnt(1)
	v_subrev_nc_u32_e32 v3, s27, v5
	s_delay_alu instid0(VALU_DEP_1) | instskip(SKIP_1) | instid1(VALU_DEP_1)
	v_mul_lo_u32 v5, 0x89, v3
	s_waitcnt vmcnt(0)
	v_dual_mul_f32 v4, v11, v4 :: v_dual_and_b32 v5, 0x7ff, v5
	s_branch .LBB185_70
.LBB185_69:                             ;   in Loop: Header=BB185_70 Depth=2
	s_or_b32 exec_lo, exec_lo, s5
	s_xor_b32 s5, s6, -1
	s_delay_alu instid0(SALU_CYCLE_1) | instskip(NEXT) | instid1(SALU_CYCLE_1)
	s_and_b32 s5, exec_lo, s5
	s_or_b32 s4, s5, s4
	s_delay_alu instid0(SALU_CYCLE_1)
	s_and_not1_b32 exec_lo, exec_lo, s4
	s_cbranch_execz .LBB185_67
.LBB185_70:                             ;   Parent Loop BB185_68 Depth=1
                                        ; =>  This Inner Loop Header: Depth=2
	s_delay_alu instid0(VALU_DEP_1)
	v_lshl_add_u32 v6, v5, 2, 0
	s_mov_b32 s5, exec_lo
                                        ; implicit-def: $sgpr6
	ds_load_b32 v7, v6
	s_waitcnt lgkmcnt(0)
	v_cmpx_ne_u32_e64 v7, v3
	s_xor_b32 s5, exec_lo, s5
	s_cbranch_execz .LBB185_78
; %bb.71:                               ;   in Loop: Header=BB185_70 Depth=2
	s_mov_b32 s7, exec_lo
                                        ; implicit-def: $sgpr6
	v_cmpx_ne_u32_e64 s33, v7
	s_xor_b32 s7, exec_lo, s7
; %bb.72:                               ;   in Loop: Header=BB185_70 Depth=2
	v_add_nc_u32_e32 v5, 1, v5
	s_mov_b32 s6, -1
                                        ; implicit-def: $vgpr6
	s_delay_alu instid0(VALU_DEP_1)
	v_and_b32_e32 v5, 0x7ff, v5
; %bb.73:                               ;   in Loop: Header=BB185_70 Depth=2
	s_and_not1_saveexec_b32 s7, s7
	s_cbranch_execz .LBB185_77
; %bb.74:                               ;   in Loop: Header=BB185_70 Depth=2
	v_mov_b32_e32 v7, s33
	s_mov_b32 s8, -1
	s_mov_b32 s9, exec_lo
	ds_cmpstore_rtn_b32 v7, v6, v3, v7
	s_waitcnt lgkmcnt(0)
	v_cmpx_eq_u32_e64 s33, v7
	s_cbranch_execz .LBB185_76
; %bb.75:                               ;   in Loop: Header=BB185_70 Depth=2
	ds_add_f32 v6, v4 offset:8192
	s_xor_b32 s8, exec_lo, -1
.LBB185_76:                             ;   in Loop: Header=BB185_70 Depth=2
	s_or_b32 exec_lo, exec_lo, s9
	s_delay_alu instid0(SALU_CYCLE_1) | instskip(SKIP_1) | instid1(SALU_CYCLE_1)
	s_and_not1_b32 s6, s6, exec_lo
	s_and_b32 s8, s8, exec_lo
	s_or_b32 s6, s6, s8
.LBB185_77:                             ;   in Loop: Header=BB185_70 Depth=2
	s_or_b32 exec_lo, exec_lo, s7
	s_delay_alu instid0(SALU_CYCLE_1)
	s_and_b32 s6, s6, exec_lo
                                        ; implicit-def: $vgpr6
.LBB185_78:                             ;   in Loop: Header=BB185_70 Depth=2
	s_and_not1_saveexec_b32 s5, s5
	s_cbranch_execz .LBB185_69
; %bb.79:                               ;   in Loop: Header=BB185_70 Depth=2
	ds_add_f32 v6, v4 offset:8192
	s_and_not1_b32 s6, s6, exec_lo
	s_branch .LBB185_69
.LBB185_80:
	s_or_b32 exec_lo, exec_lo, s16
	s_ashr_i32 s35, s34, 31
	s_mov_b32 s4, exec_lo
	s_lshl_b64 s[0:1], s[34:35], 3
	s_delay_alu instid0(SALU_CYCLE_1) | instskip(SKIP_4) | instid1(SALU_CYCLE_1)
	s_add_u32 s0, s22, s0
	s_addc_u32 s1, s23, s1
	s_load_b128 s[0:3], s[0:1], 0x0
	s_waitcnt lgkmcnt(0)
	s_sub_i32 s3, s2, s0
	v_cmpx_gt_i32_e64 s3, v0
	s_cbranch_execz .LBB185_90
; %bb.81:
	s_sub_u32 s4, s0, s26
	s_subb_u32 s5, s1, 0
	s_sub_i32 s0, s0, s2
	s_and_b32 s1, s3, 7
	s_cmp_lt_u32 s0, -7
	s_mov_b32 s8, 0
	s_cselect_b32 s2, -1, 0
	s_and_b32 s6, s3, -8
	s_cmp_lg_u32 s1, 0
	s_cselect_b32 s7, -1, 0
	s_branch .LBB185_83
.LBB185_82:                             ;   in Loop: Header=BB185_83 Depth=1
	s_delay_alu instid0(VALU_DEP_1) | instskip(SKIP_3) | instid1(VALU_DEP_3)
	v_lshlrev_b64 v[3:4], 2, v[3:4]
	v_add_nc_u32_e32 v0, 0x400, v0
	s_waitcnt lgkmcnt(0)
	v_add_nc_u32_e32 v1, s26, v1
	v_add_co_u32 v5, vcc_lo, s28, v3
	s_delay_alu instid0(VALU_DEP_4) | instskip(SKIP_2) | instid1(VALU_DEP_1)
	v_add_co_ci_u32_e32 v6, vcc_lo, s29, v4, vcc_lo
	v_cmp_le_i32_e32 vcc_lo, s3, v0
	v_add_co_u32 v3, s0, s30, v3
	v_add_co_ci_u32_e64 v4, s0, s31, v4, s0
	s_or_b32 s8, vcc_lo, s8
	global_store_b32 v[5:6], v1, off
	global_store_b32 v[3:4], v2, off
	s_and_not1_b32 exec_lo, exec_lo, s8
	s_cbranch_execz .LBB185_90
.LBB185_83:                             ; =>This Loop Header: Depth=1
                                        ;     Child Loop BB185_85 Depth 2
                                        ;     Child Loop BB185_89 Depth 2
	v_lshl_add_u32 v1, v0, 2, 0
	v_dual_mov_b32 v3, s4 :: v_dual_mov_b32 v4, s5
	s_and_not1_b32 vcc_lo, exec_lo, s2
	s_mov_b32 s0, 0
	ds_load_2addr_stride64_b32 v[1:2], v1 offset1:32
	s_cbranch_vccnz .LBB185_87
; %bb.84:                               ;   in Loop: Header=BB185_83 Depth=1
	v_dual_mov_b32 v3, s4 :: v_dual_mov_b32 v4, s5
	s_mov_b32 s9, 0
	s_mov_b32 s10, 0
.LBB185_85:                             ;   Parent Loop BB185_83 Depth=1
                                        ; =>  This Inner Loop Header: Depth=2
	s_delay_alu instid0(SALU_CYCLE_1)
	v_mov_b32_e32 v11, s10
	s_add_i32 s9, s9, 8
	s_add_i32 s10, s10, 32
	s_cmp_eq_u32 s6, s9
	ds_load_2addr_b32 v[5:6], v11 offset1:1
	ds_load_2addr_b32 v[7:8], v11 offset0:2 offset1:3
	ds_load_2addr_b32 v[9:10], v11 offset0:4 offset1:5
	;; [unrolled: 1-line block ×3, first 2 shown]
	s_waitcnt lgkmcnt(3)
	v_cmp_gt_i32_e32 vcc_lo, v1, v5
	v_cndmask_b32_e64 v5, 0, 1, vcc_lo
	v_cmp_gt_i32_e32 vcc_lo, v1, v6
	v_cndmask_b32_e64 v6, 0, 1, vcc_lo
	s_waitcnt lgkmcnt(2)
	v_cmp_gt_i32_e32 vcc_lo, v1, v7
	v_cndmask_b32_e64 v7, 0, 1, vcc_lo
	v_cmp_gt_i32_e32 vcc_lo, v1, v8
	v_cndmask_b32_e64 v8, 0, 1, vcc_lo
	s_waitcnt lgkmcnt(1)
	v_cmp_gt_i32_e32 vcc_lo, v1, v9
	v_cndmask_b32_e64 v9, 0, 1, vcc_lo
	v_add_co_u32 v3, vcc_lo, v3, v5
	v_add_co_ci_u32_e32 v4, vcc_lo, 0, v4, vcc_lo
	v_cmp_gt_i32_e32 vcc_lo, v1, v10
	s_delay_alu instid0(VALU_DEP_3) | instskip(NEXT) | instid1(VALU_DEP_1)
	v_add_co_u32 v3, s0, v3, v6
	v_add_co_ci_u32_e64 v4, s0, 0, v4, s0
	v_cndmask_b32_e64 v5, 0, 1, vcc_lo
	s_delay_alu instid0(VALU_DEP_3) | instskip(NEXT) | instid1(VALU_DEP_3)
	v_add_co_u32 v3, vcc_lo, v3, v7
	v_add_co_ci_u32_e32 v4, vcc_lo, 0, v4, vcc_lo
	s_waitcnt lgkmcnt(0)
	v_cmp_gt_i32_e32 vcc_lo, v1, v11
	s_delay_alu instid0(VALU_DEP_3) | instskip(NEXT) | instid1(VALU_DEP_1)
	v_add_co_u32 v3, s0, v3, v8
	v_add_co_ci_u32_e64 v4, s0, 0, v4, s0
	v_cndmask_b32_e64 v6, 0, 1, vcc_lo
	s_delay_alu instid0(VALU_DEP_3) | instskip(NEXT) | instid1(VALU_DEP_3)
	v_add_co_u32 v3, vcc_lo, v3, v9
	v_add_co_ci_u32_e32 v4, vcc_lo, 0, v4, vcc_lo
	v_cmp_gt_i32_e32 vcc_lo, v1, v12
	s_delay_alu instid0(VALU_DEP_3) | instskip(NEXT) | instid1(VALU_DEP_1)
	v_add_co_u32 v3, s0, v3, v5
	v_add_co_ci_u32_e64 v4, s0, 0, v4, s0
	v_cndmask_b32_e64 v5, 0, 1, vcc_lo
	s_delay_alu instid0(VALU_DEP_3) | instskip(NEXT) | instid1(VALU_DEP_3)
	v_add_co_u32 v3, vcc_lo, v3, v6
	v_add_co_ci_u32_e32 v4, vcc_lo, 0, v4, vcc_lo
	s_delay_alu instid0(VALU_DEP_2) | instskip(NEXT) | instid1(VALU_DEP_2)
	v_add_co_u32 v3, vcc_lo, v3, v5
	v_add_co_ci_u32_e32 v4, vcc_lo, 0, v4, vcc_lo
	s_cbranch_scc0 .LBB185_85
; %bb.86:                               ;   in Loop: Header=BB185_83 Depth=1
	s_mov_b32 s0, s6
.LBB185_87:                             ;   in Loop: Header=BB185_83 Depth=1
	s_and_not1_b32 vcc_lo, exec_lo, s7
	s_cbranch_vccnz .LBB185_82
; %bb.88:                               ;   in Loop: Header=BB185_83 Depth=1
	s_lshl_b32 s0, s0, 2
	s_mov_b32 s9, s1
	s_add_i32 s0, s0, 0
.LBB185_89:                             ;   Parent Loop BB185_83 Depth=1
                                        ; =>  This Inner Loop Header: Depth=2
	s_delay_alu instid0(SALU_CYCLE_1)
	v_mov_b32_e32 v5, s0
	s_add_i32 s9, s9, -1
	s_add_i32 s0, s0, 4
	s_cmp_lg_u32 s9, 0
	ds_load_b32 v5, v5
	s_waitcnt lgkmcnt(0)
	v_cmp_gt_i32_e32 vcc_lo, v1, v5
	v_cndmask_b32_e64 v5, 0, 1, vcc_lo
	s_delay_alu instid0(VALU_DEP_1)
	v_add_co_u32 v3, vcc_lo, v3, v5
	v_add_co_ci_u32_e32 v4, vcc_lo, 0, v4, vcc_lo
	s_cbranch_scc1 .LBB185_89
	s_branch .LBB185_82
.LBB185_90:
	s_nop 0
	s_sendmsg sendmsg(MSG_DEALLOC_VGPRS)
	s_endpgm
	.section	.rodata,"a",@progbits
	.p2align	6, 0x0
	.amdhsa_kernel _ZN9rocsparseL26csrgemm_fill_block_per_rowILj1024ELj32ELj2048ELj137ELj64ElifEEvT5_PKS1_S3_NS_24const_host_device_scalarIT6_EEPKT4_S3_PKS5_S9_S3_SB_S6_S9_S3_SB_S9_PS1_PS5_21rocsparse_index_base_SE_SE_SE_bbb
		.amdhsa_group_segment_fixed_size 0
		.amdhsa_private_segment_fixed_size 0
		.amdhsa_kernarg_size 156
		.amdhsa_user_sgpr_count 15
		.amdhsa_user_sgpr_dispatch_ptr 0
		.amdhsa_user_sgpr_queue_ptr 0
		.amdhsa_user_sgpr_kernarg_segment_ptr 1
		.amdhsa_user_sgpr_dispatch_id 0
		.amdhsa_user_sgpr_private_segment_size 0
		.amdhsa_wavefront_size32 1
		.amdhsa_uses_dynamic_stack 0
		.amdhsa_enable_private_segment 0
		.amdhsa_system_sgpr_workgroup_id_x 1
		.amdhsa_system_sgpr_workgroup_id_y 0
		.amdhsa_system_sgpr_workgroup_id_z 0
		.amdhsa_system_sgpr_workgroup_info 0
		.amdhsa_system_vgpr_workitem_id 0
		.amdhsa_next_free_vgpr 19
		.amdhsa_next_free_sgpr 44
		.amdhsa_reserve_vcc 1
		.amdhsa_float_round_mode_32 0
		.amdhsa_float_round_mode_16_64 0
		.amdhsa_float_denorm_mode_32 3
		.amdhsa_float_denorm_mode_16_64 3
		.amdhsa_dx10_clamp 1
		.amdhsa_ieee_mode 1
		.amdhsa_fp16_overflow 0
		.amdhsa_workgroup_processor_mode 1
		.amdhsa_memory_ordered 1
		.amdhsa_forward_progress 0
		.amdhsa_shared_vgpr_count 0
		.amdhsa_exception_fp_ieee_invalid_op 0
		.amdhsa_exception_fp_denorm_src 0
		.amdhsa_exception_fp_ieee_div_zero 0
		.amdhsa_exception_fp_ieee_overflow 0
		.amdhsa_exception_fp_ieee_underflow 0
		.amdhsa_exception_fp_ieee_inexact 0
		.amdhsa_exception_int_div_zero 0
	.end_amdhsa_kernel
	.section	.text._ZN9rocsparseL26csrgemm_fill_block_per_rowILj1024ELj32ELj2048ELj137ELj64ElifEEvT5_PKS1_S3_NS_24const_host_device_scalarIT6_EEPKT4_S3_PKS5_S9_S3_SB_S6_S9_S3_SB_S9_PS1_PS5_21rocsparse_index_base_SE_SE_SE_bbb,"axG",@progbits,_ZN9rocsparseL26csrgemm_fill_block_per_rowILj1024ELj32ELj2048ELj137ELj64ElifEEvT5_PKS1_S3_NS_24const_host_device_scalarIT6_EEPKT4_S3_PKS5_S9_S3_SB_S6_S9_S3_SB_S9_PS1_PS5_21rocsparse_index_base_SE_SE_SE_bbb,comdat
.Lfunc_end185:
	.size	_ZN9rocsparseL26csrgemm_fill_block_per_rowILj1024ELj32ELj2048ELj137ELj64ElifEEvT5_PKS1_S3_NS_24const_host_device_scalarIT6_EEPKT4_S3_PKS5_S9_S3_SB_S6_S9_S3_SB_S9_PS1_PS5_21rocsparse_index_base_SE_SE_SE_bbb, .Lfunc_end185-_ZN9rocsparseL26csrgemm_fill_block_per_rowILj1024ELj32ELj2048ELj137ELj64ElifEEvT5_PKS1_S3_NS_24const_host_device_scalarIT6_EEPKT4_S3_PKS5_S9_S3_SB_S6_S9_S3_SB_S9_PS1_PS5_21rocsparse_index_base_SE_SE_SE_bbb
                                        ; -- End function
	.section	.AMDGPU.csdata,"",@progbits
; Kernel info:
; codeLenInByte = 3300
; NumSgprs: 46
; NumVgprs: 19
; ScratchSize: 0
; MemoryBound: 0
; FloatMode: 240
; IeeeMode: 1
; LDSByteSize: 0 bytes/workgroup (compile time only)
; SGPRBlocks: 5
; VGPRBlocks: 2
; NumSGPRsForWavesPerEU: 46
; NumVGPRsForWavesPerEU: 19
; Occupancy: 16
; WaveLimiterHint : 1
; COMPUTE_PGM_RSRC2:SCRATCH_EN: 0
; COMPUTE_PGM_RSRC2:USER_SGPR: 15
; COMPUTE_PGM_RSRC2:TRAP_HANDLER: 0
; COMPUTE_PGM_RSRC2:TGID_X_EN: 1
; COMPUTE_PGM_RSRC2:TGID_Y_EN: 0
; COMPUTE_PGM_RSRC2:TGID_Z_EN: 0
; COMPUTE_PGM_RSRC2:TIDIG_COMP_CNT: 0
	.section	.text._ZN9rocsparseL26csrgemm_fill_block_per_rowILj1024ELj64ELj4096ELj137ELj32ElifEEvT5_PKS1_S3_NS_24const_host_device_scalarIT6_EEPKT4_S3_PKS5_S9_S3_SB_S6_S9_S3_SB_S9_PS1_PS5_21rocsparse_index_base_SE_SE_SE_bbb,"axG",@progbits,_ZN9rocsparseL26csrgemm_fill_block_per_rowILj1024ELj64ELj4096ELj137ELj32ElifEEvT5_PKS1_S3_NS_24const_host_device_scalarIT6_EEPKT4_S3_PKS5_S9_S3_SB_S6_S9_S3_SB_S9_PS1_PS5_21rocsparse_index_base_SE_SE_SE_bbb,comdat
	.globl	_ZN9rocsparseL26csrgemm_fill_block_per_rowILj1024ELj64ELj4096ELj137ELj32ElifEEvT5_PKS1_S3_NS_24const_host_device_scalarIT6_EEPKT4_S3_PKS5_S9_S3_SB_S6_S9_S3_SB_S9_PS1_PS5_21rocsparse_index_base_SE_SE_SE_bbb ; -- Begin function _ZN9rocsparseL26csrgemm_fill_block_per_rowILj1024ELj64ELj4096ELj137ELj32ElifEEvT5_PKS1_S3_NS_24const_host_device_scalarIT6_EEPKT4_S3_PKS5_S9_S3_SB_S6_S9_S3_SB_S9_PS1_PS5_21rocsparse_index_base_SE_SE_SE_bbb
	.p2align	8
	.type	_ZN9rocsparseL26csrgemm_fill_block_per_rowILj1024ELj64ELj4096ELj137ELj32ElifEEvT5_PKS1_S3_NS_24const_host_device_scalarIT6_EEPKT4_S3_PKS5_S9_S3_SB_S6_S9_S3_SB_S9_PS1_PS5_21rocsparse_index_base_SE_SE_SE_bbb,@function
_ZN9rocsparseL26csrgemm_fill_block_per_rowILj1024ELj64ELj4096ELj137ELj32ElifEEvT5_PKS1_S3_NS_24const_host_device_scalarIT6_EEPKT4_S3_PKS5_S9_S3_SB_S6_S9_S3_SB_S9_PS1_PS5_21rocsparse_index_base_SE_SE_SE_bbb: ; @_ZN9rocsparseL26csrgemm_fill_block_per_rowILj1024ELj64ELj4096ELj137ELj32ElifEEvT5_PKS1_S3_NS_24const_host_device_scalarIT6_EEPKT4_S3_PKS5_S9_S3_SB_S6_S9_S3_SB_S9_PS1_PS5_21rocsparse_index_base_SE_SE_SE_bbb
; %bb.0:
	s_clause 0x3
	s_load_b32 s12, s[0:1], 0x98
	s_load_b128 s[44:47], s[0:1], 0x88
	s_load_b64 s[4:5], s[0:1], 0x18
	s_load_b64 s[2:3], s[0:1], 0x50
	s_waitcnt lgkmcnt(0)
	s_bitcmp1_b32 s12, 0
	s_cselect_b32 s13, -1, 0
	s_bitcmp1_b32 s12, 16
	s_cselect_b32 s14, -1, 0
	s_xor_b32 s6, s13, -1
	s_delay_alu instid0(SALU_CYCLE_1) | instskip(NEXT) | instid1(SALU_CYCLE_1)
	s_or_b32 s6, s6, s14
	s_and_b32 vcc_lo, exec_lo, s6
	s_cbranch_vccnz .LBB186_2
; %bb.1:
	s_load_b32 s4, s[4:5], 0x0
	s_waitcnt lgkmcnt(0)
	v_mov_b32_e32 v12, s4
	s_branch .LBB186_3
.LBB186_2:
	v_cndmask_b32_e64 v12, 0, s4, s13
.LBB186_3:
	s_clause 0x4
	s_load_b128 s[48:51], s[0:1], 0x78
	s_load_b256 s[36:43], s[0:1], 0x58
	s_load_b128 s[16:19], s[0:1], 0x40
	s_load_b128 s[20:23], s[0:1], 0x8
	s_load_b256 s[4:11], s[0:1], 0x20
	s_bitcmp1_b32 s12, 8
	s_cselect_b32 s12, -1, 0
	s_delay_alu instid0(SALU_CYCLE_1) | instskip(NEXT) | instid1(SALU_CYCLE_1)
	s_xor_b32 s24, s12, -1
	s_or_b32 s14, s24, s14
	s_delay_alu instid0(SALU_CYCLE_1)
	s_and_b32 vcc_lo, exec_lo, s14
	s_cbranch_vccnz .LBB186_5
; %bb.4:
	s_load_b32 s2, s[2:3], 0x0
	s_waitcnt lgkmcnt(0)
	v_mov_b32_e32 v11, s2
	s_branch .LBB186_6
.LBB186_5:
	v_cndmask_b32_e64 v11, 0, s2, s12
.LBB186_6:
	s_load_b32 s33, s[0:1], 0x0
	v_lshl_add_u32 v9, v0, 2, 0
	v_or_b32_e32 v10, 0xfffffc00, v0
	v_mov_b32_e32 v1, 0
	s_mov_b32 s0, 0
	s_delay_alu instid0(VALU_DEP_3)
	v_mov_b32_e32 v2, v9
	s_waitcnt lgkmcnt(0)
	v_dual_mov_b32 v4, v10 :: v_dual_mov_b32 v3, s33
.LBB186_7:                              ; =>This Inner Loop Header: Depth=1
	s_delay_alu instid0(VALU_DEP_1) | instskip(SKIP_4) | instid1(SALU_CYCLE_1)
	v_add_nc_u32_e32 v4, 0x400, v4
	ds_store_2addr_stride64_b32 v2, v3, v1 offset1:64
	v_add_nc_u32_e32 v2, 0x1000, v2
	v_cmp_lt_u32_e32 vcc_lo, 0xbff, v4
	s_or_b32 s0, vcc_lo, s0
	s_and_not1_b32 exec_lo, exec_lo, s0
	s_cbranch_execnz .LBB186_7
; %bb.8:
	s_or_b32 exec_lo, exec_lo, s0
	s_waitcnt lgkmcnt(0)
	s_barrier
	buffer_gl0_inv
	s_load_b32 s0, s[20:21], 0x0
	s_mov_b32 s1, 0
	s_waitcnt lgkmcnt(0)
	s_add_i32 s0, s0, s15
	s_delay_alu instid0(SALU_CYCLE_1) | instskip(NEXT) | instid1(SALU_CYCLE_1)
	s_lshl_b64 s[0:1], s[0:1], 2
	s_add_u32 s0, s22, s0
	s_addc_u32 s1, s23, s1
	s_and_b32 vcc_lo, exec_lo, s13
	s_load_b32 s34, s[0:1], 0x0
	s_cbranch_vccz .LBB186_28
; %bb.9:
	s_waitcnt lgkmcnt(0)
	s_ashr_i32 s35, s34, 31
	v_lshrrev_b32_e32 v1, 6, v0
	s_lshl_b64 s[0:1], s[34:35], 3
	s_delay_alu instid0(SALU_CYCLE_1) | instskip(SKIP_1) | instid1(VALU_DEP_1)
	s_add_u32 s0, s4, s0
	s_addc_u32 s1, s5, s1
	v_sub_co_u32 v1, s4, v1, s44
	s_load_b128 s[0:3], s[0:1], 0x0
	v_sub_co_ci_u32_e64 v2, null, 0, 0, s4
	s_waitcnt lgkmcnt(0)
	s_delay_alu instid0(VALU_DEP_2) | instskip(NEXT) | instid1(VALU_DEP_2)
	v_add_co_u32 v1, vcc_lo, s0, v1
	v_add_co_ci_u32_e32 v2, vcc_lo, s1, v2, vcc_lo
	s_sub_u32 s0, s2, s44
	s_subb_u32 s1, s3, 0
	s_mov_b32 s2, exec_lo
	s_delay_alu instid0(VALU_DEP_1)
	v_cmpx_gt_i64_e64 s[0:1], v[1:2]
	s_cbranch_execz .LBB186_27
; %bb.10:
	v_and_b32_e32 v3, 63, v0
	s_mov_b32 s4, s45
	s_delay_alu instid0(VALU_DEP_1) | instskip(NEXT) | instid1(VALU_DEP_1)
	v_sub_co_u32 v13, s3, v3, s45
	v_sub_co_ci_u32_e64 v14, null, 0, 0, s3
	s_mov_b32 s3, 0
	s_branch .LBB186_12
.LBB186_11:                             ;   in Loop: Header=BB186_12 Depth=1
	s_or_b32 exec_lo, exec_lo, s5
	v_add_co_u32 v1, vcc_lo, v1, 16
	v_add_co_ci_u32_e32 v2, vcc_lo, 0, v2, vcc_lo
	s_delay_alu instid0(VALU_DEP_1) | instskip(SKIP_1) | instid1(SALU_CYCLE_1)
	v_cmp_le_i64_e32 vcc_lo, s[0:1], v[1:2]
	s_or_b32 s3, vcc_lo, s3
	s_and_not1_b32 exec_lo, exec_lo, s3
	s_cbranch_execz .LBB186_27
.LBB186_12:                             ; =>This Loop Header: Depth=1
                                        ;     Child Loop BB186_15 Depth 2
                                        ;       Child Loop BB186_17 Depth 3
	v_lshlrev_b64 v[7:8], 2, v[1:2]
	s_mov_b32 s5, exec_lo
	s_delay_alu instid0(VALU_DEP_1) | instskip(NEXT) | instid1(VALU_DEP_2)
	v_add_co_u32 v3, vcc_lo, s6, v7
	v_add_co_ci_u32_e32 v4, vcc_lo, s7, v8, vcc_lo
	global_load_b32 v3, v[3:4], off
	s_waitcnt vmcnt(0)
	v_subrev_nc_u32_e32 v3, s44, v3
	s_delay_alu instid0(VALU_DEP_1) | instskip(NEXT) | instid1(VALU_DEP_1)
	v_ashrrev_i32_e32 v4, 31, v3
	v_lshlrev_b64 v[3:4], 3, v[3:4]
	s_delay_alu instid0(VALU_DEP_1) | instskip(NEXT) | instid1(VALU_DEP_2)
	v_add_co_u32 v3, vcc_lo, s10, v3
	v_add_co_ci_u32_e32 v4, vcc_lo, s11, v4, vcc_lo
	global_load_b128 v[15:18], v[3:4], off
	s_waitcnt vmcnt(0)
	v_sub_co_u32 v3, vcc_lo, v17, s4
	v_subrev_co_ci_u32_e32 v4, vcc_lo, 0, v18, vcc_lo
	v_add_co_u32 v5, vcc_lo, v15, v13
	v_add_co_ci_u32_e32 v6, vcc_lo, v16, v14, vcc_lo
	s_delay_alu instid0(VALU_DEP_1)
	v_cmpx_lt_i64_e64 v[5:6], v[3:4]
	s_cbranch_execz .LBB186_11
; %bb.13:                               ;   in Loop: Header=BB186_12 Depth=1
	v_add_co_u32 v7, vcc_lo, s8, v7
	v_add_co_ci_u32_e32 v8, vcc_lo, s9, v8, vcc_lo
	s_mov_b32 s13, 0
	global_load_b32 v7, v[7:8], off
	s_waitcnt vmcnt(0)
	v_mul_f32_e32 v7, v12, v7
	s_branch .LBB186_15
.LBB186_14:                             ;   in Loop: Header=BB186_15 Depth=2
	s_or_b32 exec_lo, exec_lo, s14
	v_add_co_u32 v5, vcc_lo, v5, 64
	v_add_co_ci_u32_e32 v6, vcc_lo, 0, v6, vcc_lo
	s_delay_alu instid0(VALU_DEP_1) | instskip(SKIP_1) | instid1(SALU_CYCLE_1)
	v_cmp_ge_i64_e32 vcc_lo, v[5:6], v[3:4]
	s_or_b32 s13, vcc_lo, s13
	s_and_not1_b32 exec_lo, exec_lo, s13
	s_cbranch_execz .LBB186_11
.LBB186_15:                             ;   Parent Loop BB186_12 Depth=1
                                        ; =>  This Loop Header: Depth=2
                                        ;       Child Loop BB186_17 Depth 3
	v_lshlrev_b64 v[15:16], 2, v[5:6]
	s_mov_b32 s14, 0
	s_delay_alu instid0(VALU_DEP_1) | instskip(NEXT) | instid1(VALU_DEP_2)
	v_add_co_u32 v17, vcc_lo, s16, v15
	v_add_co_ci_u32_e32 v18, vcc_lo, s17, v16, vcc_lo
	v_add_co_u32 v15, vcc_lo, s18, v15
	v_add_co_ci_u32_e32 v16, vcc_lo, s19, v16, vcc_lo
	global_load_b32 v8, v[17:18], off
	global_load_b32 v15, v[15:16], off
	s_waitcnt vmcnt(1)
	v_subrev_nc_u32_e32 v8, s45, v8
	s_delay_alu instid0(VALU_DEP_1) | instskip(SKIP_1) | instid1(VALU_DEP_1)
	v_mul_lo_u32 v16, 0x89, v8
	s_waitcnt vmcnt(0)
	v_dual_mul_f32 v15, v7, v15 :: v_dual_and_b32 v16, 0xfff, v16
	s_branch .LBB186_17
.LBB186_16:                             ;   in Loop: Header=BB186_17 Depth=3
	s_or_b32 exec_lo, exec_lo, s15
	s_xor_b32 s15, s20, -1
	s_delay_alu instid0(SALU_CYCLE_1) | instskip(NEXT) | instid1(SALU_CYCLE_1)
	s_and_b32 s15, exec_lo, s15
	s_or_b32 s14, s15, s14
	s_delay_alu instid0(SALU_CYCLE_1)
	s_and_not1_b32 exec_lo, exec_lo, s14
	s_cbranch_execz .LBB186_14
.LBB186_17:                             ;   Parent Loop BB186_12 Depth=1
                                        ;     Parent Loop BB186_15 Depth=2
                                        ; =>    This Inner Loop Header: Depth=3
	s_delay_alu instid0(VALU_DEP_1)
	v_lshl_add_u32 v17, v16, 2, 0
	s_mov_b32 s15, exec_lo
                                        ; implicit-def: $sgpr20
	ds_load_b32 v18, v17
	s_waitcnt lgkmcnt(0)
	v_cmpx_ne_u32_e64 v18, v8
	s_xor_b32 s15, exec_lo, s15
	s_cbranch_execz .LBB186_25
; %bb.18:                               ;   in Loop: Header=BB186_17 Depth=3
	s_mov_b32 s21, exec_lo
                                        ; implicit-def: $sgpr20
	v_cmpx_ne_u32_e64 s33, v18
	s_xor_b32 s21, exec_lo, s21
; %bb.19:                               ;   in Loop: Header=BB186_17 Depth=3
	v_add_nc_u32_e32 v16, 1, v16
	s_mov_b32 s20, -1
                                        ; implicit-def: $vgpr17
	s_delay_alu instid0(VALU_DEP_1)
	v_and_b32_e32 v16, 0xfff, v16
; %bb.20:                               ;   in Loop: Header=BB186_17 Depth=3
	s_and_not1_saveexec_b32 s21, s21
	s_cbranch_execz .LBB186_24
; %bb.21:                               ;   in Loop: Header=BB186_17 Depth=3
	v_mov_b32_e32 v18, s33
	s_mov_b32 s22, -1
	s_mov_b32 s23, exec_lo
	ds_cmpstore_rtn_b32 v18, v17, v8, v18
	s_waitcnt lgkmcnt(0)
	v_cmpx_eq_u32_e64 s33, v18
	s_cbranch_execz .LBB186_23
; %bb.22:                               ;   in Loop: Header=BB186_17 Depth=3
	ds_add_f32 v17, v15 offset:16384
	s_xor_b32 s22, exec_lo, -1
.LBB186_23:                             ;   in Loop: Header=BB186_17 Depth=3
	s_or_b32 exec_lo, exec_lo, s23
	s_delay_alu instid0(SALU_CYCLE_1) | instskip(SKIP_1) | instid1(SALU_CYCLE_1)
	s_and_not1_b32 s20, s20, exec_lo
	s_and_b32 s22, s22, exec_lo
	s_or_b32 s20, s20, s22
.LBB186_24:                             ;   in Loop: Header=BB186_17 Depth=3
	s_or_b32 exec_lo, exec_lo, s21
	s_delay_alu instid0(SALU_CYCLE_1)
	s_and_b32 s20, s20, exec_lo
                                        ; implicit-def: $vgpr17
.LBB186_25:                             ;   in Loop: Header=BB186_17 Depth=3
	s_and_not1_saveexec_b32 s15, s15
	s_cbranch_execz .LBB186_16
; %bb.26:                               ;   in Loop: Header=BB186_17 Depth=3
	ds_add_f32 v17, v15 offset:16384
	s_and_not1_b32 s20, s20, exec_lo
	s_branch .LBB186_16
.LBB186_27:
	s_or_b32 exec_lo, exec_lo, s2
.LBB186_28:
	s_delay_alu instid0(SALU_CYCLE_1)
	s_and_not1_b32 vcc_lo, exec_lo, s12
	s_cbranch_vccnz .LBB186_31
; %bb.29:
	s_waitcnt lgkmcnt(0)
	s_ashr_i32 s35, s34, 31
	v_sub_co_u32 v1, s4, v0, s47
	s_lshl_b64 s[0:1], s[34:35], 3
	v_sub_co_ci_u32_e64 v2, null, 0, 0, s4
	s_add_u32 s0, s36, s0
	s_addc_u32 s1, s37, s1
	s_load_b128 s[0:3], s[0:1], 0x0
	s_waitcnt lgkmcnt(0)
	v_add_co_u32 v1, vcc_lo, s0, v1
	v_add_co_ci_u32_e32 v2, vcc_lo, s1, v2, vcc_lo
	s_sub_u32 s0, s2, s47
	s_subb_u32 s1, s3, 0
	s_mov_b32 s3, 0
	s_mov_b32 s2, exec_lo
	v_cmpx_gt_i64_e64 s[0:1], v[1:2]
	s_cbranch_execnz .LBB186_100
.LBB186_30:
	s_or_b32 exec_lo, exec_lo, s2
.LBB186_31:
	v_mbcnt_lo_u32_b32 v1, -1, 0
	v_lshrrev_b32_e32 v2, 3, v0
	v_cmp_eq_u32_e32 vcc_lo, 0x3ff, v0
	v_cmp_lt_u32_e64 s0, 31, v0
	v_cmp_lt_u32_e64 s1, 63, v0
	v_xor_b32_e32 v1, 63, v1
	v_dual_mov_b32 v6, 0 :: v_dual_and_b32 v3, 0x7c, v2
	v_cmp_lt_u32_e64 s2, 0x5f, v0
	v_cmp_lt_u32_e64 s3, 0x7f, v0
	s_delay_alu instid0(VALU_DEP_4) | instskip(NEXT) | instid1(VALU_DEP_4)
	v_lshrrev_b64 v[1:2], v1, -1
	v_dual_mov_b32 v5, 0 :: v_dual_add_nc_u32 v4, 0, v3
	v_cmp_lt_u32_e64 s4, 0x9f, v0
	v_cmp_lt_u32_e64 s5, 0xbf, v0
	;; [unrolled: 1-line block ×27, first 2 shown]
	s_mov_b32 s35, 0
	s_waitcnt lgkmcnt(0)
	s_barrier
	buffer_gl0_inv
	s_branch .LBB186_33
.LBB186_32:                             ;   in Loop: Header=BB186_33 Depth=1
	s_or_b32 exec_lo, exec_lo, s31
	s_waitcnt lgkmcnt(0)
	s_barrier
	buffer_gl0_inv
	ds_load_b32 v2, v5 offset:32892
	v_add_nc_u32_e32 v10, 0x400, v10
	v_add_nc_u32_e32 v9, 0x1000, v9
	s_delay_alu instid0(VALU_DEP_2) | instskip(NEXT) | instid1(VALU_DEP_1)
	v_cmp_lt_u32_e64 s31, 0xbff, v10
	s_or_b32 s35, s31, s35
	s_waitcnt lgkmcnt(0)
	v_add_nc_u32_e32 v6, v2, v6
	s_and_not1_b32 exec_lo, exec_lo, s35
	s_cbranch_execz .LBB186_112
.LBB186_33:                             ; =>This Inner Loop Header: Depth=1
	ds_load_2addr_stride64_b32 v[2:3], v9 offset1:64
	s_waitcnt lgkmcnt(0)
	s_barrier
	buffer_gl0_inv
	v_cmp_gt_i32_e64 s31, s33, v2
	s_delay_alu instid0(VALU_DEP_1) | instskip(NEXT) | instid1(SALU_CYCLE_1)
	s_bcnt1_i32_b32 s36, s31
	v_dual_mov_b32 v8, s36 :: v_dual_and_b32 v7, s31, v1
	s_delay_alu instid0(VALU_DEP_1)
	v_bcnt_u32_b32 v7, v7, 0
	ds_store_b32 v4, v8 offset:32768
	s_waitcnt lgkmcnt(0)
	s_barrier
	buffer_gl0_inv
	s_and_saveexec_b32 s36, s0
	s_cbranch_execnz .LBB186_66
; %bb.34:                               ;   in Loop: Header=BB186_33 Depth=1
	s_or_b32 exec_lo, exec_lo, s36
	s_and_saveexec_b32 s36, s1
	s_cbranch_execnz .LBB186_67
.LBB186_35:                             ;   in Loop: Header=BB186_33 Depth=1
	s_or_b32 exec_lo, exec_lo, s36
	s_and_saveexec_b32 s36, s2
	s_cbranch_execnz .LBB186_68
.LBB186_36:                             ;   in Loop: Header=BB186_33 Depth=1
	s_or_b32 exec_lo, exec_lo, s36
	s_and_saveexec_b32 s36, s3
	s_cbranch_execnz .LBB186_69
.LBB186_37:                             ;   in Loop: Header=BB186_33 Depth=1
	s_or_b32 exec_lo, exec_lo, s36
	s_and_saveexec_b32 s36, s4
	s_cbranch_execnz .LBB186_70
.LBB186_38:                             ;   in Loop: Header=BB186_33 Depth=1
	s_or_b32 exec_lo, exec_lo, s36
	s_and_saveexec_b32 s36, s5
	s_cbranch_execnz .LBB186_71
.LBB186_39:                             ;   in Loop: Header=BB186_33 Depth=1
	s_or_b32 exec_lo, exec_lo, s36
	s_and_saveexec_b32 s36, s6
	s_cbranch_execnz .LBB186_72
.LBB186_40:                             ;   in Loop: Header=BB186_33 Depth=1
	s_or_b32 exec_lo, exec_lo, s36
	s_and_saveexec_b32 s36, s7
	s_cbranch_execnz .LBB186_73
.LBB186_41:                             ;   in Loop: Header=BB186_33 Depth=1
	s_or_b32 exec_lo, exec_lo, s36
	s_and_saveexec_b32 s36, s8
	s_cbranch_execnz .LBB186_74
.LBB186_42:                             ;   in Loop: Header=BB186_33 Depth=1
	s_or_b32 exec_lo, exec_lo, s36
	s_and_saveexec_b32 s36, s9
	s_cbranch_execnz .LBB186_75
.LBB186_43:                             ;   in Loop: Header=BB186_33 Depth=1
	s_or_b32 exec_lo, exec_lo, s36
	s_and_saveexec_b32 s36, s10
	s_cbranch_execnz .LBB186_76
.LBB186_44:                             ;   in Loop: Header=BB186_33 Depth=1
	s_or_b32 exec_lo, exec_lo, s36
	s_and_saveexec_b32 s36, s11
	s_cbranch_execnz .LBB186_77
.LBB186_45:                             ;   in Loop: Header=BB186_33 Depth=1
	s_or_b32 exec_lo, exec_lo, s36
	s_and_saveexec_b32 s36, s12
	s_cbranch_execnz .LBB186_78
.LBB186_46:                             ;   in Loop: Header=BB186_33 Depth=1
	s_or_b32 exec_lo, exec_lo, s36
	s_and_saveexec_b32 s36, s13
	s_cbranch_execnz .LBB186_79
.LBB186_47:                             ;   in Loop: Header=BB186_33 Depth=1
	s_or_b32 exec_lo, exec_lo, s36
	s_and_saveexec_b32 s36, s14
	s_cbranch_execnz .LBB186_80
.LBB186_48:                             ;   in Loop: Header=BB186_33 Depth=1
	s_or_b32 exec_lo, exec_lo, s36
	s_and_saveexec_b32 s36, s15
	s_cbranch_execnz .LBB186_81
.LBB186_49:                             ;   in Loop: Header=BB186_33 Depth=1
	s_or_b32 exec_lo, exec_lo, s36
	s_and_saveexec_b32 s36, s16
	s_cbranch_execnz .LBB186_82
.LBB186_50:                             ;   in Loop: Header=BB186_33 Depth=1
	s_or_b32 exec_lo, exec_lo, s36
	s_and_saveexec_b32 s36, s17
	s_cbranch_execnz .LBB186_83
.LBB186_51:                             ;   in Loop: Header=BB186_33 Depth=1
	s_or_b32 exec_lo, exec_lo, s36
	s_and_saveexec_b32 s36, s18
	s_cbranch_execnz .LBB186_84
.LBB186_52:                             ;   in Loop: Header=BB186_33 Depth=1
	s_or_b32 exec_lo, exec_lo, s36
	s_and_saveexec_b32 s36, s19
	s_cbranch_execnz .LBB186_85
.LBB186_53:                             ;   in Loop: Header=BB186_33 Depth=1
	s_or_b32 exec_lo, exec_lo, s36
	s_and_saveexec_b32 s36, s20
	s_cbranch_execnz .LBB186_86
.LBB186_54:                             ;   in Loop: Header=BB186_33 Depth=1
	s_or_b32 exec_lo, exec_lo, s36
	s_and_saveexec_b32 s36, s21
	s_cbranch_execnz .LBB186_87
.LBB186_55:                             ;   in Loop: Header=BB186_33 Depth=1
	s_or_b32 exec_lo, exec_lo, s36
	s_and_saveexec_b32 s36, s22
	s_cbranch_execnz .LBB186_88
.LBB186_56:                             ;   in Loop: Header=BB186_33 Depth=1
	s_or_b32 exec_lo, exec_lo, s36
	s_and_saveexec_b32 s36, s23
	s_cbranch_execnz .LBB186_89
.LBB186_57:                             ;   in Loop: Header=BB186_33 Depth=1
	s_or_b32 exec_lo, exec_lo, s36
	s_and_saveexec_b32 s36, s24
	s_cbranch_execnz .LBB186_90
.LBB186_58:                             ;   in Loop: Header=BB186_33 Depth=1
	s_or_b32 exec_lo, exec_lo, s36
	s_and_saveexec_b32 s36, s25
	s_cbranch_execnz .LBB186_91
.LBB186_59:                             ;   in Loop: Header=BB186_33 Depth=1
	s_or_b32 exec_lo, exec_lo, s36
	s_and_saveexec_b32 s36, s26
	s_cbranch_execnz .LBB186_92
.LBB186_60:                             ;   in Loop: Header=BB186_33 Depth=1
	s_or_b32 exec_lo, exec_lo, s36
	s_and_saveexec_b32 s36, s27
	s_cbranch_execnz .LBB186_93
.LBB186_61:                             ;   in Loop: Header=BB186_33 Depth=1
	s_or_b32 exec_lo, exec_lo, s36
	s_and_saveexec_b32 s36, s28
	s_cbranch_execnz .LBB186_94
.LBB186_62:                             ;   in Loop: Header=BB186_33 Depth=1
	s_or_b32 exec_lo, exec_lo, s36
	s_and_saveexec_b32 s36, s29
	s_cbranch_execnz .LBB186_95
.LBB186_63:                             ;   in Loop: Header=BB186_33 Depth=1
	s_or_b32 exec_lo, exec_lo, s36
	s_and_saveexec_b32 s36, s30
	s_cbranch_execnz .LBB186_96
.LBB186_64:                             ;   in Loop: Header=BB186_33 Depth=1
	s_or_b32 exec_lo, exec_lo, s36
	s_and_saveexec_b32 s36, s31
	s_cbranch_execnz .LBB186_97
.LBB186_65:                             ;   in Loop: Header=BB186_33 Depth=1
	s_or_b32 exec_lo, exec_lo, s36
	s_and_saveexec_b32 s31, vcc_lo
	s_cbranch_execz .LBB186_32
	s_branch .LBB186_98
.LBB186_66:                             ;   in Loop: Header=BB186_33 Depth=1
	ds_load_b32 v8, v5 offset:32768
	s_waitcnt lgkmcnt(0)
	v_add_nc_u32_e32 v7, v8, v7
	s_or_b32 exec_lo, exec_lo, s36
	s_and_saveexec_b32 s36, s1
	s_cbranch_execz .LBB186_35
.LBB186_67:                             ;   in Loop: Header=BB186_33 Depth=1
	ds_load_b32 v8, v5 offset:32772
	s_waitcnt lgkmcnt(0)
	v_add_nc_u32_e32 v7, v8, v7
	s_or_b32 exec_lo, exec_lo, s36
	s_and_saveexec_b32 s36, s2
	s_cbranch_execz .LBB186_36
.LBB186_68:                             ;   in Loop: Header=BB186_33 Depth=1
	ds_load_b32 v8, v5 offset:32776
	s_waitcnt lgkmcnt(0)
	v_add_nc_u32_e32 v7, v8, v7
	s_or_b32 exec_lo, exec_lo, s36
	s_and_saveexec_b32 s36, s3
	s_cbranch_execz .LBB186_37
.LBB186_69:                             ;   in Loop: Header=BB186_33 Depth=1
	ds_load_b32 v8, v5 offset:32780
	s_waitcnt lgkmcnt(0)
	v_add_nc_u32_e32 v7, v8, v7
	s_or_b32 exec_lo, exec_lo, s36
	s_and_saveexec_b32 s36, s4
	s_cbranch_execz .LBB186_38
.LBB186_70:                             ;   in Loop: Header=BB186_33 Depth=1
	ds_load_b32 v8, v5 offset:32784
	s_waitcnt lgkmcnt(0)
	v_add_nc_u32_e32 v7, v8, v7
	s_or_b32 exec_lo, exec_lo, s36
	s_and_saveexec_b32 s36, s5
	s_cbranch_execz .LBB186_39
.LBB186_71:                             ;   in Loop: Header=BB186_33 Depth=1
	ds_load_b32 v8, v5 offset:32788
	s_waitcnt lgkmcnt(0)
	v_add_nc_u32_e32 v7, v8, v7
	s_or_b32 exec_lo, exec_lo, s36
	s_and_saveexec_b32 s36, s6
	s_cbranch_execz .LBB186_40
.LBB186_72:                             ;   in Loop: Header=BB186_33 Depth=1
	ds_load_b32 v8, v5 offset:32792
	s_waitcnt lgkmcnt(0)
	v_add_nc_u32_e32 v7, v8, v7
	s_or_b32 exec_lo, exec_lo, s36
	s_and_saveexec_b32 s36, s7
	s_cbranch_execz .LBB186_41
.LBB186_73:                             ;   in Loop: Header=BB186_33 Depth=1
	ds_load_b32 v8, v5 offset:32796
	s_waitcnt lgkmcnt(0)
	v_add_nc_u32_e32 v7, v8, v7
	s_or_b32 exec_lo, exec_lo, s36
	s_and_saveexec_b32 s36, s8
	s_cbranch_execz .LBB186_42
.LBB186_74:                             ;   in Loop: Header=BB186_33 Depth=1
	ds_load_b32 v8, v5 offset:32800
	s_waitcnt lgkmcnt(0)
	v_add_nc_u32_e32 v7, v8, v7
	s_or_b32 exec_lo, exec_lo, s36
	s_and_saveexec_b32 s36, s9
	s_cbranch_execz .LBB186_43
.LBB186_75:                             ;   in Loop: Header=BB186_33 Depth=1
	ds_load_b32 v8, v5 offset:32804
	s_waitcnt lgkmcnt(0)
	v_add_nc_u32_e32 v7, v8, v7
	s_or_b32 exec_lo, exec_lo, s36
	s_and_saveexec_b32 s36, s10
	s_cbranch_execz .LBB186_44
.LBB186_76:                             ;   in Loop: Header=BB186_33 Depth=1
	ds_load_b32 v8, v5 offset:32808
	s_waitcnt lgkmcnt(0)
	v_add_nc_u32_e32 v7, v8, v7
	s_or_b32 exec_lo, exec_lo, s36
	s_and_saveexec_b32 s36, s11
	s_cbranch_execz .LBB186_45
.LBB186_77:                             ;   in Loop: Header=BB186_33 Depth=1
	ds_load_b32 v8, v5 offset:32812
	s_waitcnt lgkmcnt(0)
	v_add_nc_u32_e32 v7, v8, v7
	s_or_b32 exec_lo, exec_lo, s36
	s_and_saveexec_b32 s36, s12
	s_cbranch_execz .LBB186_46
.LBB186_78:                             ;   in Loop: Header=BB186_33 Depth=1
	ds_load_b32 v8, v5 offset:32816
	s_waitcnt lgkmcnt(0)
	v_add_nc_u32_e32 v7, v8, v7
	s_or_b32 exec_lo, exec_lo, s36
	s_and_saveexec_b32 s36, s13
	s_cbranch_execz .LBB186_47
.LBB186_79:                             ;   in Loop: Header=BB186_33 Depth=1
	ds_load_b32 v8, v5 offset:32820
	s_waitcnt lgkmcnt(0)
	v_add_nc_u32_e32 v7, v8, v7
	s_or_b32 exec_lo, exec_lo, s36
	s_and_saveexec_b32 s36, s14
	s_cbranch_execz .LBB186_48
.LBB186_80:                             ;   in Loop: Header=BB186_33 Depth=1
	ds_load_b32 v8, v5 offset:32824
	s_waitcnt lgkmcnt(0)
	v_add_nc_u32_e32 v7, v8, v7
	s_or_b32 exec_lo, exec_lo, s36
	s_and_saveexec_b32 s36, s15
	s_cbranch_execz .LBB186_49
.LBB186_81:                             ;   in Loop: Header=BB186_33 Depth=1
	ds_load_b32 v8, v5 offset:32828
	s_waitcnt lgkmcnt(0)
	v_add_nc_u32_e32 v7, v8, v7
	s_or_b32 exec_lo, exec_lo, s36
	s_and_saveexec_b32 s36, s16
	s_cbranch_execz .LBB186_50
.LBB186_82:                             ;   in Loop: Header=BB186_33 Depth=1
	ds_load_b32 v8, v5 offset:32832
	s_waitcnt lgkmcnt(0)
	v_add_nc_u32_e32 v7, v8, v7
	s_or_b32 exec_lo, exec_lo, s36
	s_and_saveexec_b32 s36, s17
	s_cbranch_execz .LBB186_51
.LBB186_83:                             ;   in Loop: Header=BB186_33 Depth=1
	ds_load_b32 v8, v5 offset:32836
	s_waitcnt lgkmcnt(0)
	v_add_nc_u32_e32 v7, v8, v7
	s_or_b32 exec_lo, exec_lo, s36
	s_and_saveexec_b32 s36, s18
	s_cbranch_execz .LBB186_52
.LBB186_84:                             ;   in Loop: Header=BB186_33 Depth=1
	ds_load_b32 v8, v5 offset:32840
	s_waitcnt lgkmcnt(0)
	v_add_nc_u32_e32 v7, v8, v7
	s_or_b32 exec_lo, exec_lo, s36
	s_and_saveexec_b32 s36, s19
	s_cbranch_execz .LBB186_53
.LBB186_85:                             ;   in Loop: Header=BB186_33 Depth=1
	ds_load_b32 v8, v5 offset:32844
	s_waitcnt lgkmcnt(0)
	v_add_nc_u32_e32 v7, v8, v7
	s_or_b32 exec_lo, exec_lo, s36
	s_and_saveexec_b32 s36, s20
	s_cbranch_execz .LBB186_54
.LBB186_86:                             ;   in Loop: Header=BB186_33 Depth=1
	ds_load_b32 v8, v5 offset:32848
	s_waitcnt lgkmcnt(0)
	v_add_nc_u32_e32 v7, v8, v7
	s_or_b32 exec_lo, exec_lo, s36
	s_and_saveexec_b32 s36, s21
	s_cbranch_execz .LBB186_55
.LBB186_87:                             ;   in Loop: Header=BB186_33 Depth=1
	ds_load_b32 v8, v5 offset:32852
	s_waitcnt lgkmcnt(0)
	v_add_nc_u32_e32 v7, v8, v7
	s_or_b32 exec_lo, exec_lo, s36
	s_and_saveexec_b32 s36, s22
	s_cbranch_execz .LBB186_56
.LBB186_88:                             ;   in Loop: Header=BB186_33 Depth=1
	ds_load_b32 v8, v5 offset:32856
	s_waitcnt lgkmcnt(0)
	v_add_nc_u32_e32 v7, v8, v7
	s_or_b32 exec_lo, exec_lo, s36
	s_and_saveexec_b32 s36, s23
	s_cbranch_execz .LBB186_57
.LBB186_89:                             ;   in Loop: Header=BB186_33 Depth=1
	ds_load_b32 v8, v5 offset:32860
	s_waitcnt lgkmcnt(0)
	v_add_nc_u32_e32 v7, v8, v7
	s_or_b32 exec_lo, exec_lo, s36
	s_and_saveexec_b32 s36, s24
	s_cbranch_execz .LBB186_58
.LBB186_90:                             ;   in Loop: Header=BB186_33 Depth=1
	ds_load_b32 v8, v5 offset:32864
	s_waitcnt lgkmcnt(0)
	v_add_nc_u32_e32 v7, v8, v7
	s_or_b32 exec_lo, exec_lo, s36
	s_and_saveexec_b32 s36, s25
	s_cbranch_execz .LBB186_59
.LBB186_91:                             ;   in Loop: Header=BB186_33 Depth=1
	ds_load_b32 v8, v5 offset:32868
	s_waitcnt lgkmcnt(0)
	v_add_nc_u32_e32 v7, v8, v7
	s_or_b32 exec_lo, exec_lo, s36
	s_and_saveexec_b32 s36, s26
	s_cbranch_execz .LBB186_60
.LBB186_92:                             ;   in Loop: Header=BB186_33 Depth=1
	ds_load_b32 v8, v5 offset:32872
	s_waitcnt lgkmcnt(0)
	v_add_nc_u32_e32 v7, v8, v7
	s_or_b32 exec_lo, exec_lo, s36
	s_and_saveexec_b32 s36, s27
	s_cbranch_execz .LBB186_61
.LBB186_93:                             ;   in Loop: Header=BB186_33 Depth=1
	ds_load_b32 v8, v5 offset:32876
	s_waitcnt lgkmcnt(0)
	v_add_nc_u32_e32 v7, v8, v7
	s_or_b32 exec_lo, exec_lo, s36
	s_and_saveexec_b32 s36, s28
	s_cbranch_execz .LBB186_62
.LBB186_94:                             ;   in Loop: Header=BB186_33 Depth=1
	ds_load_b32 v8, v5 offset:32880
	s_waitcnt lgkmcnt(0)
	v_add_nc_u32_e32 v7, v8, v7
	s_or_b32 exec_lo, exec_lo, s36
	s_and_saveexec_b32 s36, s29
	s_cbranch_execz .LBB186_63
.LBB186_95:                             ;   in Loop: Header=BB186_33 Depth=1
	ds_load_b32 v8, v5 offset:32884
	s_waitcnt lgkmcnt(0)
	v_add_nc_u32_e32 v7, v8, v7
	s_or_b32 exec_lo, exec_lo, s36
	s_and_saveexec_b32 s36, s30
	s_cbranch_execz .LBB186_64
.LBB186_96:                             ;   in Loop: Header=BB186_33 Depth=1
	ds_load_b32 v8, v5 offset:32888
	s_waitcnt lgkmcnt(0)
	v_add_nc_u32_e32 v7, v8, v7
	s_or_b32 exec_lo, exec_lo, s36
	s_and_saveexec_b32 s36, s31
	s_cbranch_execz .LBB186_65
.LBB186_97:                             ;   in Loop: Header=BB186_33 Depth=1
	s_delay_alu instid0(VALU_DEP_1) | instskip(NEXT) | instid1(VALU_DEP_1)
	v_add3_u32 v8, v6, -1, v7
	v_lshl_add_u32 v8, v8, 2, 0
	ds_store_2addr_stride64_b32 v8, v2, v3 offset1:64
	s_or_b32 exec_lo, exec_lo, s36
	s_and_saveexec_b32 s31, vcc_lo
	s_cbranch_execz .LBB186_32
.LBB186_98:                             ;   in Loop: Header=BB186_33 Depth=1
	ds_store_b32 v5, v7 offset:32892
	s_branch .LBB186_32
.LBB186_99:                             ;   in Loop: Header=BB186_100 Depth=1
	s_or_b32 exec_lo, exec_lo, s4
	v_add_co_u32 v1, vcc_lo, 0x400, v1
	v_add_co_ci_u32_e32 v2, vcc_lo, 0, v2, vcc_lo
	s_delay_alu instid0(VALU_DEP_1) | instskip(SKIP_1) | instid1(SALU_CYCLE_1)
	v_cmp_le_i64_e32 vcc_lo, s[0:1], v[1:2]
	s_or_b32 s3, vcc_lo, s3
	s_and_not1_b32 exec_lo, exec_lo, s3
	s_cbranch_execz .LBB186_30
.LBB186_100:                            ; =>This Loop Header: Depth=1
                                        ;     Child Loop BB186_102 Depth 2
	v_lshlrev_b64 v[3:4], 2, v[1:2]
	s_mov_b32 s4, 0
	s_delay_alu instid0(VALU_DEP_1) | instskip(NEXT) | instid1(VALU_DEP_2)
	v_add_co_u32 v5, vcc_lo, s38, v3
	v_add_co_ci_u32_e32 v6, vcc_lo, s39, v4, vcc_lo
	v_add_co_u32 v3, vcc_lo, s40, v3
	v_add_co_ci_u32_e32 v4, vcc_lo, s41, v4, vcc_lo
	global_load_b32 v5, v[5:6], off
	global_load_b32 v4, v[3:4], off
	s_waitcnt vmcnt(1)
	v_subrev_nc_u32_e32 v3, s47, v5
	s_delay_alu instid0(VALU_DEP_1) | instskip(SKIP_1) | instid1(VALU_DEP_1)
	v_mul_lo_u32 v5, 0x89, v3
	s_waitcnt vmcnt(0)
	v_dual_mul_f32 v4, v11, v4 :: v_dual_and_b32 v5, 0xfff, v5
	s_branch .LBB186_102
.LBB186_101:                            ;   in Loop: Header=BB186_102 Depth=2
	s_or_b32 exec_lo, exec_lo, s5
	s_xor_b32 s5, s6, -1
	s_delay_alu instid0(SALU_CYCLE_1) | instskip(NEXT) | instid1(SALU_CYCLE_1)
	s_and_b32 s5, exec_lo, s5
	s_or_b32 s4, s5, s4
	s_delay_alu instid0(SALU_CYCLE_1)
	s_and_not1_b32 exec_lo, exec_lo, s4
	s_cbranch_execz .LBB186_99
.LBB186_102:                            ;   Parent Loop BB186_100 Depth=1
                                        ; =>  This Inner Loop Header: Depth=2
	s_delay_alu instid0(VALU_DEP_1)
	v_lshl_add_u32 v6, v5, 2, 0
	s_mov_b32 s5, exec_lo
                                        ; implicit-def: $sgpr6
	ds_load_b32 v7, v6
	s_waitcnt lgkmcnt(0)
	v_cmpx_ne_u32_e64 v7, v3
	s_xor_b32 s5, exec_lo, s5
	s_cbranch_execz .LBB186_110
; %bb.103:                              ;   in Loop: Header=BB186_102 Depth=2
	s_mov_b32 s7, exec_lo
                                        ; implicit-def: $sgpr6
	v_cmpx_ne_u32_e64 s33, v7
	s_xor_b32 s7, exec_lo, s7
; %bb.104:                              ;   in Loop: Header=BB186_102 Depth=2
	v_add_nc_u32_e32 v5, 1, v5
	s_mov_b32 s6, -1
                                        ; implicit-def: $vgpr6
	s_delay_alu instid0(VALU_DEP_1)
	v_and_b32_e32 v5, 0xfff, v5
; %bb.105:                              ;   in Loop: Header=BB186_102 Depth=2
	s_and_not1_saveexec_b32 s7, s7
	s_cbranch_execz .LBB186_109
; %bb.106:                              ;   in Loop: Header=BB186_102 Depth=2
	v_mov_b32_e32 v7, s33
	s_mov_b32 s8, -1
	s_mov_b32 s9, exec_lo
	ds_cmpstore_rtn_b32 v7, v6, v3, v7
	s_waitcnt lgkmcnt(0)
	v_cmpx_eq_u32_e64 s33, v7
	s_cbranch_execz .LBB186_108
; %bb.107:                              ;   in Loop: Header=BB186_102 Depth=2
	ds_add_f32 v6, v4 offset:16384
	s_xor_b32 s8, exec_lo, -1
.LBB186_108:                            ;   in Loop: Header=BB186_102 Depth=2
	s_or_b32 exec_lo, exec_lo, s9
	s_delay_alu instid0(SALU_CYCLE_1) | instskip(SKIP_1) | instid1(SALU_CYCLE_1)
	s_and_not1_b32 s6, s6, exec_lo
	s_and_b32 s8, s8, exec_lo
	s_or_b32 s6, s6, s8
.LBB186_109:                            ;   in Loop: Header=BB186_102 Depth=2
	s_or_b32 exec_lo, exec_lo, s7
	s_delay_alu instid0(SALU_CYCLE_1)
	s_and_b32 s6, s6, exec_lo
                                        ; implicit-def: $vgpr6
.LBB186_110:                            ;   in Loop: Header=BB186_102 Depth=2
	s_and_not1_saveexec_b32 s5, s5
	s_cbranch_execz .LBB186_101
; %bb.111:                              ;   in Loop: Header=BB186_102 Depth=2
	ds_add_f32 v6, v4 offset:16384
	s_and_not1_b32 s6, s6, exec_lo
	s_branch .LBB186_101
.LBB186_112:
	s_or_b32 exec_lo, exec_lo, s35
	s_ashr_i32 s35, s34, 31
	s_mov_b32 s4, exec_lo
	s_lshl_b64 s[0:1], s[34:35], 3
	s_delay_alu instid0(SALU_CYCLE_1) | instskip(SKIP_4) | instid1(SALU_CYCLE_1)
	s_add_u32 s0, s42, s0
	s_addc_u32 s1, s43, s1
	s_load_b128 s[0:3], s[0:1], 0x0
	s_waitcnt lgkmcnt(0)
	s_sub_i32 s3, s2, s0
	v_cmpx_gt_i32_e64 s3, v0
	s_cbranch_execz .LBB186_122
; %bb.113:
	s_sub_u32 s4, s0, s46
	s_subb_u32 s5, s1, 0
	s_sub_i32 s0, s0, s2
	s_and_b32 s1, s3, 7
	s_cmp_lt_u32 s0, -7
	s_mov_b32 s8, 0
	s_cselect_b32 s2, -1, 0
	s_and_b32 s6, s3, -8
	s_cmp_lg_u32 s1, 0
	s_cselect_b32 s7, -1, 0
	s_branch .LBB186_115
.LBB186_114:                            ;   in Loop: Header=BB186_115 Depth=1
	s_delay_alu instid0(VALU_DEP_1) | instskip(SKIP_3) | instid1(VALU_DEP_3)
	v_lshlrev_b64 v[3:4], 2, v[3:4]
	v_add_nc_u32_e32 v0, 0x400, v0
	s_waitcnt lgkmcnt(0)
	v_add_nc_u32_e32 v1, s46, v1
	v_add_co_u32 v5, vcc_lo, s48, v3
	s_delay_alu instid0(VALU_DEP_4) | instskip(SKIP_2) | instid1(VALU_DEP_1)
	v_add_co_ci_u32_e32 v6, vcc_lo, s49, v4, vcc_lo
	v_cmp_le_i32_e32 vcc_lo, s3, v0
	v_add_co_u32 v3, s0, s50, v3
	v_add_co_ci_u32_e64 v4, s0, s51, v4, s0
	s_or_b32 s8, vcc_lo, s8
	global_store_b32 v[5:6], v1, off
	global_store_b32 v[3:4], v2, off
	s_and_not1_b32 exec_lo, exec_lo, s8
	s_cbranch_execz .LBB186_122
.LBB186_115:                            ; =>This Loop Header: Depth=1
                                        ;     Child Loop BB186_117 Depth 2
                                        ;     Child Loop BB186_121 Depth 2
	v_lshl_add_u32 v1, v0, 2, 0
	v_dual_mov_b32 v3, s4 :: v_dual_mov_b32 v4, s5
	s_and_not1_b32 vcc_lo, exec_lo, s2
	s_mov_b32 s0, 0
	ds_load_2addr_stride64_b32 v[1:2], v1 offset1:64
	s_cbranch_vccnz .LBB186_119
; %bb.116:                              ;   in Loop: Header=BB186_115 Depth=1
	v_dual_mov_b32 v3, s4 :: v_dual_mov_b32 v4, s5
	s_mov_b32 s9, 0
	s_mov_b32 s10, 0
.LBB186_117:                            ;   Parent Loop BB186_115 Depth=1
                                        ; =>  This Inner Loop Header: Depth=2
	s_delay_alu instid0(SALU_CYCLE_1)
	v_mov_b32_e32 v11, s10
	s_add_i32 s9, s9, 8
	s_add_i32 s10, s10, 32
	s_cmp_eq_u32 s6, s9
	ds_load_2addr_b32 v[5:6], v11 offset1:1
	ds_load_2addr_b32 v[7:8], v11 offset0:2 offset1:3
	ds_load_2addr_b32 v[9:10], v11 offset0:4 offset1:5
	ds_load_2addr_b32 v[11:12], v11 offset0:6 offset1:7
	s_waitcnt lgkmcnt(3)
	v_cmp_gt_i32_e32 vcc_lo, v1, v5
	v_cndmask_b32_e64 v5, 0, 1, vcc_lo
	v_cmp_gt_i32_e32 vcc_lo, v1, v6
	v_cndmask_b32_e64 v6, 0, 1, vcc_lo
	s_waitcnt lgkmcnt(2)
	v_cmp_gt_i32_e32 vcc_lo, v1, v7
	v_cndmask_b32_e64 v7, 0, 1, vcc_lo
	v_cmp_gt_i32_e32 vcc_lo, v1, v8
	v_cndmask_b32_e64 v8, 0, 1, vcc_lo
	s_waitcnt lgkmcnt(1)
	v_cmp_gt_i32_e32 vcc_lo, v1, v9
	v_cndmask_b32_e64 v9, 0, 1, vcc_lo
	v_add_co_u32 v3, vcc_lo, v3, v5
	v_add_co_ci_u32_e32 v4, vcc_lo, 0, v4, vcc_lo
	v_cmp_gt_i32_e32 vcc_lo, v1, v10
	s_delay_alu instid0(VALU_DEP_3) | instskip(NEXT) | instid1(VALU_DEP_1)
	v_add_co_u32 v3, s0, v3, v6
	v_add_co_ci_u32_e64 v4, s0, 0, v4, s0
	v_cndmask_b32_e64 v5, 0, 1, vcc_lo
	s_delay_alu instid0(VALU_DEP_3) | instskip(NEXT) | instid1(VALU_DEP_3)
	v_add_co_u32 v3, vcc_lo, v3, v7
	v_add_co_ci_u32_e32 v4, vcc_lo, 0, v4, vcc_lo
	s_waitcnt lgkmcnt(0)
	v_cmp_gt_i32_e32 vcc_lo, v1, v11
	s_delay_alu instid0(VALU_DEP_3) | instskip(NEXT) | instid1(VALU_DEP_1)
	v_add_co_u32 v3, s0, v3, v8
	v_add_co_ci_u32_e64 v4, s0, 0, v4, s0
	v_cndmask_b32_e64 v6, 0, 1, vcc_lo
	s_delay_alu instid0(VALU_DEP_3) | instskip(NEXT) | instid1(VALU_DEP_3)
	v_add_co_u32 v3, vcc_lo, v3, v9
	v_add_co_ci_u32_e32 v4, vcc_lo, 0, v4, vcc_lo
	v_cmp_gt_i32_e32 vcc_lo, v1, v12
	s_delay_alu instid0(VALU_DEP_3) | instskip(NEXT) | instid1(VALU_DEP_1)
	v_add_co_u32 v3, s0, v3, v5
	v_add_co_ci_u32_e64 v4, s0, 0, v4, s0
	v_cndmask_b32_e64 v5, 0, 1, vcc_lo
	s_delay_alu instid0(VALU_DEP_3) | instskip(NEXT) | instid1(VALU_DEP_3)
	v_add_co_u32 v3, vcc_lo, v3, v6
	v_add_co_ci_u32_e32 v4, vcc_lo, 0, v4, vcc_lo
	s_delay_alu instid0(VALU_DEP_2) | instskip(NEXT) | instid1(VALU_DEP_2)
	v_add_co_u32 v3, vcc_lo, v3, v5
	v_add_co_ci_u32_e32 v4, vcc_lo, 0, v4, vcc_lo
	s_cbranch_scc0 .LBB186_117
; %bb.118:                              ;   in Loop: Header=BB186_115 Depth=1
	s_mov_b32 s0, s6
.LBB186_119:                            ;   in Loop: Header=BB186_115 Depth=1
	s_and_not1_b32 vcc_lo, exec_lo, s7
	s_cbranch_vccnz .LBB186_114
; %bb.120:                              ;   in Loop: Header=BB186_115 Depth=1
	s_lshl_b32 s0, s0, 2
	s_mov_b32 s9, s1
	s_add_i32 s0, s0, 0
.LBB186_121:                            ;   Parent Loop BB186_115 Depth=1
                                        ; =>  This Inner Loop Header: Depth=2
	s_delay_alu instid0(SALU_CYCLE_1)
	v_mov_b32_e32 v5, s0
	s_add_i32 s9, s9, -1
	s_add_i32 s0, s0, 4
	s_cmp_lg_u32 s9, 0
	ds_load_b32 v5, v5
	s_waitcnt lgkmcnt(0)
	v_cmp_gt_i32_e32 vcc_lo, v1, v5
	v_cndmask_b32_e64 v5, 0, 1, vcc_lo
	s_delay_alu instid0(VALU_DEP_1)
	v_add_co_u32 v3, vcc_lo, v3, v5
	v_add_co_ci_u32_e32 v4, vcc_lo, 0, v4, vcc_lo
	s_cbranch_scc1 .LBB186_121
	s_branch .LBB186_114
.LBB186_122:
	s_nop 0
	s_sendmsg sendmsg(MSG_DEALLOC_VGPRS)
	s_endpgm
	.section	.rodata,"a",@progbits
	.p2align	6, 0x0
	.amdhsa_kernel _ZN9rocsparseL26csrgemm_fill_block_per_rowILj1024ELj64ELj4096ELj137ELj32ElifEEvT5_PKS1_S3_NS_24const_host_device_scalarIT6_EEPKT4_S3_PKS5_S9_S3_SB_S6_S9_S3_SB_S9_PS1_PS5_21rocsparse_index_base_SE_SE_SE_bbb
		.amdhsa_group_segment_fixed_size 0
		.amdhsa_private_segment_fixed_size 0
		.amdhsa_kernarg_size 156
		.amdhsa_user_sgpr_count 15
		.amdhsa_user_sgpr_dispatch_ptr 0
		.amdhsa_user_sgpr_queue_ptr 0
		.amdhsa_user_sgpr_kernarg_segment_ptr 1
		.amdhsa_user_sgpr_dispatch_id 0
		.amdhsa_user_sgpr_private_segment_size 0
		.amdhsa_wavefront_size32 1
		.amdhsa_uses_dynamic_stack 0
		.amdhsa_enable_private_segment 0
		.amdhsa_system_sgpr_workgroup_id_x 1
		.amdhsa_system_sgpr_workgroup_id_y 0
		.amdhsa_system_sgpr_workgroup_id_z 0
		.amdhsa_system_sgpr_workgroup_info 0
		.amdhsa_system_vgpr_workitem_id 0
		.amdhsa_next_free_vgpr 19
		.amdhsa_next_free_sgpr 52
		.amdhsa_reserve_vcc 1
		.amdhsa_float_round_mode_32 0
		.amdhsa_float_round_mode_16_64 0
		.amdhsa_float_denorm_mode_32 3
		.amdhsa_float_denorm_mode_16_64 3
		.amdhsa_dx10_clamp 1
		.amdhsa_ieee_mode 1
		.amdhsa_fp16_overflow 0
		.amdhsa_workgroup_processor_mode 1
		.amdhsa_memory_ordered 1
		.amdhsa_forward_progress 0
		.amdhsa_shared_vgpr_count 0
		.amdhsa_exception_fp_ieee_invalid_op 0
		.amdhsa_exception_fp_denorm_src 0
		.amdhsa_exception_fp_ieee_div_zero 0
		.amdhsa_exception_fp_ieee_overflow 0
		.amdhsa_exception_fp_ieee_underflow 0
		.amdhsa_exception_fp_ieee_inexact 0
		.amdhsa_exception_int_div_zero 0
	.end_amdhsa_kernel
	.section	.text._ZN9rocsparseL26csrgemm_fill_block_per_rowILj1024ELj64ELj4096ELj137ELj32ElifEEvT5_PKS1_S3_NS_24const_host_device_scalarIT6_EEPKT4_S3_PKS5_S9_S3_SB_S6_S9_S3_SB_S9_PS1_PS5_21rocsparse_index_base_SE_SE_SE_bbb,"axG",@progbits,_ZN9rocsparseL26csrgemm_fill_block_per_rowILj1024ELj64ELj4096ELj137ELj32ElifEEvT5_PKS1_S3_NS_24const_host_device_scalarIT6_EEPKT4_S3_PKS5_S9_S3_SB_S6_S9_S3_SB_S9_PS1_PS5_21rocsparse_index_base_SE_SE_SE_bbb,comdat
.Lfunc_end186:
	.size	_ZN9rocsparseL26csrgemm_fill_block_per_rowILj1024ELj64ELj4096ELj137ELj32ElifEEvT5_PKS1_S3_NS_24const_host_device_scalarIT6_EEPKT4_S3_PKS5_S9_S3_SB_S6_S9_S3_SB_S9_PS1_PS5_21rocsparse_index_base_SE_SE_SE_bbb, .Lfunc_end186-_ZN9rocsparseL26csrgemm_fill_block_per_rowILj1024ELj64ELj4096ELj137ELj32ElifEEvT5_PKS1_S3_NS_24const_host_device_scalarIT6_EEPKT4_S3_PKS5_S9_S3_SB_S6_S9_S3_SB_S9_PS1_PS5_21rocsparse_index_base_SE_SE_SE_bbb
                                        ; -- End function
	.section	.AMDGPU.csdata,"",@progbits
; Kernel info:
; codeLenInByte = 4124
; NumSgprs: 54
; NumVgprs: 19
; ScratchSize: 0
; MemoryBound: 0
; FloatMode: 240
; IeeeMode: 1
; LDSByteSize: 0 bytes/workgroup (compile time only)
; SGPRBlocks: 6
; VGPRBlocks: 2
; NumSGPRsForWavesPerEU: 54
; NumVGPRsForWavesPerEU: 19
; Occupancy: 16
; WaveLimiterHint : 1
; COMPUTE_PGM_RSRC2:SCRATCH_EN: 0
; COMPUTE_PGM_RSRC2:USER_SGPR: 15
; COMPUTE_PGM_RSRC2:TRAP_HANDLER: 0
; COMPUTE_PGM_RSRC2:TGID_X_EN: 1
; COMPUTE_PGM_RSRC2:TGID_Y_EN: 0
; COMPUTE_PGM_RSRC2:TGID_Z_EN: 0
; COMPUTE_PGM_RSRC2:TIDIG_COMP_CNT: 0
	.section	.text._ZN9rocsparseL26csrgemm_fill_block_per_rowILj1024ELj64ELj4096ELj137ELj64ElifEEvT5_PKS1_S3_NS_24const_host_device_scalarIT6_EEPKT4_S3_PKS5_S9_S3_SB_S6_S9_S3_SB_S9_PS1_PS5_21rocsparse_index_base_SE_SE_SE_bbb,"axG",@progbits,_ZN9rocsparseL26csrgemm_fill_block_per_rowILj1024ELj64ELj4096ELj137ELj64ElifEEvT5_PKS1_S3_NS_24const_host_device_scalarIT6_EEPKT4_S3_PKS5_S9_S3_SB_S6_S9_S3_SB_S9_PS1_PS5_21rocsparse_index_base_SE_SE_SE_bbb,comdat
	.globl	_ZN9rocsparseL26csrgemm_fill_block_per_rowILj1024ELj64ELj4096ELj137ELj64ElifEEvT5_PKS1_S3_NS_24const_host_device_scalarIT6_EEPKT4_S3_PKS5_S9_S3_SB_S6_S9_S3_SB_S9_PS1_PS5_21rocsparse_index_base_SE_SE_SE_bbb ; -- Begin function _ZN9rocsparseL26csrgemm_fill_block_per_rowILj1024ELj64ELj4096ELj137ELj64ElifEEvT5_PKS1_S3_NS_24const_host_device_scalarIT6_EEPKT4_S3_PKS5_S9_S3_SB_S6_S9_S3_SB_S9_PS1_PS5_21rocsparse_index_base_SE_SE_SE_bbb
	.p2align	8
	.type	_ZN9rocsparseL26csrgemm_fill_block_per_rowILj1024ELj64ELj4096ELj137ELj64ElifEEvT5_PKS1_S3_NS_24const_host_device_scalarIT6_EEPKT4_S3_PKS5_S9_S3_SB_S6_S9_S3_SB_S9_PS1_PS5_21rocsparse_index_base_SE_SE_SE_bbb,@function
_ZN9rocsparseL26csrgemm_fill_block_per_rowILj1024ELj64ELj4096ELj137ELj64ElifEEvT5_PKS1_S3_NS_24const_host_device_scalarIT6_EEPKT4_S3_PKS5_S9_S3_SB_S6_S9_S3_SB_S9_PS1_PS5_21rocsparse_index_base_SE_SE_SE_bbb: ; @_ZN9rocsparseL26csrgemm_fill_block_per_rowILj1024ELj64ELj4096ELj137ELj64ElifEEvT5_PKS1_S3_NS_24const_host_device_scalarIT6_EEPKT4_S3_PKS5_S9_S3_SB_S6_S9_S3_SB_S9_PS1_PS5_21rocsparse_index_base_SE_SE_SE_bbb
; %bb.0:
	s_clause 0x3
	s_load_b32 s12, s[0:1], 0x98
	s_load_b128 s[24:27], s[0:1], 0x88
	s_load_b64 s[4:5], s[0:1], 0x18
	s_load_b64 s[2:3], s[0:1], 0x50
	s_waitcnt lgkmcnt(0)
	s_bitcmp1_b32 s12, 0
	s_cselect_b32 s13, -1, 0
	s_bitcmp1_b32 s12, 16
	s_cselect_b32 s14, -1, 0
	s_xor_b32 s6, s13, -1
	s_delay_alu instid0(SALU_CYCLE_1) | instskip(NEXT) | instid1(SALU_CYCLE_1)
	s_or_b32 s6, s6, s14
	s_and_b32 vcc_lo, exec_lo, s6
	s_cbranch_vccnz .LBB187_2
; %bb.1:
	s_load_b32 s4, s[4:5], 0x0
	s_waitcnt lgkmcnt(0)
	v_mov_b32_e32 v13, s4
	s_branch .LBB187_3
.LBB187_2:
	v_cndmask_b32_e64 v13, 0, s4, s13
.LBB187_3:
	s_clause 0x4
	s_load_b128 s[28:31], s[0:1], 0x78
	s_load_b256 s[16:23], s[0:1], 0x58
	s_load_b128 s[36:39], s[0:1], 0x40
	s_load_b128 s[40:43], s[0:1], 0x8
	s_load_b256 s[4:11], s[0:1], 0x20
	s_bitcmp1_b32 s12, 8
	s_cselect_b32 s12, -1, 0
	s_delay_alu instid0(SALU_CYCLE_1) | instskip(NEXT) | instid1(SALU_CYCLE_1)
	s_xor_b32 s33, s12, -1
	s_or_b32 s14, s33, s14
	s_delay_alu instid0(SALU_CYCLE_1)
	s_and_b32 vcc_lo, exec_lo, s14
	s_cbranch_vccnz .LBB187_5
; %bb.4:
	s_load_b32 s2, s[2:3], 0x0
	s_waitcnt lgkmcnt(0)
	v_mov_b32_e32 v11, s2
	s_branch .LBB187_6
.LBB187_5:
	v_cndmask_b32_e64 v11, 0, s2, s12
.LBB187_6:
	s_load_b32 s33, s[0:1], 0x0
	v_lshl_add_u32 v9, v0, 2, 0
	v_or_b32_e32 v10, 0xfffffc00, v0
	v_mov_b32_e32 v1, 0
	s_mov_b32 s0, 0
	s_delay_alu instid0(VALU_DEP_3)
	v_mov_b32_e32 v2, v9
	s_waitcnt lgkmcnt(0)
	v_dual_mov_b32 v4, v10 :: v_dual_mov_b32 v3, s33
.LBB187_7:                              ; =>This Inner Loop Header: Depth=1
	s_delay_alu instid0(VALU_DEP_1) | instskip(SKIP_4) | instid1(SALU_CYCLE_1)
	v_add_nc_u32_e32 v4, 0x400, v4
	ds_store_2addr_stride64_b32 v2, v3, v1 offset1:64
	v_add_nc_u32_e32 v2, 0x1000, v2
	v_cmp_lt_u32_e32 vcc_lo, 0xbff, v4
	s_or_b32 s0, vcc_lo, s0
	s_and_not1_b32 exec_lo, exec_lo, s0
	s_cbranch_execnz .LBB187_7
; %bb.8:
	s_or_b32 exec_lo, exec_lo, s0
	s_waitcnt lgkmcnt(0)
	s_barrier
	buffer_gl0_inv
	s_load_b32 s0, s[40:41], 0x0
	s_mov_b32 s1, 0
	v_lshrrev_b32_e32 v12, 6, v0
	s_waitcnt lgkmcnt(0)
	s_add_i32 s0, s0, s15
	s_delay_alu instid0(SALU_CYCLE_1) | instskip(NEXT) | instid1(SALU_CYCLE_1)
	s_lshl_b64 s[0:1], s[0:1], 2
	s_add_u32 s0, s42, s0
	s_addc_u32 s1, s43, s1
	s_and_b32 vcc_lo, exec_lo, s13
	s_load_b32 s34, s[0:1], 0x0
	s_cbranch_vccz .LBB187_28
; %bb.9:
	s_waitcnt lgkmcnt(0)
	s_ashr_i32 s35, s34, 31
	s_delay_alu instid0(SALU_CYCLE_1) | instskip(NEXT) | instid1(SALU_CYCLE_1)
	s_lshl_b64 s[0:1], s[34:35], 3
	s_add_u32 s0, s4, s0
	s_addc_u32 s1, s5, s1
	v_sub_co_u32 v1, s4, v12, s24
	s_load_b128 s[0:3], s[0:1], 0x0
	v_sub_co_ci_u32_e64 v2, null, 0, 0, s4
	s_waitcnt lgkmcnt(0)
	s_delay_alu instid0(VALU_DEP_2) | instskip(NEXT) | instid1(VALU_DEP_2)
	v_add_co_u32 v1, vcc_lo, s0, v1
	v_add_co_ci_u32_e32 v2, vcc_lo, s1, v2, vcc_lo
	s_sub_u32 s0, s2, s24
	s_subb_u32 s1, s3, 0
	s_mov_b32 s2, exec_lo
	s_delay_alu instid0(VALU_DEP_1)
	v_cmpx_gt_i64_e64 s[0:1], v[1:2]
	s_cbranch_execz .LBB187_27
; %bb.10:
	v_and_b32_e32 v3, 63, v0
	s_mov_b32 s4, s25
	s_delay_alu instid0(VALU_DEP_1) | instskip(NEXT) | instid1(VALU_DEP_1)
	v_sub_co_u32 v14, s3, v3, s25
	v_sub_co_ci_u32_e64 v15, null, 0, 0, s3
	s_mov_b32 s3, 0
	s_branch .LBB187_12
.LBB187_11:                             ;   in Loop: Header=BB187_12 Depth=1
	s_or_b32 exec_lo, exec_lo, s5
	v_add_co_u32 v1, vcc_lo, v1, 16
	v_add_co_ci_u32_e32 v2, vcc_lo, 0, v2, vcc_lo
	s_delay_alu instid0(VALU_DEP_1) | instskip(SKIP_1) | instid1(SALU_CYCLE_1)
	v_cmp_le_i64_e32 vcc_lo, s[0:1], v[1:2]
	s_or_b32 s3, vcc_lo, s3
	s_and_not1_b32 exec_lo, exec_lo, s3
	s_cbranch_execz .LBB187_27
.LBB187_12:                             ; =>This Loop Header: Depth=1
                                        ;     Child Loop BB187_15 Depth 2
                                        ;       Child Loop BB187_17 Depth 3
	v_lshlrev_b64 v[7:8], 2, v[1:2]
	s_mov_b32 s5, exec_lo
	s_delay_alu instid0(VALU_DEP_1) | instskip(NEXT) | instid1(VALU_DEP_2)
	v_add_co_u32 v3, vcc_lo, s6, v7
	v_add_co_ci_u32_e32 v4, vcc_lo, s7, v8, vcc_lo
	global_load_b32 v3, v[3:4], off
	s_waitcnt vmcnt(0)
	v_subrev_nc_u32_e32 v3, s24, v3
	s_delay_alu instid0(VALU_DEP_1) | instskip(NEXT) | instid1(VALU_DEP_1)
	v_ashrrev_i32_e32 v4, 31, v3
	v_lshlrev_b64 v[3:4], 3, v[3:4]
	s_delay_alu instid0(VALU_DEP_1) | instskip(NEXT) | instid1(VALU_DEP_2)
	v_add_co_u32 v3, vcc_lo, s10, v3
	v_add_co_ci_u32_e32 v4, vcc_lo, s11, v4, vcc_lo
	global_load_b128 v[16:19], v[3:4], off
	s_waitcnt vmcnt(0)
	v_sub_co_u32 v3, vcc_lo, v18, s4
	v_subrev_co_ci_u32_e32 v4, vcc_lo, 0, v19, vcc_lo
	v_add_co_u32 v5, vcc_lo, v16, v14
	v_add_co_ci_u32_e32 v6, vcc_lo, v17, v15, vcc_lo
	s_delay_alu instid0(VALU_DEP_1)
	v_cmpx_lt_i64_e64 v[5:6], v[3:4]
	s_cbranch_execz .LBB187_11
; %bb.13:                               ;   in Loop: Header=BB187_12 Depth=1
	v_add_co_u32 v7, vcc_lo, s8, v7
	v_add_co_ci_u32_e32 v8, vcc_lo, s9, v8, vcc_lo
	s_mov_b32 s13, 0
	global_load_b32 v7, v[7:8], off
	s_waitcnt vmcnt(0)
	v_mul_f32_e32 v7, v13, v7
	s_branch .LBB187_15
.LBB187_14:                             ;   in Loop: Header=BB187_15 Depth=2
	s_or_b32 exec_lo, exec_lo, s14
	v_add_co_u32 v5, vcc_lo, v5, 64
	v_add_co_ci_u32_e32 v6, vcc_lo, 0, v6, vcc_lo
	s_delay_alu instid0(VALU_DEP_1) | instskip(SKIP_1) | instid1(SALU_CYCLE_1)
	v_cmp_ge_i64_e32 vcc_lo, v[5:6], v[3:4]
	s_or_b32 s13, vcc_lo, s13
	s_and_not1_b32 exec_lo, exec_lo, s13
	s_cbranch_execz .LBB187_11
.LBB187_15:                             ;   Parent Loop BB187_12 Depth=1
                                        ; =>  This Loop Header: Depth=2
                                        ;       Child Loop BB187_17 Depth 3
	v_lshlrev_b64 v[16:17], 2, v[5:6]
	s_mov_b32 s14, 0
	s_delay_alu instid0(VALU_DEP_1) | instskip(NEXT) | instid1(VALU_DEP_2)
	v_add_co_u32 v18, vcc_lo, s36, v16
	v_add_co_ci_u32_e32 v19, vcc_lo, s37, v17, vcc_lo
	v_add_co_u32 v16, vcc_lo, s38, v16
	v_add_co_ci_u32_e32 v17, vcc_lo, s39, v17, vcc_lo
	global_load_b32 v8, v[18:19], off
	global_load_b32 v16, v[16:17], off
	s_waitcnt vmcnt(1)
	v_subrev_nc_u32_e32 v8, s25, v8
	s_delay_alu instid0(VALU_DEP_1) | instskip(SKIP_1) | instid1(VALU_DEP_1)
	v_mul_lo_u32 v17, 0x89, v8
	s_waitcnt vmcnt(0)
	v_dual_mul_f32 v16, v7, v16 :: v_dual_and_b32 v17, 0xfff, v17
	s_branch .LBB187_17
.LBB187_16:                             ;   in Loop: Header=BB187_17 Depth=3
	s_or_b32 exec_lo, exec_lo, s15
	s_xor_b32 s15, s35, -1
	s_delay_alu instid0(SALU_CYCLE_1) | instskip(NEXT) | instid1(SALU_CYCLE_1)
	s_and_b32 s15, exec_lo, s15
	s_or_b32 s14, s15, s14
	s_delay_alu instid0(SALU_CYCLE_1)
	s_and_not1_b32 exec_lo, exec_lo, s14
	s_cbranch_execz .LBB187_14
.LBB187_17:                             ;   Parent Loop BB187_12 Depth=1
                                        ;     Parent Loop BB187_15 Depth=2
                                        ; =>    This Inner Loop Header: Depth=3
	s_delay_alu instid0(VALU_DEP_1)
	v_lshl_add_u32 v18, v17, 2, 0
	s_mov_b32 s15, exec_lo
                                        ; implicit-def: $sgpr35
	ds_load_b32 v19, v18
	s_waitcnt lgkmcnt(0)
	v_cmpx_ne_u32_e64 v19, v8
	s_xor_b32 s15, exec_lo, s15
	s_cbranch_execz .LBB187_25
; %bb.18:                               ;   in Loop: Header=BB187_17 Depth=3
	s_mov_b32 s40, exec_lo
                                        ; implicit-def: $sgpr35
	v_cmpx_ne_u32_e64 s33, v19
	s_xor_b32 s40, exec_lo, s40
; %bb.19:                               ;   in Loop: Header=BB187_17 Depth=3
	v_add_nc_u32_e32 v17, 1, v17
	s_mov_b32 s35, -1
                                        ; implicit-def: $vgpr18
	s_delay_alu instid0(VALU_DEP_1)
	v_and_b32_e32 v17, 0xfff, v17
; %bb.20:                               ;   in Loop: Header=BB187_17 Depth=3
	s_and_not1_saveexec_b32 s40, s40
	s_cbranch_execz .LBB187_24
; %bb.21:                               ;   in Loop: Header=BB187_17 Depth=3
	v_mov_b32_e32 v19, s33
	s_mov_b32 s41, -1
	s_mov_b32 s42, exec_lo
	ds_cmpstore_rtn_b32 v19, v18, v8, v19
	s_waitcnt lgkmcnt(0)
	v_cmpx_eq_u32_e64 s33, v19
	s_cbranch_execz .LBB187_23
; %bb.22:                               ;   in Loop: Header=BB187_17 Depth=3
	ds_add_f32 v18, v16 offset:16384
	s_xor_b32 s41, exec_lo, -1
.LBB187_23:                             ;   in Loop: Header=BB187_17 Depth=3
	s_or_b32 exec_lo, exec_lo, s42
	s_delay_alu instid0(SALU_CYCLE_1) | instskip(SKIP_1) | instid1(SALU_CYCLE_1)
	s_and_not1_b32 s35, s35, exec_lo
	s_and_b32 s41, s41, exec_lo
	s_or_b32 s35, s35, s41
.LBB187_24:                             ;   in Loop: Header=BB187_17 Depth=3
	s_or_b32 exec_lo, exec_lo, s40
	s_delay_alu instid0(SALU_CYCLE_1)
	s_and_b32 s35, s35, exec_lo
                                        ; implicit-def: $vgpr18
.LBB187_25:                             ;   in Loop: Header=BB187_17 Depth=3
	s_and_not1_saveexec_b32 s15, s15
	s_cbranch_execz .LBB187_16
; %bb.26:                               ;   in Loop: Header=BB187_17 Depth=3
	ds_add_f32 v18, v16 offset:16384
	s_and_not1_b32 s35, s35, exec_lo
	s_branch .LBB187_16
.LBB187_27:
	s_or_b32 exec_lo, exec_lo, s2
.LBB187_28:
	s_delay_alu instid0(SALU_CYCLE_1)
	s_and_not1_b32 vcc_lo, exec_lo, s12
	s_cbranch_vccnz .LBB187_31
; %bb.29:
	s_waitcnt lgkmcnt(0)
	s_ashr_i32 s35, s34, 31
	v_sub_co_u32 v1, s4, v0, s27
	s_lshl_b64 s[0:1], s[34:35], 3
	v_sub_co_ci_u32_e64 v2, null, 0, 0, s4
	s_add_u32 s0, s16, s0
	s_addc_u32 s1, s17, s1
	s_load_b128 s[0:3], s[0:1], 0x0
	s_waitcnt lgkmcnt(0)
	v_add_co_u32 v1, vcc_lo, s0, v1
	v_add_co_ci_u32_e32 v2, vcc_lo, s1, v2, vcc_lo
	s_sub_u32 s0, s2, s27
	s_subb_u32 s1, s3, 0
	s_mov_b32 s3, 0
	s_mov_b32 s2, exec_lo
	v_cmpx_gt_i64_e64 s[0:1], v[1:2]
	s_cbranch_execnz .LBB187_68
.LBB187_30:
	s_or_b32 exec_lo, exec_lo, s2
.LBB187_31:
	v_mbcnt_lo_u32_b32 v1, -1, 0
	v_lshl_add_u32 v4, v12, 2, 0
	v_cmp_eq_u32_e32 vcc_lo, 0x3ff, v0
	v_cmp_lt_u32_e64 s0, 63, v0
	v_cmp_lt_u32_e64 s1, 0x7f, v0
	v_xor_b32_e32 v1, 63, v1
	v_cmp_lt_u32_e64 s2, 0xbf, v0
	v_cmp_lt_u32_e64 s3, 0xff, v0
	;; [unrolled: 1-line block ×4, first 2 shown]
	v_lshrrev_b64 v[1:2], v1, -1
	v_cmp_lt_u32_e64 s6, 0x1bf, v0
	v_cmp_lt_u32_e64 s7, 0x1ff, v0
	;; [unrolled: 1-line block ×9, first 2 shown]
	v_dual_mov_b32 v5, 0 :: v_dual_mov_b32 v6, 0
	s_mov_b32 s16, 0
	s_waitcnt lgkmcnt(0)
	s_barrier
	buffer_gl0_inv
	s_branch .LBB187_33
.LBB187_32:                             ;   in Loop: Header=BB187_33 Depth=1
	s_or_b32 exec_lo, exec_lo, s15
	s_waitcnt lgkmcnt(0)
	s_barrier
	buffer_gl0_inv
	ds_load_b32 v2, v5 offset:32828
	v_add_nc_u32_e32 v10, 0x400, v10
	v_add_nc_u32_e32 v9, 0x1000, v9
	s_delay_alu instid0(VALU_DEP_2) | instskip(NEXT) | instid1(VALU_DEP_1)
	v_cmp_lt_u32_e64 s15, 0xbff, v10
	s_or_b32 s16, s15, s16
	s_waitcnt lgkmcnt(0)
	v_add_nc_u32_e32 v6, v2, v6
	s_and_not1_b32 exec_lo, exec_lo, s16
	s_cbranch_execz .LBB187_80
.LBB187_33:                             ; =>This Inner Loop Header: Depth=1
	ds_load_2addr_stride64_b32 v[2:3], v9 offset1:64
	s_waitcnt lgkmcnt(0)
	s_barrier
	buffer_gl0_inv
	v_cmp_gt_i32_e64 s15, s33, v2
	s_delay_alu instid0(VALU_DEP_1) | instskip(NEXT) | instid1(SALU_CYCLE_1)
	s_bcnt1_i32_b32 s17, s15
	v_dual_mov_b32 v8, s17 :: v_dual_and_b32 v7, s15, v1
	s_delay_alu instid0(VALU_DEP_1)
	v_bcnt_u32_b32 v7, v7, 0
	ds_store_b32 v4, v8 offset:32768
	s_waitcnt lgkmcnt(0)
	s_barrier
	buffer_gl0_inv
	s_and_saveexec_b32 s17, s0
	s_cbranch_execnz .LBB187_50
; %bb.34:                               ;   in Loop: Header=BB187_33 Depth=1
	s_or_b32 exec_lo, exec_lo, s17
	s_and_saveexec_b32 s17, s1
	s_cbranch_execnz .LBB187_51
.LBB187_35:                             ;   in Loop: Header=BB187_33 Depth=1
	s_or_b32 exec_lo, exec_lo, s17
	s_and_saveexec_b32 s17, s2
	s_cbranch_execnz .LBB187_52
.LBB187_36:                             ;   in Loop: Header=BB187_33 Depth=1
	s_or_b32 exec_lo, exec_lo, s17
	s_and_saveexec_b32 s17, s3
	s_cbranch_execnz .LBB187_53
.LBB187_37:                             ;   in Loop: Header=BB187_33 Depth=1
	s_or_b32 exec_lo, exec_lo, s17
	s_and_saveexec_b32 s17, s4
	s_cbranch_execnz .LBB187_54
.LBB187_38:                             ;   in Loop: Header=BB187_33 Depth=1
	s_or_b32 exec_lo, exec_lo, s17
	s_and_saveexec_b32 s17, s5
	s_cbranch_execnz .LBB187_55
.LBB187_39:                             ;   in Loop: Header=BB187_33 Depth=1
	s_or_b32 exec_lo, exec_lo, s17
	s_and_saveexec_b32 s17, s6
	s_cbranch_execnz .LBB187_56
.LBB187_40:                             ;   in Loop: Header=BB187_33 Depth=1
	s_or_b32 exec_lo, exec_lo, s17
	s_and_saveexec_b32 s17, s7
	s_cbranch_execnz .LBB187_57
.LBB187_41:                             ;   in Loop: Header=BB187_33 Depth=1
	s_or_b32 exec_lo, exec_lo, s17
	s_and_saveexec_b32 s17, s8
	s_cbranch_execnz .LBB187_58
.LBB187_42:                             ;   in Loop: Header=BB187_33 Depth=1
	s_or_b32 exec_lo, exec_lo, s17
	s_and_saveexec_b32 s17, s9
	s_cbranch_execnz .LBB187_59
.LBB187_43:                             ;   in Loop: Header=BB187_33 Depth=1
	s_or_b32 exec_lo, exec_lo, s17
	s_and_saveexec_b32 s17, s10
	s_cbranch_execnz .LBB187_60
.LBB187_44:                             ;   in Loop: Header=BB187_33 Depth=1
	s_or_b32 exec_lo, exec_lo, s17
	s_and_saveexec_b32 s17, s11
	s_cbranch_execnz .LBB187_61
.LBB187_45:                             ;   in Loop: Header=BB187_33 Depth=1
	s_or_b32 exec_lo, exec_lo, s17
	s_and_saveexec_b32 s17, s12
	s_cbranch_execnz .LBB187_62
.LBB187_46:                             ;   in Loop: Header=BB187_33 Depth=1
	s_or_b32 exec_lo, exec_lo, s17
	s_and_saveexec_b32 s17, s13
	s_cbranch_execnz .LBB187_63
.LBB187_47:                             ;   in Loop: Header=BB187_33 Depth=1
	s_or_b32 exec_lo, exec_lo, s17
	s_and_saveexec_b32 s17, s14
	s_cbranch_execnz .LBB187_64
.LBB187_48:                             ;   in Loop: Header=BB187_33 Depth=1
	s_or_b32 exec_lo, exec_lo, s17
	s_and_saveexec_b32 s17, s15
	s_cbranch_execnz .LBB187_65
.LBB187_49:                             ;   in Loop: Header=BB187_33 Depth=1
	s_or_b32 exec_lo, exec_lo, s17
	s_and_saveexec_b32 s15, vcc_lo
	s_cbranch_execz .LBB187_32
	s_branch .LBB187_66
.LBB187_50:                             ;   in Loop: Header=BB187_33 Depth=1
	ds_load_b32 v8, v5 offset:32768
	s_waitcnt lgkmcnt(0)
	v_add_nc_u32_e32 v7, v8, v7
	s_or_b32 exec_lo, exec_lo, s17
	s_and_saveexec_b32 s17, s1
	s_cbranch_execz .LBB187_35
.LBB187_51:                             ;   in Loop: Header=BB187_33 Depth=1
	ds_load_b32 v8, v5 offset:32772
	s_waitcnt lgkmcnt(0)
	v_add_nc_u32_e32 v7, v8, v7
	s_or_b32 exec_lo, exec_lo, s17
	s_and_saveexec_b32 s17, s2
	s_cbranch_execz .LBB187_36
.LBB187_52:                             ;   in Loop: Header=BB187_33 Depth=1
	ds_load_b32 v8, v5 offset:32776
	s_waitcnt lgkmcnt(0)
	v_add_nc_u32_e32 v7, v8, v7
	s_or_b32 exec_lo, exec_lo, s17
	s_and_saveexec_b32 s17, s3
	s_cbranch_execz .LBB187_37
.LBB187_53:                             ;   in Loop: Header=BB187_33 Depth=1
	ds_load_b32 v8, v5 offset:32780
	s_waitcnt lgkmcnt(0)
	v_add_nc_u32_e32 v7, v8, v7
	s_or_b32 exec_lo, exec_lo, s17
	s_and_saveexec_b32 s17, s4
	s_cbranch_execz .LBB187_38
.LBB187_54:                             ;   in Loop: Header=BB187_33 Depth=1
	ds_load_b32 v8, v5 offset:32784
	s_waitcnt lgkmcnt(0)
	v_add_nc_u32_e32 v7, v8, v7
	s_or_b32 exec_lo, exec_lo, s17
	s_and_saveexec_b32 s17, s5
	s_cbranch_execz .LBB187_39
.LBB187_55:                             ;   in Loop: Header=BB187_33 Depth=1
	ds_load_b32 v8, v5 offset:32788
	s_waitcnt lgkmcnt(0)
	v_add_nc_u32_e32 v7, v8, v7
	s_or_b32 exec_lo, exec_lo, s17
	s_and_saveexec_b32 s17, s6
	s_cbranch_execz .LBB187_40
.LBB187_56:                             ;   in Loop: Header=BB187_33 Depth=1
	ds_load_b32 v8, v5 offset:32792
	s_waitcnt lgkmcnt(0)
	v_add_nc_u32_e32 v7, v8, v7
	s_or_b32 exec_lo, exec_lo, s17
	s_and_saveexec_b32 s17, s7
	s_cbranch_execz .LBB187_41
.LBB187_57:                             ;   in Loop: Header=BB187_33 Depth=1
	ds_load_b32 v8, v5 offset:32796
	s_waitcnt lgkmcnt(0)
	v_add_nc_u32_e32 v7, v8, v7
	s_or_b32 exec_lo, exec_lo, s17
	s_and_saveexec_b32 s17, s8
	s_cbranch_execz .LBB187_42
.LBB187_58:                             ;   in Loop: Header=BB187_33 Depth=1
	ds_load_b32 v8, v5 offset:32800
	s_waitcnt lgkmcnt(0)
	v_add_nc_u32_e32 v7, v8, v7
	s_or_b32 exec_lo, exec_lo, s17
	s_and_saveexec_b32 s17, s9
	s_cbranch_execz .LBB187_43
.LBB187_59:                             ;   in Loop: Header=BB187_33 Depth=1
	ds_load_b32 v8, v5 offset:32804
	s_waitcnt lgkmcnt(0)
	v_add_nc_u32_e32 v7, v8, v7
	s_or_b32 exec_lo, exec_lo, s17
	s_and_saveexec_b32 s17, s10
	s_cbranch_execz .LBB187_44
.LBB187_60:                             ;   in Loop: Header=BB187_33 Depth=1
	ds_load_b32 v8, v5 offset:32808
	s_waitcnt lgkmcnt(0)
	v_add_nc_u32_e32 v7, v8, v7
	s_or_b32 exec_lo, exec_lo, s17
	s_and_saveexec_b32 s17, s11
	s_cbranch_execz .LBB187_45
.LBB187_61:                             ;   in Loop: Header=BB187_33 Depth=1
	ds_load_b32 v8, v5 offset:32812
	s_waitcnt lgkmcnt(0)
	v_add_nc_u32_e32 v7, v8, v7
	s_or_b32 exec_lo, exec_lo, s17
	s_and_saveexec_b32 s17, s12
	s_cbranch_execz .LBB187_46
.LBB187_62:                             ;   in Loop: Header=BB187_33 Depth=1
	ds_load_b32 v8, v5 offset:32816
	s_waitcnt lgkmcnt(0)
	v_add_nc_u32_e32 v7, v8, v7
	s_or_b32 exec_lo, exec_lo, s17
	s_and_saveexec_b32 s17, s13
	s_cbranch_execz .LBB187_47
.LBB187_63:                             ;   in Loop: Header=BB187_33 Depth=1
	ds_load_b32 v8, v5 offset:32820
	s_waitcnt lgkmcnt(0)
	v_add_nc_u32_e32 v7, v8, v7
	s_or_b32 exec_lo, exec_lo, s17
	s_and_saveexec_b32 s17, s14
	s_cbranch_execz .LBB187_48
.LBB187_64:                             ;   in Loop: Header=BB187_33 Depth=1
	ds_load_b32 v8, v5 offset:32824
	s_waitcnt lgkmcnt(0)
	v_add_nc_u32_e32 v7, v8, v7
	s_or_b32 exec_lo, exec_lo, s17
	s_and_saveexec_b32 s17, s15
	s_cbranch_execz .LBB187_49
.LBB187_65:                             ;   in Loop: Header=BB187_33 Depth=1
	s_delay_alu instid0(VALU_DEP_1) | instskip(NEXT) | instid1(VALU_DEP_1)
	v_add3_u32 v8, v6, -1, v7
	v_lshl_add_u32 v8, v8, 2, 0
	ds_store_2addr_stride64_b32 v8, v2, v3 offset1:64
	s_or_b32 exec_lo, exec_lo, s17
	s_and_saveexec_b32 s15, vcc_lo
	s_cbranch_execz .LBB187_32
.LBB187_66:                             ;   in Loop: Header=BB187_33 Depth=1
	ds_store_b32 v5, v7 offset:32828
	s_branch .LBB187_32
.LBB187_67:                             ;   in Loop: Header=BB187_68 Depth=1
	s_or_b32 exec_lo, exec_lo, s4
	v_add_co_u32 v1, vcc_lo, 0x400, v1
	v_add_co_ci_u32_e32 v2, vcc_lo, 0, v2, vcc_lo
	s_delay_alu instid0(VALU_DEP_1) | instskip(SKIP_1) | instid1(SALU_CYCLE_1)
	v_cmp_le_i64_e32 vcc_lo, s[0:1], v[1:2]
	s_or_b32 s3, vcc_lo, s3
	s_and_not1_b32 exec_lo, exec_lo, s3
	s_cbranch_execz .LBB187_30
.LBB187_68:                             ; =>This Loop Header: Depth=1
                                        ;     Child Loop BB187_70 Depth 2
	v_lshlrev_b64 v[3:4], 2, v[1:2]
	s_mov_b32 s4, 0
	s_delay_alu instid0(VALU_DEP_1) | instskip(NEXT) | instid1(VALU_DEP_2)
	v_add_co_u32 v5, vcc_lo, s18, v3
	v_add_co_ci_u32_e32 v6, vcc_lo, s19, v4, vcc_lo
	v_add_co_u32 v3, vcc_lo, s20, v3
	v_add_co_ci_u32_e32 v4, vcc_lo, s21, v4, vcc_lo
	global_load_b32 v5, v[5:6], off
	global_load_b32 v4, v[3:4], off
	s_waitcnt vmcnt(1)
	v_subrev_nc_u32_e32 v3, s27, v5
	s_delay_alu instid0(VALU_DEP_1) | instskip(SKIP_1) | instid1(VALU_DEP_1)
	v_mul_lo_u32 v5, 0x89, v3
	s_waitcnt vmcnt(0)
	v_dual_mul_f32 v4, v11, v4 :: v_dual_and_b32 v5, 0xfff, v5
	s_branch .LBB187_70
.LBB187_69:                             ;   in Loop: Header=BB187_70 Depth=2
	s_or_b32 exec_lo, exec_lo, s5
	s_xor_b32 s5, s6, -1
	s_delay_alu instid0(SALU_CYCLE_1) | instskip(NEXT) | instid1(SALU_CYCLE_1)
	s_and_b32 s5, exec_lo, s5
	s_or_b32 s4, s5, s4
	s_delay_alu instid0(SALU_CYCLE_1)
	s_and_not1_b32 exec_lo, exec_lo, s4
	s_cbranch_execz .LBB187_67
.LBB187_70:                             ;   Parent Loop BB187_68 Depth=1
                                        ; =>  This Inner Loop Header: Depth=2
	s_delay_alu instid0(VALU_DEP_1)
	v_lshl_add_u32 v6, v5, 2, 0
	s_mov_b32 s5, exec_lo
                                        ; implicit-def: $sgpr6
	ds_load_b32 v7, v6
	s_waitcnt lgkmcnt(0)
	v_cmpx_ne_u32_e64 v7, v3
	s_xor_b32 s5, exec_lo, s5
	s_cbranch_execz .LBB187_78
; %bb.71:                               ;   in Loop: Header=BB187_70 Depth=2
	s_mov_b32 s7, exec_lo
                                        ; implicit-def: $sgpr6
	v_cmpx_ne_u32_e64 s33, v7
	s_xor_b32 s7, exec_lo, s7
; %bb.72:                               ;   in Loop: Header=BB187_70 Depth=2
	v_add_nc_u32_e32 v5, 1, v5
	s_mov_b32 s6, -1
                                        ; implicit-def: $vgpr6
	s_delay_alu instid0(VALU_DEP_1)
	v_and_b32_e32 v5, 0xfff, v5
; %bb.73:                               ;   in Loop: Header=BB187_70 Depth=2
	s_and_not1_saveexec_b32 s7, s7
	s_cbranch_execz .LBB187_77
; %bb.74:                               ;   in Loop: Header=BB187_70 Depth=2
	v_mov_b32_e32 v7, s33
	s_mov_b32 s8, -1
	s_mov_b32 s9, exec_lo
	ds_cmpstore_rtn_b32 v7, v6, v3, v7
	s_waitcnt lgkmcnt(0)
	v_cmpx_eq_u32_e64 s33, v7
	s_cbranch_execz .LBB187_76
; %bb.75:                               ;   in Loop: Header=BB187_70 Depth=2
	ds_add_f32 v6, v4 offset:16384
	s_xor_b32 s8, exec_lo, -1
.LBB187_76:                             ;   in Loop: Header=BB187_70 Depth=2
	s_or_b32 exec_lo, exec_lo, s9
	s_delay_alu instid0(SALU_CYCLE_1) | instskip(SKIP_1) | instid1(SALU_CYCLE_1)
	s_and_not1_b32 s6, s6, exec_lo
	s_and_b32 s8, s8, exec_lo
	s_or_b32 s6, s6, s8
.LBB187_77:                             ;   in Loop: Header=BB187_70 Depth=2
	s_or_b32 exec_lo, exec_lo, s7
	s_delay_alu instid0(SALU_CYCLE_1)
	s_and_b32 s6, s6, exec_lo
                                        ; implicit-def: $vgpr6
.LBB187_78:                             ;   in Loop: Header=BB187_70 Depth=2
	s_and_not1_saveexec_b32 s5, s5
	s_cbranch_execz .LBB187_69
; %bb.79:                               ;   in Loop: Header=BB187_70 Depth=2
	ds_add_f32 v6, v4 offset:16384
	s_and_not1_b32 s6, s6, exec_lo
	s_branch .LBB187_69
.LBB187_80:
	s_or_b32 exec_lo, exec_lo, s16
	s_ashr_i32 s35, s34, 31
	s_mov_b32 s4, exec_lo
	s_lshl_b64 s[0:1], s[34:35], 3
	s_delay_alu instid0(SALU_CYCLE_1) | instskip(SKIP_4) | instid1(SALU_CYCLE_1)
	s_add_u32 s0, s22, s0
	s_addc_u32 s1, s23, s1
	s_load_b128 s[0:3], s[0:1], 0x0
	s_waitcnt lgkmcnt(0)
	s_sub_i32 s3, s2, s0
	v_cmpx_gt_i32_e64 s3, v0
	s_cbranch_execz .LBB187_90
; %bb.81:
	s_sub_u32 s4, s0, s26
	s_subb_u32 s5, s1, 0
	s_sub_i32 s0, s0, s2
	s_and_b32 s1, s3, 7
	s_cmp_lt_u32 s0, -7
	s_mov_b32 s8, 0
	s_cselect_b32 s2, -1, 0
	s_and_b32 s6, s3, -8
	s_cmp_lg_u32 s1, 0
	s_cselect_b32 s7, -1, 0
	s_branch .LBB187_83
.LBB187_82:                             ;   in Loop: Header=BB187_83 Depth=1
	s_delay_alu instid0(VALU_DEP_1) | instskip(SKIP_3) | instid1(VALU_DEP_3)
	v_lshlrev_b64 v[3:4], 2, v[3:4]
	v_add_nc_u32_e32 v0, 0x400, v0
	s_waitcnt lgkmcnt(0)
	v_add_nc_u32_e32 v1, s26, v1
	v_add_co_u32 v5, vcc_lo, s28, v3
	s_delay_alu instid0(VALU_DEP_4) | instskip(SKIP_2) | instid1(VALU_DEP_1)
	v_add_co_ci_u32_e32 v6, vcc_lo, s29, v4, vcc_lo
	v_cmp_le_i32_e32 vcc_lo, s3, v0
	v_add_co_u32 v3, s0, s30, v3
	v_add_co_ci_u32_e64 v4, s0, s31, v4, s0
	s_or_b32 s8, vcc_lo, s8
	global_store_b32 v[5:6], v1, off
	global_store_b32 v[3:4], v2, off
	s_and_not1_b32 exec_lo, exec_lo, s8
	s_cbranch_execz .LBB187_90
.LBB187_83:                             ; =>This Loop Header: Depth=1
                                        ;     Child Loop BB187_85 Depth 2
                                        ;     Child Loop BB187_89 Depth 2
	v_lshl_add_u32 v1, v0, 2, 0
	v_dual_mov_b32 v3, s4 :: v_dual_mov_b32 v4, s5
	s_and_not1_b32 vcc_lo, exec_lo, s2
	s_mov_b32 s0, 0
	ds_load_2addr_stride64_b32 v[1:2], v1 offset1:64
	s_cbranch_vccnz .LBB187_87
; %bb.84:                               ;   in Loop: Header=BB187_83 Depth=1
	v_dual_mov_b32 v3, s4 :: v_dual_mov_b32 v4, s5
	s_mov_b32 s9, 0
	s_mov_b32 s10, 0
.LBB187_85:                             ;   Parent Loop BB187_83 Depth=1
                                        ; =>  This Inner Loop Header: Depth=2
	s_delay_alu instid0(SALU_CYCLE_1)
	v_mov_b32_e32 v11, s10
	s_add_i32 s9, s9, 8
	s_add_i32 s10, s10, 32
	s_cmp_eq_u32 s6, s9
	ds_load_2addr_b32 v[5:6], v11 offset1:1
	ds_load_2addr_b32 v[7:8], v11 offset0:2 offset1:3
	ds_load_2addr_b32 v[9:10], v11 offset0:4 offset1:5
	;; [unrolled: 1-line block ×3, first 2 shown]
	s_waitcnt lgkmcnt(3)
	v_cmp_gt_i32_e32 vcc_lo, v1, v5
	v_cndmask_b32_e64 v5, 0, 1, vcc_lo
	v_cmp_gt_i32_e32 vcc_lo, v1, v6
	v_cndmask_b32_e64 v6, 0, 1, vcc_lo
	s_waitcnt lgkmcnt(2)
	v_cmp_gt_i32_e32 vcc_lo, v1, v7
	v_cndmask_b32_e64 v7, 0, 1, vcc_lo
	v_cmp_gt_i32_e32 vcc_lo, v1, v8
	v_cndmask_b32_e64 v8, 0, 1, vcc_lo
	s_waitcnt lgkmcnt(1)
	v_cmp_gt_i32_e32 vcc_lo, v1, v9
	v_cndmask_b32_e64 v9, 0, 1, vcc_lo
	v_add_co_u32 v3, vcc_lo, v3, v5
	v_add_co_ci_u32_e32 v4, vcc_lo, 0, v4, vcc_lo
	v_cmp_gt_i32_e32 vcc_lo, v1, v10
	s_delay_alu instid0(VALU_DEP_3) | instskip(NEXT) | instid1(VALU_DEP_1)
	v_add_co_u32 v3, s0, v3, v6
	v_add_co_ci_u32_e64 v4, s0, 0, v4, s0
	v_cndmask_b32_e64 v5, 0, 1, vcc_lo
	s_delay_alu instid0(VALU_DEP_3) | instskip(NEXT) | instid1(VALU_DEP_3)
	v_add_co_u32 v3, vcc_lo, v3, v7
	v_add_co_ci_u32_e32 v4, vcc_lo, 0, v4, vcc_lo
	s_waitcnt lgkmcnt(0)
	v_cmp_gt_i32_e32 vcc_lo, v1, v11
	s_delay_alu instid0(VALU_DEP_3) | instskip(NEXT) | instid1(VALU_DEP_1)
	v_add_co_u32 v3, s0, v3, v8
	v_add_co_ci_u32_e64 v4, s0, 0, v4, s0
	v_cndmask_b32_e64 v6, 0, 1, vcc_lo
	s_delay_alu instid0(VALU_DEP_3) | instskip(NEXT) | instid1(VALU_DEP_3)
	v_add_co_u32 v3, vcc_lo, v3, v9
	v_add_co_ci_u32_e32 v4, vcc_lo, 0, v4, vcc_lo
	v_cmp_gt_i32_e32 vcc_lo, v1, v12
	s_delay_alu instid0(VALU_DEP_3) | instskip(NEXT) | instid1(VALU_DEP_1)
	v_add_co_u32 v3, s0, v3, v5
	v_add_co_ci_u32_e64 v4, s0, 0, v4, s0
	v_cndmask_b32_e64 v5, 0, 1, vcc_lo
	s_delay_alu instid0(VALU_DEP_3) | instskip(NEXT) | instid1(VALU_DEP_3)
	v_add_co_u32 v3, vcc_lo, v3, v6
	v_add_co_ci_u32_e32 v4, vcc_lo, 0, v4, vcc_lo
	s_delay_alu instid0(VALU_DEP_2) | instskip(NEXT) | instid1(VALU_DEP_2)
	v_add_co_u32 v3, vcc_lo, v3, v5
	v_add_co_ci_u32_e32 v4, vcc_lo, 0, v4, vcc_lo
	s_cbranch_scc0 .LBB187_85
; %bb.86:                               ;   in Loop: Header=BB187_83 Depth=1
	s_mov_b32 s0, s6
.LBB187_87:                             ;   in Loop: Header=BB187_83 Depth=1
	s_and_not1_b32 vcc_lo, exec_lo, s7
	s_cbranch_vccnz .LBB187_82
; %bb.88:                               ;   in Loop: Header=BB187_83 Depth=1
	s_lshl_b32 s0, s0, 2
	s_mov_b32 s9, s1
	s_add_i32 s0, s0, 0
.LBB187_89:                             ;   Parent Loop BB187_83 Depth=1
                                        ; =>  This Inner Loop Header: Depth=2
	s_delay_alu instid0(SALU_CYCLE_1)
	v_mov_b32_e32 v5, s0
	s_add_i32 s9, s9, -1
	s_add_i32 s0, s0, 4
	s_cmp_lg_u32 s9, 0
	ds_load_b32 v5, v5
	s_waitcnt lgkmcnt(0)
	v_cmp_gt_i32_e32 vcc_lo, v1, v5
	v_cndmask_b32_e64 v5, 0, 1, vcc_lo
	s_delay_alu instid0(VALU_DEP_1)
	v_add_co_u32 v3, vcc_lo, v3, v5
	v_add_co_ci_u32_e32 v4, vcc_lo, 0, v4, vcc_lo
	s_cbranch_scc1 .LBB187_89
	s_branch .LBB187_82
.LBB187_90:
	s_nop 0
	s_sendmsg sendmsg(MSG_DEALLOC_VGPRS)
	s_endpgm
	.section	.rodata,"a",@progbits
	.p2align	6, 0x0
	.amdhsa_kernel _ZN9rocsparseL26csrgemm_fill_block_per_rowILj1024ELj64ELj4096ELj137ELj64ElifEEvT5_PKS1_S3_NS_24const_host_device_scalarIT6_EEPKT4_S3_PKS5_S9_S3_SB_S6_S9_S3_SB_S9_PS1_PS5_21rocsparse_index_base_SE_SE_SE_bbb
		.amdhsa_group_segment_fixed_size 0
		.amdhsa_private_segment_fixed_size 0
		.amdhsa_kernarg_size 156
		.amdhsa_user_sgpr_count 15
		.amdhsa_user_sgpr_dispatch_ptr 0
		.amdhsa_user_sgpr_queue_ptr 0
		.amdhsa_user_sgpr_kernarg_segment_ptr 1
		.amdhsa_user_sgpr_dispatch_id 0
		.amdhsa_user_sgpr_private_segment_size 0
		.amdhsa_wavefront_size32 1
		.amdhsa_uses_dynamic_stack 0
		.amdhsa_enable_private_segment 0
		.amdhsa_system_sgpr_workgroup_id_x 1
		.amdhsa_system_sgpr_workgroup_id_y 0
		.amdhsa_system_sgpr_workgroup_id_z 0
		.amdhsa_system_sgpr_workgroup_info 0
		.amdhsa_system_vgpr_workitem_id 0
		.amdhsa_next_free_vgpr 20
		.amdhsa_next_free_sgpr 44
		.amdhsa_reserve_vcc 1
		.amdhsa_float_round_mode_32 0
		.amdhsa_float_round_mode_16_64 0
		.amdhsa_float_denorm_mode_32 3
		.amdhsa_float_denorm_mode_16_64 3
		.amdhsa_dx10_clamp 1
		.amdhsa_ieee_mode 1
		.amdhsa_fp16_overflow 0
		.amdhsa_workgroup_processor_mode 1
		.amdhsa_memory_ordered 1
		.amdhsa_forward_progress 0
		.amdhsa_shared_vgpr_count 0
		.amdhsa_exception_fp_ieee_invalid_op 0
		.amdhsa_exception_fp_denorm_src 0
		.amdhsa_exception_fp_ieee_div_zero 0
		.amdhsa_exception_fp_ieee_overflow 0
		.amdhsa_exception_fp_ieee_underflow 0
		.amdhsa_exception_fp_ieee_inexact 0
		.amdhsa_exception_int_div_zero 0
	.end_amdhsa_kernel
	.section	.text._ZN9rocsparseL26csrgemm_fill_block_per_rowILj1024ELj64ELj4096ELj137ELj64ElifEEvT5_PKS1_S3_NS_24const_host_device_scalarIT6_EEPKT4_S3_PKS5_S9_S3_SB_S6_S9_S3_SB_S9_PS1_PS5_21rocsparse_index_base_SE_SE_SE_bbb,"axG",@progbits,_ZN9rocsparseL26csrgemm_fill_block_per_rowILj1024ELj64ELj4096ELj137ELj64ElifEEvT5_PKS1_S3_NS_24const_host_device_scalarIT6_EEPKT4_S3_PKS5_S9_S3_SB_S6_S9_S3_SB_S9_PS1_PS5_21rocsparse_index_base_SE_SE_SE_bbb,comdat
.Lfunc_end187:
	.size	_ZN9rocsparseL26csrgemm_fill_block_per_rowILj1024ELj64ELj4096ELj137ELj64ElifEEvT5_PKS1_S3_NS_24const_host_device_scalarIT6_EEPKT4_S3_PKS5_S9_S3_SB_S6_S9_S3_SB_S9_PS1_PS5_21rocsparse_index_base_SE_SE_SE_bbb, .Lfunc_end187-_ZN9rocsparseL26csrgemm_fill_block_per_rowILj1024ELj64ELj4096ELj137ELj64ElifEEvT5_PKS1_S3_NS_24const_host_device_scalarIT6_EEPKT4_S3_PKS5_S9_S3_SB_S6_S9_S3_SB_S9_PS1_PS5_21rocsparse_index_base_SE_SE_SE_bbb
                                        ; -- End function
	.section	.AMDGPU.csdata,"",@progbits
; Kernel info:
; codeLenInByte = 3284
; NumSgprs: 46
; NumVgprs: 20
; ScratchSize: 0
; MemoryBound: 0
; FloatMode: 240
; IeeeMode: 1
; LDSByteSize: 0 bytes/workgroup (compile time only)
; SGPRBlocks: 5
; VGPRBlocks: 2
; NumSGPRsForWavesPerEU: 46
; NumVGPRsForWavesPerEU: 20
; Occupancy: 16
; WaveLimiterHint : 1
; COMPUTE_PGM_RSRC2:SCRATCH_EN: 0
; COMPUTE_PGM_RSRC2:USER_SGPR: 15
; COMPUTE_PGM_RSRC2:TRAP_HANDLER: 0
; COMPUTE_PGM_RSRC2:TGID_X_EN: 1
; COMPUTE_PGM_RSRC2:TGID_Y_EN: 0
; COMPUTE_PGM_RSRC2:TGID_Z_EN: 0
; COMPUTE_PGM_RSRC2:TIDIG_COMP_CNT: 0
	.section	.text._ZN9rocsparseL26csrgemm_fill_block_per_rowILj1024ELj64ELj8192ELj137ELj32ElifEEvT5_PKS1_S3_NS_24const_host_device_scalarIT6_EEPKT4_S3_PKS5_S9_S3_SB_S6_S9_S3_SB_S9_PS1_PS5_21rocsparse_index_base_SE_SE_SE_bbb,"axG",@progbits,_ZN9rocsparseL26csrgemm_fill_block_per_rowILj1024ELj64ELj8192ELj137ELj32ElifEEvT5_PKS1_S3_NS_24const_host_device_scalarIT6_EEPKT4_S3_PKS5_S9_S3_SB_S6_S9_S3_SB_S9_PS1_PS5_21rocsparse_index_base_SE_SE_SE_bbb,comdat
	.globl	_ZN9rocsparseL26csrgemm_fill_block_per_rowILj1024ELj64ELj8192ELj137ELj32ElifEEvT5_PKS1_S3_NS_24const_host_device_scalarIT6_EEPKT4_S3_PKS5_S9_S3_SB_S6_S9_S3_SB_S9_PS1_PS5_21rocsparse_index_base_SE_SE_SE_bbb ; -- Begin function _ZN9rocsparseL26csrgemm_fill_block_per_rowILj1024ELj64ELj8192ELj137ELj32ElifEEvT5_PKS1_S3_NS_24const_host_device_scalarIT6_EEPKT4_S3_PKS5_S9_S3_SB_S6_S9_S3_SB_S9_PS1_PS5_21rocsparse_index_base_SE_SE_SE_bbb
	.p2align	8
	.type	_ZN9rocsparseL26csrgemm_fill_block_per_rowILj1024ELj64ELj8192ELj137ELj32ElifEEvT5_PKS1_S3_NS_24const_host_device_scalarIT6_EEPKT4_S3_PKS5_S9_S3_SB_S6_S9_S3_SB_S9_PS1_PS5_21rocsparse_index_base_SE_SE_SE_bbb,@function
_ZN9rocsparseL26csrgemm_fill_block_per_rowILj1024ELj64ELj8192ELj137ELj32ElifEEvT5_PKS1_S3_NS_24const_host_device_scalarIT6_EEPKT4_S3_PKS5_S9_S3_SB_S6_S9_S3_SB_S9_PS1_PS5_21rocsparse_index_base_SE_SE_SE_bbb: ; @_ZN9rocsparseL26csrgemm_fill_block_per_rowILj1024ELj64ELj8192ELj137ELj32ElifEEvT5_PKS1_S3_NS_24const_host_device_scalarIT6_EEPKT4_S3_PKS5_S9_S3_SB_S6_S9_S3_SB_S9_PS1_PS5_21rocsparse_index_base_SE_SE_SE_bbb
; %bb.0:
	s_clause 0x4
	s_load_b32 s11, s[0:1], 0x98
	s_load_b128 s[4:7], s[0:1], 0x8
	s_load_b64 s[8:9], s[0:1], 0x18
	s_load_b128 s[36:39], s[0:1], 0x88
	s_load_b64 s[2:3], s[0:1], 0x50
	s_waitcnt lgkmcnt(0)
	s_bitcmp1_b32 s11, 0
	s_cselect_b32 s10, -1, 0
	s_bitcmp1_b32 s11, 16
	s_cselect_b32 s12, -1, 0
	s_xor_b32 s13, s10, -1
	s_delay_alu instid0(SALU_CYCLE_1) | instskip(NEXT) | instid1(SALU_CYCLE_1)
	s_or_b32 s13, s13, s12
	s_and_b32 vcc_lo, exec_lo, s13
	s_cbranch_vccnz .LBB188_2
; %bb.1:
	s_load_b32 s8, s[8:9], 0x0
	s_waitcnt lgkmcnt(0)
	v_mov_b32_e32 v10, s8
	s_branch .LBB188_3
.LBB188_2:
	v_cndmask_b32_e64 v10, 0, s8, s10
.LBB188_3:
	s_bitcmp1_b32 s11, 8
	s_cselect_b32 s14, -1, 0
	s_delay_alu instid0(SALU_CYCLE_1) | instskip(NEXT) | instid1(SALU_CYCLE_1)
	s_xor_b32 s8, s14, -1
	s_or_b32 s8, s8, s12
	s_delay_alu instid0(SALU_CYCLE_1)
	s_and_b32 vcc_lo, exec_lo, s8
	s_cbranch_vccnz .LBB188_5
; %bb.4:
	s_load_b32 s2, s[2:3], 0x0
	s_waitcnt lgkmcnt(0)
	v_mov_b32_e32 v9, s2
	s_branch .LBB188_6
.LBB188_5:
	v_cndmask_b32_e64 v9, 0, s2, s14
.LBB188_6:
	s_load_b32 s33, s[0:1], 0x0
	v_dual_mov_b32 v2, 0 :: v_dual_lshlrev_b32 v1, 2, v0
	s_mov_b32 s3, 0
	s_delay_alu instid0(VALU_DEP_1)
	v_add3_u32 v3, 0, 0x8000, v1
	v_add_nc_u32_e32 v1, 0, v1
	ds_store_2addr_stride64_b32 v3, v2, v2 offset0:16 offset1:32
	ds_store_2addr_stride64_b32 v3, v2, v2 offset0:48 offset1:64
	;; [unrolled: 1-line block ×3, first 2 shown]
	s_waitcnt lgkmcnt(0)
	v_dual_mov_b32 v4, s33 :: v_dual_mov_b32 v5, s33
	v_dual_mov_b32 v6, s33 :: v_dual_mov_b32 v7, s33
	;; [unrolled: 1-line block ×4, first 2 shown]
	ds_store_b32 v1, v2 offset:32768
	ds_store_b32 v3, v2 offset:28672
	ds_store_2addr_stride64_b32 v1, v4, v5 offset1:16
	ds_store_2addr_stride64_b32 v1, v6, v7 offset0:32 offset1:48
	ds_store_2addr_stride64_b32 v1, v8, v11 offset0:64 offset1:80
	;; [unrolled: 1-line block ×3, first 2 shown]
	s_waitcnt lgkmcnt(0)
	s_barrier
	buffer_gl0_inv
	s_load_b32 s2, s[4:5], 0x0
	s_waitcnt lgkmcnt(0)
	s_add_i32 s2, s2, s15
	s_delay_alu instid0(SALU_CYCLE_1) | instskip(NEXT) | instid1(SALU_CYCLE_1)
	s_lshl_b64 s[2:3], s[2:3], 2
	s_add_u32 s2, s6, s2
	s_addc_u32 s3, s7, s3
	s_and_not1_b32 vcc_lo, exec_lo, s10
	s_load_b32 s34, s[2:3], 0x0
	s_cbranch_vccnz .LBB188_26
; %bb.7:
	s_load_b64 s[2:3], s[0:1], 0x20
	s_waitcnt lgkmcnt(0)
	s_ashr_i32 s35, s34, 31
	v_lshrrev_b32_e32 v1, 6, v0
	s_lshl_b64 s[4:5], s[34:35], 3
	s_mov_b32 s15, exec_lo
	s_add_u32 s2, s2, s4
	s_addc_u32 s3, s3, s5
	s_load_b128 s[4:7], s[2:3], 0x0
	v_sub_co_u32 v1, s2, v1, s36
	s_delay_alu instid0(VALU_DEP_1) | instskip(SKIP_1) | instid1(VALU_DEP_2)
	v_sub_co_ci_u32_e64 v2, null, 0, 0, s2
	s_waitcnt lgkmcnt(0)
	v_add_co_u32 v1, vcc_lo, s4, v1
	s_delay_alu instid0(VALU_DEP_2)
	v_add_co_ci_u32_e32 v2, vcc_lo, s5, v2, vcc_lo
	s_sub_u32 s2, s6, s36
	s_subb_u32 s3, s7, 0
	s_delay_alu instid0(VALU_DEP_1) | instid1(SALU_CYCLE_1)
	v_cmpx_gt_i64_e64 s[2:3], v[1:2]
	s_cbranch_execz .LBB188_25
; %bb.8:
	s_clause 0x1
	s_load_b64 s[12:13], s[0:1], 0x48
	s_load_b256 s[4:11], s[0:1], 0x28
	v_and_b32_e32 v3, 63, v0
	s_mov_b32 s17, s37
	s_delay_alu instid0(VALU_DEP_1) | instskip(NEXT) | instid1(VALU_DEP_1)
	v_sub_co_u32 v11, s16, v3, s37
	v_sub_co_ci_u32_e64 v12, null, 0, 0, s16
	s_mov_b32 s16, 0
	s_branch .LBB188_10
.LBB188_9:                              ;   in Loop: Header=BB188_10 Depth=1
	s_or_b32 exec_lo, exec_lo, s18
	v_add_co_u32 v1, vcc_lo, v1, 16
	v_add_co_ci_u32_e32 v2, vcc_lo, 0, v2, vcc_lo
	s_delay_alu instid0(VALU_DEP_1) | instskip(SKIP_1) | instid1(SALU_CYCLE_1)
	v_cmp_le_i64_e32 vcc_lo, s[2:3], v[1:2]
	s_or_b32 s16, vcc_lo, s16
	s_and_not1_b32 exec_lo, exec_lo, s16
	s_cbranch_execz .LBB188_25
.LBB188_10:                             ; =>This Loop Header: Depth=1
                                        ;     Child Loop BB188_13 Depth 2
                                        ;       Child Loop BB188_15 Depth 3
	v_lshlrev_b64 v[7:8], 2, v[1:2]
	s_mov_b32 s18, exec_lo
	s_waitcnt lgkmcnt(0)
	s_delay_alu instid0(VALU_DEP_1) | instskip(NEXT) | instid1(VALU_DEP_2)
	v_add_co_u32 v3, vcc_lo, s4, v7
	v_add_co_ci_u32_e32 v4, vcc_lo, s5, v8, vcc_lo
	global_load_b32 v3, v[3:4], off
	s_waitcnt vmcnt(0)
	v_subrev_nc_u32_e32 v3, s36, v3
	s_delay_alu instid0(VALU_DEP_1) | instskip(NEXT) | instid1(VALU_DEP_1)
	v_ashrrev_i32_e32 v4, 31, v3
	v_lshlrev_b64 v[3:4], 3, v[3:4]
	s_delay_alu instid0(VALU_DEP_1) | instskip(NEXT) | instid1(VALU_DEP_2)
	v_add_co_u32 v3, vcc_lo, s8, v3
	v_add_co_ci_u32_e32 v4, vcc_lo, s9, v4, vcc_lo
	global_load_b128 v[13:16], v[3:4], off
	s_waitcnt vmcnt(0)
	v_sub_co_u32 v3, vcc_lo, v15, s17
	v_subrev_co_ci_u32_e32 v4, vcc_lo, 0, v16, vcc_lo
	v_add_co_u32 v5, vcc_lo, v13, v11
	v_add_co_ci_u32_e32 v6, vcc_lo, v14, v12, vcc_lo
	s_delay_alu instid0(VALU_DEP_1)
	v_cmpx_lt_i64_e64 v[5:6], v[3:4]
	s_cbranch_execz .LBB188_9
; %bb.11:                               ;   in Loop: Header=BB188_10 Depth=1
	v_add_co_u32 v7, vcc_lo, s6, v7
	v_add_co_ci_u32_e32 v8, vcc_lo, s7, v8, vcc_lo
	s_mov_b32 s19, 0
	global_load_b32 v7, v[7:8], off
	s_waitcnt vmcnt(0)
	v_mul_f32_e32 v7, v10, v7
	s_branch .LBB188_13
.LBB188_12:                             ;   in Loop: Header=BB188_13 Depth=2
	s_or_b32 exec_lo, exec_lo, s20
	v_add_co_u32 v5, vcc_lo, v5, 64
	v_add_co_ci_u32_e32 v6, vcc_lo, 0, v6, vcc_lo
	s_delay_alu instid0(VALU_DEP_1) | instskip(SKIP_1) | instid1(SALU_CYCLE_1)
	v_cmp_ge_i64_e32 vcc_lo, v[5:6], v[3:4]
	s_or_b32 s19, vcc_lo, s19
	s_and_not1_b32 exec_lo, exec_lo, s19
	s_cbranch_execz .LBB188_9
.LBB188_13:                             ;   Parent Loop BB188_10 Depth=1
                                        ; =>  This Loop Header: Depth=2
                                        ;       Child Loop BB188_15 Depth 3
	v_lshlrev_b64 v[13:14], 2, v[5:6]
	s_mov_b32 s20, 0
	s_delay_alu instid0(VALU_DEP_1) | instskip(NEXT) | instid1(VALU_DEP_2)
	v_add_co_u32 v15, vcc_lo, s10, v13
	v_add_co_ci_u32_e32 v16, vcc_lo, s11, v14, vcc_lo
	v_add_co_u32 v13, vcc_lo, s12, v13
	v_add_co_ci_u32_e32 v14, vcc_lo, s13, v14, vcc_lo
	global_load_b32 v8, v[15:16], off
	global_load_b32 v13, v[13:14], off
	s_waitcnt vmcnt(1)
	v_subrev_nc_u32_e32 v8, s37, v8
	s_delay_alu instid0(VALU_DEP_1) | instskip(SKIP_1) | instid1(VALU_DEP_1)
	v_mul_lo_u32 v14, 0x89, v8
	s_waitcnt vmcnt(0)
	v_dual_mul_f32 v13, v7, v13 :: v_dual_and_b32 v14, 0x1fff, v14
	s_branch .LBB188_15
.LBB188_14:                             ;   in Loop: Header=BB188_15 Depth=3
	s_or_b32 exec_lo, exec_lo, s21
	s_xor_b32 s21, s22, -1
	s_delay_alu instid0(SALU_CYCLE_1) | instskip(NEXT) | instid1(SALU_CYCLE_1)
	s_and_b32 s21, exec_lo, s21
	s_or_b32 s20, s21, s20
	s_delay_alu instid0(SALU_CYCLE_1)
	s_and_not1_b32 exec_lo, exec_lo, s20
	s_cbranch_execz .LBB188_12
.LBB188_15:                             ;   Parent Loop BB188_10 Depth=1
                                        ;     Parent Loop BB188_13 Depth=2
                                        ; =>    This Inner Loop Header: Depth=3
	s_delay_alu instid0(VALU_DEP_1)
	v_lshl_add_u32 v15, v14, 2, 0
	s_mov_b32 s21, exec_lo
                                        ; implicit-def: $sgpr22
	ds_load_b32 v16, v15
	s_waitcnt lgkmcnt(0)
	v_cmpx_ne_u32_e64 v16, v8
	s_xor_b32 s21, exec_lo, s21
	s_cbranch_execz .LBB188_23
; %bb.16:                               ;   in Loop: Header=BB188_15 Depth=3
	s_mov_b32 s23, exec_lo
                                        ; implicit-def: $sgpr22
	v_cmpx_ne_u32_e64 s33, v16
	s_xor_b32 s23, exec_lo, s23
; %bb.17:                               ;   in Loop: Header=BB188_15 Depth=3
	v_add_nc_u32_e32 v14, 1, v14
	s_mov_b32 s22, -1
                                        ; implicit-def: $vgpr15
	s_delay_alu instid0(VALU_DEP_1)
	v_and_b32_e32 v14, 0x1fff, v14
; %bb.18:                               ;   in Loop: Header=BB188_15 Depth=3
	s_and_not1_saveexec_b32 s23, s23
	s_cbranch_execz .LBB188_22
; %bb.19:                               ;   in Loop: Header=BB188_15 Depth=3
	v_mov_b32_e32 v16, s33
	s_mov_b32 s24, -1
	s_mov_b32 s25, exec_lo
	ds_cmpstore_rtn_b32 v16, v15, v8, v16
	s_waitcnt lgkmcnt(0)
	v_cmpx_eq_u32_e64 s33, v16
	s_cbranch_execz .LBB188_21
; %bb.20:                               ;   in Loop: Header=BB188_15 Depth=3
	ds_add_f32 v15, v13 offset:32768
	s_xor_b32 s24, exec_lo, -1
.LBB188_21:                             ;   in Loop: Header=BB188_15 Depth=3
	s_or_b32 exec_lo, exec_lo, s25
	s_delay_alu instid0(SALU_CYCLE_1) | instskip(SKIP_1) | instid1(SALU_CYCLE_1)
	s_and_not1_b32 s22, s22, exec_lo
	s_and_b32 s24, s24, exec_lo
	s_or_b32 s22, s22, s24
.LBB188_22:                             ;   in Loop: Header=BB188_15 Depth=3
	s_or_b32 exec_lo, exec_lo, s23
	s_delay_alu instid0(SALU_CYCLE_1)
	s_and_b32 s22, s22, exec_lo
                                        ; implicit-def: $vgpr15
.LBB188_23:                             ;   in Loop: Header=BB188_15 Depth=3
	s_and_not1_saveexec_b32 s21, s21
	s_cbranch_execz .LBB188_14
; %bb.24:                               ;   in Loop: Header=BB188_15 Depth=3
	ds_add_f32 v15, v13 offset:32768
	s_and_not1_b32 s22, s22, exec_lo
	s_branch .LBB188_14
.LBB188_25:
	s_or_b32 exec_lo, exec_lo, s15
.LBB188_26:
	s_clause 0x1
	s_load_b64 s[36:37], s[0:1], 0x80
	s_load_b128 s[40:43], s[0:1], 0x70
	s_and_not1_b32 vcc_lo, exec_lo, s14
	s_cbranch_vccnz .LBB188_43
; %bb.27:
	s_load_b64 s[2:3], s[0:1], 0x58
	s_waitcnt lgkmcnt(0)
	s_ashr_i32 s35, s34, 31
	s_delay_alu instid0(SALU_CYCLE_1) | instskip(NEXT) | instid1(SALU_CYCLE_1)
	s_lshl_b64 s[4:5], s[34:35], 3
	s_add_u32 s2, s2, s4
	s_addc_u32 s3, s3, s5
	s_load_b128 s[4:7], s[2:3], 0x0
	v_sub_co_u32 v1, s2, v0, s39
	s_delay_alu instid0(VALU_DEP_1) | instskip(SKIP_1) | instid1(VALU_DEP_2)
	v_sub_co_ci_u32_e64 v2, null, 0, 0, s2
	s_waitcnt lgkmcnt(0)
	v_add_co_u32 v1, vcc_lo, s4, v1
	s_delay_alu instid0(VALU_DEP_2)
	v_add_co_ci_u32_e32 v2, vcc_lo, s5, v2, vcc_lo
	s_sub_u32 s4, s6, s39
	s_subb_u32 s5, s7, 0
	s_mov_b32 s7, 0
	s_mov_b32 s6, exec_lo
	v_cmpx_gt_i64_e64 s[4:5], v[1:2]
	s_cbranch_execz .LBB188_42
; %bb.28:
	s_load_b128 s[0:3], s[0:1], 0x60
	s_branch .LBB188_30
.LBB188_29:                             ;   in Loop: Header=BB188_30 Depth=1
	s_or_b32 exec_lo, exec_lo, s8
	v_add_co_u32 v1, vcc_lo, 0x400, v1
	v_add_co_ci_u32_e32 v2, vcc_lo, 0, v2, vcc_lo
	s_delay_alu instid0(VALU_DEP_1) | instskip(SKIP_1) | instid1(SALU_CYCLE_1)
	v_cmp_le_i64_e32 vcc_lo, s[4:5], v[1:2]
	s_or_b32 s7, vcc_lo, s7
	s_and_not1_b32 exec_lo, exec_lo, s7
	s_cbranch_execz .LBB188_42
.LBB188_30:                             ; =>This Loop Header: Depth=1
                                        ;     Child Loop BB188_32 Depth 2
	v_lshlrev_b64 v[3:4], 2, v[1:2]
	s_mov_b32 s8, 0
	s_waitcnt lgkmcnt(0)
	s_delay_alu instid0(VALU_DEP_1) | instskip(NEXT) | instid1(VALU_DEP_2)
	v_add_co_u32 v5, vcc_lo, s0, v3
	v_add_co_ci_u32_e32 v6, vcc_lo, s1, v4, vcc_lo
	v_add_co_u32 v3, vcc_lo, s2, v3
	v_add_co_ci_u32_e32 v4, vcc_lo, s3, v4, vcc_lo
	global_load_b32 v5, v[5:6], off
	global_load_b32 v4, v[3:4], off
	s_waitcnt vmcnt(1)
	v_subrev_nc_u32_e32 v3, s39, v5
	s_delay_alu instid0(VALU_DEP_1) | instskip(SKIP_1) | instid1(VALU_DEP_1)
	v_mul_lo_u32 v5, 0x89, v3
	s_waitcnt vmcnt(0)
	v_dual_mul_f32 v4, v9, v4 :: v_dual_and_b32 v5, 0x1fff, v5
	s_branch .LBB188_32
.LBB188_31:                             ;   in Loop: Header=BB188_32 Depth=2
	s_or_b32 exec_lo, exec_lo, s9
	s_xor_b32 s9, s10, -1
	s_delay_alu instid0(SALU_CYCLE_1) | instskip(NEXT) | instid1(SALU_CYCLE_1)
	s_and_b32 s9, exec_lo, s9
	s_or_b32 s8, s9, s8
	s_delay_alu instid0(SALU_CYCLE_1)
	s_and_not1_b32 exec_lo, exec_lo, s8
	s_cbranch_execz .LBB188_29
.LBB188_32:                             ;   Parent Loop BB188_30 Depth=1
                                        ; =>  This Inner Loop Header: Depth=2
	s_delay_alu instid0(VALU_DEP_1)
	v_lshl_add_u32 v6, v5, 2, 0
	s_mov_b32 s9, exec_lo
                                        ; implicit-def: $sgpr10
	ds_load_b32 v7, v6
	s_waitcnt lgkmcnt(0)
	v_cmpx_ne_u32_e64 v7, v3
	s_xor_b32 s9, exec_lo, s9
	s_cbranch_execz .LBB188_40
; %bb.33:                               ;   in Loop: Header=BB188_32 Depth=2
	s_mov_b32 s11, exec_lo
                                        ; implicit-def: $sgpr10
	v_cmpx_ne_u32_e64 s33, v7
	s_xor_b32 s11, exec_lo, s11
; %bb.34:                               ;   in Loop: Header=BB188_32 Depth=2
	v_add_nc_u32_e32 v5, 1, v5
	s_mov_b32 s10, -1
                                        ; implicit-def: $vgpr6
	s_delay_alu instid0(VALU_DEP_1)
	v_and_b32_e32 v5, 0x1fff, v5
; %bb.35:                               ;   in Loop: Header=BB188_32 Depth=2
	s_and_not1_saveexec_b32 s11, s11
	s_cbranch_execz .LBB188_39
; %bb.36:                               ;   in Loop: Header=BB188_32 Depth=2
	v_mov_b32_e32 v7, s33
	s_mov_b32 s12, -1
	s_mov_b32 s13, exec_lo
	ds_cmpstore_rtn_b32 v7, v6, v3, v7
	s_waitcnt lgkmcnt(0)
	v_cmpx_eq_u32_e64 s33, v7
	s_cbranch_execz .LBB188_38
; %bb.37:                               ;   in Loop: Header=BB188_32 Depth=2
	ds_add_f32 v6, v4 offset:32768
	s_xor_b32 s12, exec_lo, -1
.LBB188_38:                             ;   in Loop: Header=BB188_32 Depth=2
	s_or_b32 exec_lo, exec_lo, s13
	s_delay_alu instid0(SALU_CYCLE_1) | instskip(SKIP_1) | instid1(SALU_CYCLE_1)
	s_and_not1_b32 s10, s10, exec_lo
	s_and_b32 s12, s12, exec_lo
	s_or_b32 s10, s10, s12
.LBB188_39:                             ;   in Loop: Header=BB188_32 Depth=2
	s_or_b32 exec_lo, exec_lo, s11
	s_delay_alu instid0(SALU_CYCLE_1)
	s_and_b32 s10, s10, exec_lo
                                        ; implicit-def: $vgpr6
.LBB188_40:                             ;   in Loop: Header=BB188_32 Depth=2
	s_and_not1_saveexec_b32 s9, s9
	s_cbranch_execz .LBB188_31
; %bb.41:                               ;   in Loop: Header=BB188_32 Depth=2
	ds_add_f32 v6, v4 offset:32768
	s_and_not1_b32 s10, s10, exec_lo
	s_branch .LBB188_31
.LBB188_42:
	s_or_b32 exec_lo, exec_lo, s6
.LBB188_43:
	v_mbcnt_lo_u32_b32 v1, -1, 0
	v_lshrrev_b32_e32 v2, 3, v0
	s_add_i32 s70, 0, 0x1007c
	v_cmp_eq_u32_e32 vcc_lo, 0x3ff, v0
	v_cmp_lt_u32_e64 s0, 31, v0
	v_xor_b32_e32 v1, 63, v1
	v_dual_mov_b32 v8, s70 :: v_dual_and_b32 v3, 0x7c, v2
	v_cmp_lt_u32_e64 s1, 63, v0
	v_cmp_lt_u32_e64 s2, 0x5f, v0
	s_delay_alu instid0(VALU_DEP_4) | instskip(NEXT) | instid1(VALU_DEP_4)
	v_lshrrev_b64 v[1:2], v1, -1
	v_add3_u32 v4, 0, 0x10000, v3
	v_cmp_lt_u32_e64 s3, 0x7f, v0
	v_cmp_lt_u32_e64 s4, 0x9f, v0
	;; [unrolled: 1-line block ×28, first 2 shown]
	v_or_b32_e32 v5, 0xfffffc00, v0
	v_lshl_add_u32 v6, v0, 2, 0
	v_mov_b32_e32 v7, 0
	s_mov_b32 s35, 0
	s_add_i32 s39, 0, 0x10000
	s_add_i32 s44, 0, 0x10004
	;; [unrolled: 1-line block ×31, first 2 shown]
	s_waitcnt lgkmcnt(0)
	s_barrier
	buffer_gl0_inv
	s_branch .LBB188_45
.LBB188_44:                             ;   in Loop: Header=BB188_45 Depth=1
	s_or_b32 exec_lo, exec_lo, s31
	s_waitcnt lgkmcnt(0)
	s_barrier
	buffer_gl0_inv
	ds_load_b32 v2, v8
	v_add_nc_u32_e32 v5, 0x400, v5
	v_add_nc_u32_e32 v6, 0x1000, v6
	s_delay_alu instid0(VALU_DEP_2) | instskip(NEXT) | instid1(VALU_DEP_1)
	v_cmp_lt_u32_e64 s31, 0x1bff, v5
	s_or_b32 s35, s31, s35
	s_waitcnt lgkmcnt(0)
	v_add_nc_u32_e32 v7, v2, v7
	s_and_not1_b32 exec_lo, exec_lo, s35
	s_cbranch_execz .LBB188_111
.LBB188_45:                             ; =>This Inner Loop Header: Depth=1
	ds_load_2addr_stride64_b32 v[2:3], v6 offset1:128
	s_waitcnt lgkmcnt(0)
	s_barrier
	buffer_gl0_inv
	v_cmp_gt_i32_e64 s31, s33, v2
	s_delay_alu instid0(VALU_DEP_1) | instskip(NEXT) | instid1(SALU_CYCLE_1)
	s_bcnt1_i32_b32 s75, s31
	v_dual_mov_b32 v10, s75 :: v_dual_and_b32 v9, s31, v1
	s_delay_alu instid0(VALU_DEP_1)
	v_bcnt_u32_b32 v9, v9, 0
	ds_store_b32 v4, v10
	s_waitcnt lgkmcnt(0)
	s_barrier
	buffer_gl0_inv
	s_and_saveexec_b32 s75, s0
	s_cbranch_execnz .LBB188_78
; %bb.46:                               ;   in Loop: Header=BB188_45 Depth=1
	s_or_b32 exec_lo, exec_lo, s75
	s_and_saveexec_b32 s75, s1
	s_cbranch_execnz .LBB188_79
.LBB188_47:                             ;   in Loop: Header=BB188_45 Depth=1
	s_or_b32 exec_lo, exec_lo, s75
	s_and_saveexec_b32 s75, s2
	s_cbranch_execnz .LBB188_80
.LBB188_48:                             ;   in Loop: Header=BB188_45 Depth=1
	s_or_b32 exec_lo, exec_lo, s75
	s_and_saveexec_b32 s75, s3
	s_cbranch_execnz .LBB188_81
.LBB188_49:                             ;   in Loop: Header=BB188_45 Depth=1
	s_or_b32 exec_lo, exec_lo, s75
	s_and_saveexec_b32 s75, s4
	s_cbranch_execnz .LBB188_82
.LBB188_50:                             ;   in Loop: Header=BB188_45 Depth=1
	s_or_b32 exec_lo, exec_lo, s75
	s_and_saveexec_b32 s75, s5
	s_cbranch_execnz .LBB188_83
.LBB188_51:                             ;   in Loop: Header=BB188_45 Depth=1
	s_or_b32 exec_lo, exec_lo, s75
	s_and_saveexec_b32 s75, s6
	s_cbranch_execnz .LBB188_84
.LBB188_52:                             ;   in Loop: Header=BB188_45 Depth=1
	s_or_b32 exec_lo, exec_lo, s75
	s_and_saveexec_b32 s75, s7
	s_cbranch_execnz .LBB188_85
.LBB188_53:                             ;   in Loop: Header=BB188_45 Depth=1
	s_or_b32 exec_lo, exec_lo, s75
	s_and_saveexec_b32 s75, s8
	s_cbranch_execnz .LBB188_86
.LBB188_54:                             ;   in Loop: Header=BB188_45 Depth=1
	s_or_b32 exec_lo, exec_lo, s75
	s_and_saveexec_b32 s75, s9
	s_cbranch_execnz .LBB188_87
.LBB188_55:                             ;   in Loop: Header=BB188_45 Depth=1
	s_or_b32 exec_lo, exec_lo, s75
	s_and_saveexec_b32 s75, s10
	s_cbranch_execnz .LBB188_88
.LBB188_56:                             ;   in Loop: Header=BB188_45 Depth=1
	s_or_b32 exec_lo, exec_lo, s75
	s_and_saveexec_b32 s75, s11
	s_cbranch_execnz .LBB188_89
.LBB188_57:                             ;   in Loop: Header=BB188_45 Depth=1
	s_or_b32 exec_lo, exec_lo, s75
	s_and_saveexec_b32 s75, s12
	s_cbranch_execnz .LBB188_90
.LBB188_58:                             ;   in Loop: Header=BB188_45 Depth=1
	s_or_b32 exec_lo, exec_lo, s75
	s_and_saveexec_b32 s75, s13
	s_cbranch_execnz .LBB188_91
.LBB188_59:                             ;   in Loop: Header=BB188_45 Depth=1
	s_or_b32 exec_lo, exec_lo, s75
	s_and_saveexec_b32 s75, s14
	s_cbranch_execnz .LBB188_92
.LBB188_60:                             ;   in Loop: Header=BB188_45 Depth=1
	s_or_b32 exec_lo, exec_lo, s75
	s_and_saveexec_b32 s75, s15
	s_cbranch_execnz .LBB188_93
.LBB188_61:                             ;   in Loop: Header=BB188_45 Depth=1
	s_or_b32 exec_lo, exec_lo, s75
	s_and_saveexec_b32 s75, s16
	s_cbranch_execnz .LBB188_94
.LBB188_62:                             ;   in Loop: Header=BB188_45 Depth=1
	s_or_b32 exec_lo, exec_lo, s75
	s_and_saveexec_b32 s75, s17
	s_cbranch_execnz .LBB188_95
.LBB188_63:                             ;   in Loop: Header=BB188_45 Depth=1
	s_or_b32 exec_lo, exec_lo, s75
	s_and_saveexec_b32 s75, s18
	s_cbranch_execnz .LBB188_96
.LBB188_64:                             ;   in Loop: Header=BB188_45 Depth=1
	s_or_b32 exec_lo, exec_lo, s75
	s_and_saveexec_b32 s75, s19
	s_cbranch_execnz .LBB188_97
.LBB188_65:                             ;   in Loop: Header=BB188_45 Depth=1
	s_or_b32 exec_lo, exec_lo, s75
	s_and_saveexec_b32 s75, s20
	s_cbranch_execnz .LBB188_98
.LBB188_66:                             ;   in Loop: Header=BB188_45 Depth=1
	s_or_b32 exec_lo, exec_lo, s75
	s_and_saveexec_b32 s75, s21
	s_cbranch_execnz .LBB188_99
.LBB188_67:                             ;   in Loop: Header=BB188_45 Depth=1
	s_or_b32 exec_lo, exec_lo, s75
	s_and_saveexec_b32 s75, s22
	s_cbranch_execnz .LBB188_100
.LBB188_68:                             ;   in Loop: Header=BB188_45 Depth=1
	s_or_b32 exec_lo, exec_lo, s75
	s_and_saveexec_b32 s75, s23
	s_cbranch_execnz .LBB188_101
.LBB188_69:                             ;   in Loop: Header=BB188_45 Depth=1
	s_or_b32 exec_lo, exec_lo, s75
	s_and_saveexec_b32 s75, s24
	s_cbranch_execnz .LBB188_102
.LBB188_70:                             ;   in Loop: Header=BB188_45 Depth=1
	s_or_b32 exec_lo, exec_lo, s75
	s_and_saveexec_b32 s75, s25
	s_cbranch_execnz .LBB188_103
.LBB188_71:                             ;   in Loop: Header=BB188_45 Depth=1
	s_or_b32 exec_lo, exec_lo, s75
	s_and_saveexec_b32 s75, s26
	s_cbranch_execnz .LBB188_104
.LBB188_72:                             ;   in Loop: Header=BB188_45 Depth=1
	s_or_b32 exec_lo, exec_lo, s75
	s_and_saveexec_b32 s75, s27
	s_cbranch_execnz .LBB188_105
.LBB188_73:                             ;   in Loop: Header=BB188_45 Depth=1
	s_or_b32 exec_lo, exec_lo, s75
	s_and_saveexec_b32 s75, s28
	s_cbranch_execnz .LBB188_106
.LBB188_74:                             ;   in Loop: Header=BB188_45 Depth=1
	s_or_b32 exec_lo, exec_lo, s75
	s_and_saveexec_b32 s75, s29
	s_cbranch_execnz .LBB188_107
.LBB188_75:                             ;   in Loop: Header=BB188_45 Depth=1
	s_or_b32 exec_lo, exec_lo, s75
	s_and_saveexec_b32 s75, s30
	s_cbranch_execnz .LBB188_108
.LBB188_76:                             ;   in Loop: Header=BB188_45 Depth=1
	s_or_b32 exec_lo, exec_lo, s75
	s_and_saveexec_b32 s75, s31
	s_cbranch_execnz .LBB188_109
.LBB188_77:                             ;   in Loop: Header=BB188_45 Depth=1
	s_or_b32 exec_lo, exec_lo, s75
	s_and_saveexec_b32 s31, vcc_lo
	s_cbranch_execz .LBB188_44
	s_branch .LBB188_110
.LBB188_78:                             ;   in Loop: Header=BB188_45 Depth=1
	v_mov_b32_e32 v10, s39
	ds_load_b32 v10, v10
	s_waitcnt lgkmcnt(0)
	v_add_nc_u32_e32 v9, v10, v9
	s_or_b32 exec_lo, exec_lo, s75
	s_and_saveexec_b32 s75, s1
	s_cbranch_execz .LBB188_47
.LBB188_79:                             ;   in Loop: Header=BB188_45 Depth=1
	v_mov_b32_e32 v10, s44
	ds_load_b32 v10, v10
	s_waitcnt lgkmcnt(0)
	v_add_nc_u32_e32 v9, v10, v9
	s_or_b32 exec_lo, exec_lo, s75
	s_and_saveexec_b32 s75, s2
	s_cbranch_execz .LBB188_48
.LBB188_80:                             ;   in Loop: Header=BB188_45 Depth=1
	v_mov_b32_e32 v10, s45
	ds_load_b32 v10, v10
	s_waitcnt lgkmcnt(0)
	v_add_nc_u32_e32 v9, v10, v9
	s_or_b32 exec_lo, exec_lo, s75
	s_and_saveexec_b32 s75, s3
	s_cbranch_execz .LBB188_49
.LBB188_81:                             ;   in Loop: Header=BB188_45 Depth=1
	v_mov_b32_e32 v10, s46
	ds_load_b32 v10, v10
	s_waitcnt lgkmcnt(0)
	v_add_nc_u32_e32 v9, v10, v9
	s_or_b32 exec_lo, exec_lo, s75
	s_and_saveexec_b32 s75, s4
	s_cbranch_execz .LBB188_50
.LBB188_82:                             ;   in Loop: Header=BB188_45 Depth=1
	v_mov_b32_e32 v10, s47
	ds_load_b32 v10, v10
	s_waitcnt lgkmcnt(0)
	v_add_nc_u32_e32 v9, v10, v9
	s_or_b32 exec_lo, exec_lo, s75
	s_and_saveexec_b32 s75, s5
	s_cbranch_execz .LBB188_51
.LBB188_83:                             ;   in Loop: Header=BB188_45 Depth=1
	v_mov_b32_e32 v10, s48
	ds_load_b32 v10, v10
	s_waitcnt lgkmcnt(0)
	v_add_nc_u32_e32 v9, v10, v9
	s_or_b32 exec_lo, exec_lo, s75
	s_and_saveexec_b32 s75, s6
	s_cbranch_execz .LBB188_52
.LBB188_84:                             ;   in Loop: Header=BB188_45 Depth=1
	v_mov_b32_e32 v10, s49
	ds_load_b32 v10, v10
	s_waitcnt lgkmcnt(0)
	v_add_nc_u32_e32 v9, v10, v9
	s_or_b32 exec_lo, exec_lo, s75
	s_and_saveexec_b32 s75, s7
	s_cbranch_execz .LBB188_53
.LBB188_85:                             ;   in Loop: Header=BB188_45 Depth=1
	v_mov_b32_e32 v10, s50
	ds_load_b32 v10, v10
	s_waitcnt lgkmcnt(0)
	v_add_nc_u32_e32 v9, v10, v9
	s_or_b32 exec_lo, exec_lo, s75
	s_and_saveexec_b32 s75, s8
	s_cbranch_execz .LBB188_54
.LBB188_86:                             ;   in Loop: Header=BB188_45 Depth=1
	v_mov_b32_e32 v10, s51
	ds_load_b32 v10, v10
	s_waitcnt lgkmcnt(0)
	v_add_nc_u32_e32 v9, v10, v9
	s_or_b32 exec_lo, exec_lo, s75
	s_and_saveexec_b32 s75, s9
	s_cbranch_execz .LBB188_55
.LBB188_87:                             ;   in Loop: Header=BB188_45 Depth=1
	v_mov_b32_e32 v10, s52
	ds_load_b32 v10, v10
	s_waitcnt lgkmcnt(0)
	v_add_nc_u32_e32 v9, v10, v9
	s_or_b32 exec_lo, exec_lo, s75
	s_and_saveexec_b32 s75, s10
	s_cbranch_execz .LBB188_56
.LBB188_88:                             ;   in Loop: Header=BB188_45 Depth=1
	v_mov_b32_e32 v10, s53
	ds_load_b32 v10, v10
	s_waitcnt lgkmcnt(0)
	v_add_nc_u32_e32 v9, v10, v9
	s_or_b32 exec_lo, exec_lo, s75
	s_and_saveexec_b32 s75, s11
	s_cbranch_execz .LBB188_57
.LBB188_89:                             ;   in Loop: Header=BB188_45 Depth=1
	v_mov_b32_e32 v10, s54
	ds_load_b32 v10, v10
	s_waitcnt lgkmcnt(0)
	v_add_nc_u32_e32 v9, v10, v9
	s_or_b32 exec_lo, exec_lo, s75
	s_and_saveexec_b32 s75, s12
	s_cbranch_execz .LBB188_58
.LBB188_90:                             ;   in Loop: Header=BB188_45 Depth=1
	v_mov_b32_e32 v10, s55
	ds_load_b32 v10, v10
	s_waitcnt lgkmcnt(0)
	v_add_nc_u32_e32 v9, v10, v9
	s_or_b32 exec_lo, exec_lo, s75
	s_and_saveexec_b32 s75, s13
	s_cbranch_execz .LBB188_59
.LBB188_91:                             ;   in Loop: Header=BB188_45 Depth=1
	v_mov_b32_e32 v10, s56
	ds_load_b32 v10, v10
	s_waitcnt lgkmcnt(0)
	v_add_nc_u32_e32 v9, v10, v9
	s_or_b32 exec_lo, exec_lo, s75
	s_and_saveexec_b32 s75, s14
	s_cbranch_execz .LBB188_60
.LBB188_92:                             ;   in Loop: Header=BB188_45 Depth=1
	v_mov_b32_e32 v10, s57
	ds_load_b32 v10, v10
	s_waitcnt lgkmcnt(0)
	v_add_nc_u32_e32 v9, v10, v9
	s_or_b32 exec_lo, exec_lo, s75
	s_and_saveexec_b32 s75, s15
	s_cbranch_execz .LBB188_61
.LBB188_93:                             ;   in Loop: Header=BB188_45 Depth=1
	v_mov_b32_e32 v10, s58
	ds_load_b32 v10, v10
	s_waitcnt lgkmcnt(0)
	v_add_nc_u32_e32 v9, v10, v9
	s_or_b32 exec_lo, exec_lo, s75
	s_and_saveexec_b32 s75, s16
	s_cbranch_execz .LBB188_62
.LBB188_94:                             ;   in Loop: Header=BB188_45 Depth=1
	v_mov_b32_e32 v10, s59
	ds_load_b32 v10, v10
	s_waitcnt lgkmcnt(0)
	v_add_nc_u32_e32 v9, v10, v9
	s_or_b32 exec_lo, exec_lo, s75
	s_and_saveexec_b32 s75, s17
	s_cbranch_execz .LBB188_63
.LBB188_95:                             ;   in Loop: Header=BB188_45 Depth=1
	v_mov_b32_e32 v10, s60
	ds_load_b32 v10, v10
	s_waitcnt lgkmcnt(0)
	v_add_nc_u32_e32 v9, v10, v9
	s_or_b32 exec_lo, exec_lo, s75
	s_and_saveexec_b32 s75, s18
	s_cbranch_execz .LBB188_64
.LBB188_96:                             ;   in Loop: Header=BB188_45 Depth=1
	v_mov_b32_e32 v10, s61
	ds_load_b32 v10, v10
	s_waitcnt lgkmcnt(0)
	v_add_nc_u32_e32 v9, v10, v9
	s_or_b32 exec_lo, exec_lo, s75
	s_and_saveexec_b32 s75, s19
	s_cbranch_execz .LBB188_65
.LBB188_97:                             ;   in Loop: Header=BB188_45 Depth=1
	v_mov_b32_e32 v10, s62
	ds_load_b32 v10, v10
	s_waitcnt lgkmcnt(0)
	v_add_nc_u32_e32 v9, v10, v9
	s_or_b32 exec_lo, exec_lo, s75
	s_and_saveexec_b32 s75, s20
	s_cbranch_execz .LBB188_66
.LBB188_98:                             ;   in Loop: Header=BB188_45 Depth=1
	v_mov_b32_e32 v10, s63
	ds_load_b32 v10, v10
	s_waitcnt lgkmcnt(0)
	v_add_nc_u32_e32 v9, v10, v9
	s_or_b32 exec_lo, exec_lo, s75
	s_and_saveexec_b32 s75, s21
	s_cbranch_execz .LBB188_67
.LBB188_99:                             ;   in Loop: Header=BB188_45 Depth=1
	v_mov_b32_e32 v10, s64
	ds_load_b32 v10, v10
	s_waitcnt lgkmcnt(0)
	v_add_nc_u32_e32 v9, v10, v9
	s_or_b32 exec_lo, exec_lo, s75
	s_and_saveexec_b32 s75, s22
	s_cbranch_execz .LBB188_68
.LBB188_100:                            ;   in Loop: Header=BB188_45 Depth=1
	v_mov_b32_e32 v10, s65
	ds_load_b32 v10, v10
	s_waitcnt lgkmcnt(0)
	v_add_nc_u32_e32 v9, v10, v9
	s_or_b32 exec_lo, exec_lo, s75
	s_and_saveexec_b32 s75, s23
	s_cbranch_execz .LBB188_69
.LBB188_101:                            ;   in Loop: Header=BB188_45 Depth=1
	v_mov_b32_e32 v10, s66
	ds_load_b32 v10, v10
	s_waitcnt lgkmcnt(0)
	v_add_nc_u32_e32 v9, v10, v9
	s_or_b32 exec_lo, exec_lo, s75
	s_and_saveexec_b32 s75, s24
	s_cbranch_execz .LBB188_70
.LBB188_102:                            ;   in Loop: Header=BB188_45 Depth=1
	v_mov_b32_e32 v10, s67
	ds_load_b32 v10, v10
	s_waitcnt lgkmcnt(0)
	v_add_nc_u32_e32 v9, v10, v9
	s_or_b32 exec_lo, exec_lo, s75
	s_and_saveexec_b32 s75, s25
	s_cbranch_execz .LBB188_71
.LBB188_103:                            ;   in Loop: Header=BB188_45 Depth=1
	v_mov_b32_e32 v10, s68
	ds_load_b32 v10, v10
	s_waitcnt lgkmcnt(0)
	v_add_nc_u32_e32 v9, v10, v9
	s_or_b32 exec_lo, exec_lo, s75
	s_and_saveexec_b32 s75, s26
	s_cbranch_execz .LBB188_72
.LBB188_104:                            ;   in Loop: Header=BB188_45 Depth=1
	v_mov_b32_e32 v10, s69
	ds_load_b32 v10, v10
	s_waitcnt lgkmcnt(0)
	v_add_nc_u32_e32 v9, v10, v9
	s_or_b32 exec_lo, exec_lo, s75
	s_and_saveexec_b32 s75, s27
	s_cbranch_execz .LBB188_73
.LBB188_105:                            ;   in Loop: Header=BB188_45 Depth=1
	v_mov_b32_e32 v10, s71
	ds_load_b32 v10, v10
	s_waitcnt lgkmcnt(0)
	v_add_nc_u32_e32 v9, v10, v9
	s_or_b32 exec_lo, exec_lo, s75
	s_and_saveexec_b32 s75, s28
	s_cbranch_execz .LBB188_74
.LBB188_106:                            ;   in Loop: Header=BB188_45 Depth=1
	v_mov_b32_e32 v10, s72
	ds_load_b32 v10, v10
	s_waitcnt lgkmcnt(0)
	v_add_nc_u32_e32 v9, v10, v9
	s_or_b32 exec_lo, exec_lo, s75
	s_and_saveexec_b32 s75, s29
	s_cbranch_execz .LBB188_75
.LBB188_107:                            ;   in Loop: Header=BB188_45 Depth=1
	v_mov_b32_e32 v10, s73
	ds_load_b32 v10, v10
	s_waitcnt lgkmcnt(0)
	v_add_nc_u32_e32 v9, v10, v9
	s_or_b32 exec_lo, exec_lo, s75
	s_and_saveexec_b32 s75, s30
	s_cbranch_execz .LBB188_76
.LBB188_108:                            ;   in Loop: Header=BB188_45 Depth=1
	v_mov_b32_e32 v10, s74
	ds_load_b32 v10, v10
	s_waitcnt lgkmcnt(0)
	v_add_nc_u32_e32 v9, v10, v9
	s_or_b32 exec_lo, exec_lo, s75
	s_and_saveexec_b32 s75, s31
	s_cbranch_execz .LBB188_77
.LBB188_109:                            ;   in Loop: Header=BB188_45 Depth=1
	s_delay_alu instid0(VALU_DEP_1) | instskip(NEXT) | instid1(VALU_DEP_1)
	v_add3_u32 v10, v7, -1, v9
	v_lshl_add_u32 v10, v10, 2, 0
	ds_store_2addr_stride64_b32 v10, v2, v3 offset1:128
	s_or_b32 exec_lo, exec_lo, s75
	s_and_saveexec_b32 s31, vcc_lo
	s_cbranch_execz .LBB188_44
.LBB188_110:                            ;   in Loop: Header=BB188_45 Depth=1
	v_mov_b32_e32 v2, s70
	ds_store_b32 v2, v9
	s_branch .LBB188_44
.LBB188_111:
	s_or_b32 exec_lo, exec_lo, s35
	s_ashr_i32 s35, s34, 31
	s_mov_b32 s4, exec_lo
	s_lshl_b64 s[0:1], s[34:35], 3
	s_delay_alu instid0(SALU_CYCLE_1) | instskip(SKIP_4) | instid1(SALU_CYCLE_1)
	s_add_u32 s0, s40, s0
	s_addc_u32 s1, s41, s1
	s_load_b128 s[0:3], s[0:1], 0x0
	s_waitcnt lgkmcnt(0)
	s_sub_i32 s3, s2, s0
	v_cmpx_gt_i32_e64 s3, v0
	s_cbranch_execz .LBB188_121
; %bb.112:
	s_sub_u32 s4, s0, s38
	s_subb_u32 s5, s1, 0
	s_sub_i32 s0, s0, s2
	s_and_b32 s1, s3, 7
	s_cmp_lt_u32 s0, -7
	s_mov_b32 s8, 0
	s_cselect_b32 s2, -1, 0
	s_and_b32 s6, s3, -8
	s_cmp_lg_u32 s1, 0
	s_cselect_b32 s7, -1, 0
	s_branch .LBB188_114
.LBB188_113:                            ;   in Loop: Header=BB188_114 Depth=1
	s_delay_alu instid0(VALU_DEP_1) | instskip(SKIP_3) | instid1(VALU_DEP_3)
	v_lshlrev_b64 v[3:4], 2, v[3:4]
	v_add_nc_u32_e32 v0, 0x400, v0
	s_waitcnt lgkmcnt(0)
	v_add_nc_u32_e32 v1, s38, v1
	v_add_co_u32 v5, vcc_lo, s42, v3
	s_delay_alu instid0(VALU_DEP_4) | instskip(SKIP_2) | instid1(VALU_DEP_1)
	v_add_co_ci_u32_e32 v6, vcc_lo, s43, v4, vcc_lo
	v_cmp_le_i32_e32 vcc_lo, s3, v0
	v_add_co_u32 v3, s0, s36, v3
	v_add_co_ci_u32_e64 v4, s0, s37, v4, s0
	s_or_b32 s8, vcc_lo, s8
	global_store_b32 v[5:6], v1, off
	global_store_b32 v[3:4], v2, off
	s_and_not1_b32 exec_lo, exec_lo, s8
	s_cbranch_execz .LBB188_121
.LBB188_114:                            ; =>This Loop Header: Depth=1
                                        ;     Child Loop BB188_116 Depth 2
                                        ;     Child Loop BB188_120 Depth 2
	v_lshl_add_u32 v1, v0, 2, 0
	v_dual_mov_b32 v3, s4 :: v_dual_mov_b32 v4, s5
	s_and_not1_b32 vcc_lo, exec_lo, s2
	s_mov_b32 s0, 0
	ds_load_2addr_stride64_b32 v[1:2], v1 offset1:128
	s_cbranch_vccnz .LBB188_118
; %bb.115:                              ;   in Loop: Header=BB188_114 Depth=1
	v_dual_mov_b32 v3, s4 :: v_dual_mov_b32 v4, s5
	s_mov_b32 s9, 0
	s_mov_b32 s10, 0
.LBB188_116:                            ;   Parent Loop BB188_114 Depth=1
                                        ; =>  This Inner Loop Header: Depth=2
	s_delay_alu instid0(SALU_CYCLE_1)
	v_mov_b32_e32 v11, s10
	s_add_i32 s9, s9, 8
	s_add_i32 s10, s10, 32
	s_cmp_eq_u32 s6, s9
	ds_load_2addr_b32 v[5:6], v11 offset1:1
	ds_load_2addr_b32 v[7:8], v11 offset0:2 offset1:3
	ds_load_2addr_b32 v[9:10], v11 offset0:4 offset1:5
	;; [unrolled: 1-line block ×3, first 2 shown]
	s_waitcnt lgkmcnt(3)
	v_cmp_gt_i32_e32 vcc_lo, v1, v5
	v_cndmask_b32_e64 v5, 0, 1, vcc_lo
	v_cmp_gt_i32_e32 vcc_lo, v1, v6
	v_cndmask_b32_e64 v6, 0, 1, vcc_lo
	s_waitcnt lgkmcnt(2)
	v_cmp_gt_i32_e32 vcc_lo, v1, v7
	v_cndmask_b32_e64 v7, 0, 1, vcc_lo
	v_cmp_gt_i32_e32 vcc_lo, v1, v8
	v_cndmask_b32_e64 v8, 0, 1, vcc_lo
	s_waitcnt lgkmcnt(1)
	v_cmp_gt_i32_e32 vcc_lo, v1, v9
	v_cndmask_b32_e64 v9, 0, 1, vcc_lo
	v_add_co_u32 v3, vcc_lo, v3, v5
	v_add_co_ci_u32_e32 v4, vcc_lo, 0, v4, vcc_lo
	v_cmp_gt_i32_e32 vcc_lo, v1, v10
	s_delay_alu instid0(VALU_DEP_3) | instskip(NEXT) | instid1(VALU_DEP_1)
	v_add_co_u32 v3, s0, v3, v6
	v_add_co_ci_u32_e64 v4, s0, 0, v4, s0
	v_cndmask_b32_e64 v5, 0, 1, vcc_lo
	s_delay_alu instid0(VALU_DEP_3) | instskip(NEXT) | instid1(VALU_DEP_3)
	v_add_co_u32 v3, vcc_lo, v3, v7
	v_add_co_ci_u32_e32 v4, vcc_lo, 0, v4, vcc_lo
	s_waitcnt lgkmcnt(0)
	v_cmp_gt_i32_e32 vcc_lo, v1, v11
	s_delay_alu instid0(VALU_DEP_3) | instskip(NEXT) | instid1(VALU_DEP_1)
	v_add_co_u32 v3, s0, v3, v8
	v_add_co_ci_u32_e64 v4, s0, 0, v4, s0
	v_cndmask_b32_e64 v6, 0, 1, vcc_lo
	s_delay_alu instid0(VALU_DEP_3) | instskip(NEXT) | instid1(VALU_DEP_3)
	v_add_co_u32 v3, vcc_lo, v3, v9
	v_add_co_ci_u32_e32 v4, vcc_lo, 0, v4, vcc_lo
	v_cmp_gt_i32_e32 vcc_lo, v1, v12
	s_delay_alu instid0(VALU_DEP_3) | instskip(NEXT) | instid1(VALU_DEP_1)
	v_add_co_u32 v3, s0, v3, v5
	v_add_co_ci_u32_e64 v4, s0, 0, v4, s0
	v_cndmask_b32_e64 v5, 0, 1, vcc_lo
	s_delay_alu instid0(VALU_DEP_3) | instskip(NEXT) | instid1(VALU_DEP_3)
	v_add_co_u32 v3, vcc_lo, v3, v6
	v_add_co_ci_u32_e32 v4, vcc_lo, 0, v4, vcc_lo
	s_delay_alu instid0(VALU_DEP_2) | instskip(NEXT) | instid1(VALU_DEP_2)
	v_add_co_u32 v3, vcc_lo, v3, v5
	v_add_co_ci_u32_e32 v4, vcc_lo, 0, v4, vcc_lo
	s_cbranch_scc0 .LBB188_116
; %bb.117:                              ;   in Loop: Header=BB188_114 Depth=1
	s_mov_b32 s0, s6
.LBB188_118:                            ;   in Loop: Header=BB188_114 Depth=1
	s_and_not1_b32 vcc_lo, exec_lo, s7
	s_cbranch_vccnz .LBB188_113
; %bb.119:                              ;   in Loop: Header=BB188_114 Depth=1
	s_lshl_b32 s0, s0, 2
	s_mov_b32 s9, s1
	s_add_i32 s0, s0, 0
.LBB188_120:                            ;   Parent Loop BB188_114 Depth=1
                                        ; =>  This Inner Loop Header: Depth=2
	s_delay_alu instid0(SALU_CYCLE_1)
	v_mov_b32_e32 v5, s0
	s_add_i32 s9, s9, -1
	s_add_i32 s0, s0, 4
	s_cmp_lg_u32 s9, 0
	ds_load_b32 v5, v5
	s_waitcnt lgkmcnt(0)
	v_cmp_gt_i32_e32 vcc_lo, v1, v5
	v_cndmask_b32_e64 v5, 0, 1, vcc_lo
	s_delay_alu instid0(VALU_DEP_1)
	v_add_co_u32 v3, vcc_lo, v3, v5
	v_add_co_ci_u32_e32 v4, vcc_lo, 0, v4, vcc_lo
	s_cbranch_scc1 .LBB188_120
	s_branch .LBB188_113
.LBB188_121:
	s_nop 0
	s_sendmsg sendmsg(MSG_DEALLOC_VGPRS)
	s_endpgm
	.section	.rodata,"a",@progbits
	.p2align	6, 0x0
	.amdhsa_kernel _ZN9rocsparseL26csrgemm_fill_block_per_rowILj1024ELj64ELj8192ELj137ELj32ElifEEvT5_PKS1_S3_NS_24const_host_device_scalarIT6_EEPKT4_S3_PKS5_S9_S3_SB_S6_S9_S3_SB_S9_PS1_PS5_21rocsparse_index_base_SE_SE_SE_bbb
		.amdhsa_group_segment_fixed_size 0
		.amdhsa_private_segment_fixed_size 0
		.amdhsa_kernarg_size 156
		.amdhsa_user_sgpr_count 15
		.amdhsa_user_sgpr_dispatch_ptr 0
		.amdhsa_user_sgpr_queue_ptr 0
		.amdhsa_user_sgpr_kernarg_segment_ptr 1
		.amdhsa_user_sgpr_dispatch_id 0
		.amdhsa_user_sgpr_private_segment_size 0
		.amdhsa_wavefront_size32 1
		.amdhsa_uses_dynamic_stack 0
		.amdhsa_enable_private_segment 0
		.amdhsa_system_sgpr_workgroup_id_x 1
		.amdhsa_system_sgpr_workgroup_id_y 0
		.amdhsa_system_sgpr_workgroup_id_z 0
		.amdhsa_system_sgpr_workgroup_info 0
		.amdhsa_system_vgpr_workitem_id 0
		.amdhsa_next_free_vgpr 17
		.amdhsa_next_free_sgpr 76
		.amdhsa_reserve_vcc 1
		.amdhsa_float_round_mode_32 0
		.amdhsa_float_round_mode_16_64 0
		.amdhsa_float_denorm_mode_32 3
		.amdhsa_float_denorm_mode_16_64 3
		.amdhsa_dx10_clamp 1
		.amdhsa_ieee_mode 1
		.amdhsa_fp16_overflow 0
		.amdhsa_workgroup_processor_mode 1
		.amdhsa_memory_ordered 1
		.amdhsa_forward_progress 0
		.amdhsa_shared_vgpr_count 0
		.amdhsa_exception_fp_ieee_invalid_op 0
		.amdhsa_exception_fp_denorm_src 0
		.amdhsa_exception_fp_ieee_div_zero 0
		.amdhsa_exception_fp_ieee_overflow 0
		.amdhsa_exception_fp_ieee_underflow 0
		.amdhsa_exception_fp_ieee_inexact 0
		.amdhsa_exception_int_div_zero 0
	.end_amdhsa_kernel
	.section	.text._ZN9rocsparseL26csrgemm_fill_block_per_rowILj1024ELj64ELj8192ELj137ELj32ElifEEvT5_PKS1_S3_NS_24const_host_device_scalarIT6_EEPKT4_S3_PKS5_S9_S3_SB_S6_S9_S3_SB_S9_PS1_PS5_21rocsparse_index_base_SE_SE_SE_bbb,"axG",@progbits,_ZN9rocsparseL26csrgemm_fill_block_per_rowILj1024ELj64ELj8192ELj137ELj32ElifEEvT5_PKS1_S3_NS_24const_host_device_scalarIT6_EEPKT4_S3_PKS5_S9_S3_SB_S6_S9_S3_SB_S9_PS1_PS5_21rocsparse_index_base_SE_SE_SE_bbb,comdat
.Lfunc_end188:
	.size	_ZN9rocsparseL26csrgemm_fill_block_per_rowILj1024ELj64ELj8192ELj137ELj32ElifEEvT5_PKS1_S3_NS_24const_host_device_scalarIT6_EEPKT4_S3_PKS5_S9_S3_SB_S6_S9_S3_SB_S9_PS1_PS5_21rocsparse_index_base_SE_SE_SE_bbb, .Lfunc_end188-_ZN9rocsparseL26csrgemm_fill_block_per_rowILj1024ELj64ELj8192ELj137ELj32ElifEEvT5_PKS1_S3_NS_24const_host_device_scalarIT6_EEPKT4_S3_PKS5_S9_S3_SB_S6_S9_S3_SB_S9_PS1_PS5_21rocsparse_index_base_SE_SE_SE_bbb
                                        ; -- End function
	.section	.AMDGPU.csdata,"",@progbits
; Kernel info:
; codeLenInByte = 4620
; NumSgprs: 78
; NumVgprs: 17
; ScratchSize: 0
; MemoryBound: 0
; FloatMode: 240
; IeeeMode: 1
; LDSByteSize: 0 bytes/workgroup (compile time only)
; SGPRBlocks: 9
; VGPRBlocks: 2
; NumSGPRsForWavesPerEU: 78
; NumVGPRsForWavesPerEU: 17
; Occupancy: 16
; WaveLimiterHint : 1
; COMPUTE_PGM_RSRC2:SCRATCH_EN: 0
; COMPUTE_PGM_RSRC2:USER_SGPR: 15
; COMPUTE_PGM_RSRC2:TRAP_HANDLER: 0
; COMPUTE_PGM_RSRC2:TGID_X_EN: 1
; COMPUTE_PGM_RSRC2:TGID_Y_EN: 0
; COMPUTE_PGM_RSRC2:TGID_Z_EN: 0
; COMPUTE_PGM_RSRC2:TIDIG_COMP_CNT: 0
	.section	.text._ZN9rocsparseL26csrgemm_fill_block_per_rowILj1024ELj64ELj8192ELj137ELj64ElifEEvT5_PKS1_S3_NS_24const_host_device_scalarIT6_EEPKT4_S3_PKS5_S9_S3_SB_S6_S9_S3_SB_S9_PS1_PS5_21rocsparse_index_base_SE_SE_SE_bbb,"axG",@progbits,_ZN9rocsparseL26csrgemm_fill_block_per_rowILj1024ELj64ELj8192ELj137ELj64ElifEEvT5_PKS1_S3_NS_24const_host_device_scalarIT6_EEPKT4_S3_PKS5_S9_S3_SB_S6_S9_S3_SB_S9_PS1_PS5_21rocsparse_index_base_SE_SE_SE_bbb,comdat
	.globl	_ZN9rocsparseL26csrgemm_fill_block_per_rowILj1024ELj64ELj8192ELj137ELj64ElifEEvT5_PKS1_S3_NS_24const_host_device_scalarIT6_EEPKT4_S3_PKS5_S9_S3_SB_S6_S9_S3_SB_S9_PS1_PS5_21rocsparse_index_base_SE_SE_SE_bbb ; -- Begin function _ZN9rocsparseL26csrgemm_fill_block_per_rowILj1024ELj64ELj8192ELj137ELj64ElifEEvT5_PKS1_S3_NS_24const_host_device_scalarIT6_EEPKT4_S3_PKS5_S9_S3_SB_S6_S9_S3_SB_S9_PS1_PS5_21rocsparse_index_base_SE_SE_SE_bbb
	.p2align	8
	.type	_ZN9rocsparseL26csrgemm_fill_block_per_rowILj1024ELj64ELj8192ELj137ELj64ElifEEvT5_PKS1_S3_NS_24const_host_device_scalarIT6_EEPKT4_S3_PKS5_S9_S3_SB_S6_S9_S3_SB_S9_PS1_PS5_21rocsparse_index_base_SE_SE_SE_bbb,@function
_ZN9rocsparseL26csrgemm_fill_block_per_rowILj1024ELj64ELj8192ELj137ELj64ElifEEvT5_PKS1_S3_NS_24const_host_device_scalarIT6_EEPKT4_S3_PKS5_S9_S3_SB_S6_S9_S3_SB_S9_PS1_PS5_21rocsparse_index_base_SE_SE_SE_bbb: ; @_ZN9rocsparseL26csrgemm_fill_block_per_rowILj1024ELj64ELj8192ELj137ELj64ElifEEvT5_PKS1_S3_NS_24const_host_device_scalarIT6_EEPKT4_S3_PKS5_S9_S3_SB_S6_S9_S3_SB_S9_PS1_PS5_21rocsparse_index_base_SE_SE_SE_bbb
; %bb.0:
	s_clause 0x4
	s_load_b32 s11, s[0:1], 0x98
	s_load_b128 s[4:7], s[0:1], 0x8
	s_load_b64 s[8:9], s[0:1], 0x18
	s_load_b128 s[16:19], s[0:1], 0x88
	s_load_b64 s[2:3], s[0:1], 0x50
	s_waitcnt lgkmcnt(0)
	s_bitcmp1_b32 s11, 0
	s_cselect_b32 s10, -1, 0
	s_bitcmp1_b32 s11, 16
	s_cselect_b32 s12, -1, 0
	s_xor_b32 s13, s10, -1
	s_delay_alu instid0(SALU_CYCLE_1) | instskip(NEXT) | instid1(SALU_CYCLE_1)
	s_or_b32 s13, s13, s12
	s_and_b32 vcc_lo, exec_lo, s13
	s_cbranch_vccnz .LBB189_2
; %bb.1:
	s_load_b32 s8, s[8:9], 0x0
	s_waitcnt lgkmcnt(0)
	v_mov_b32_e32 v11, s8
	s_branch .LBB189_3
.LBB189_2:
	v_cndmask_b32_e64 v11, 0, s8, s10
.LBB189_3:
	s_bitcmp1_b32 s11, 8
	s_cselect_b32 s14, -1, 0
	s_delay_alu instid0(SALU_CYCLE_1) | instskip(NEXT) | instid1(SALU_CYCLE_1)
	s_xor_b32 s8, s14, -1
	s_or_b32 s8, s8, s12
	s_delay_alu instid0(SALU_CYCLE_1)
	s_and_b32 vcc_lo, exec_lo, s8
	s_cbranch_vccnz .LBB189_5
; %bb.4:
	s_load_b32 s2, s[2:3], 0x0
	s_waitcnt lgkmcnt(0)
	v_mov_b32_e32 v9, s2
	s_branch .LBB189_6
.LBB189_5:
	v_cndmask_b32_e64 v9, 0, s2, s14
.LBB189_6:
	s_load_b32 s26, s[0:1], 0x0
	v_dual_mov_b32 v2, 0 :: v_dual_lshlrev_b32 v1, 2, v0
	s_mov_b32 s3, 0
	s_delay_alu instid0(VALU_DEP_1)
	v_add3_u32 v3, 0, 0x8000, v1
	v_add_nc_u32_e32 v1, 0, v1
	ds_store_2addr_stride64_b32 v3, v2, v2 offset0:16 offset1:32
	ds_store_2addr_stride64_b32 v3, v2, v2 offset0:48 offset1:64
	;; [unrolled: 1-line block ×3, first 2 shown]
	s_waitcnt lgkmcnt(0)
	v_dual_mov_b32 v4, s26 :: v_dual_mov_b32 v5, s26
	v_dual_mov_b32 v6, s26 :: v_dual_mov_b32 v7, s26
	v_mov_b32_e32 v8, s26
	v_dual_mov_b32 v10, s26 :: v_dual_mov_b32 v13, s26
	v_mov_b32_e32 v12, s26
	ds_store_b32 v1, v2 offset:32768
	ds_store_b32 v3, v2 offset:28672
	ds_store_2addr_stride64_b32 v1, v4, v5 offset1:16
	ds_store_2addr_stride64_b32 v1, v6, v7 offset0:32 offset1:48
	ds_store_2addr_stride64_b32 v1, v8, v10 offset0:64 offset1:80
	;; [unrolled: 1-line block ×3, first 2 shown]
	s_waitcnt lgkmcnt(0)
	s_barrier
	buffer_gl0_inv
	s_load_b32 s2, s[4:5], 0x0
	v_lshrrev_b32_e32 v10, 6, v0
	s_waitcnt lgkmcnt(0)
	s_add_i32 s2, s2, s15
	s_delay_alu instid0(SALU_CYCLE_1) | instskip(NEXT) | instid1(SALU_CYCLE_1)
	s_lshl_b64 s[2:3], s[2:3], 2
	s_add_u32 s2, s6, s2
	s_addc_u32 s3, s7, s3
	s_and_not1_b32 vcc_lo, exec_lo, s10
	s_load_b32 s24, s[2:3], 0x0
	s_cbranch_vccnz .LBB189_26
; %bb.7:
	s_load_b64 s[2:3], s[0:1], 0x20
	s_waitcnt lgkmcnt(0)
	s_ashr_i32 s25, s24, 31
	s_mov_b32 s15, exec_lo
	s_lshl_b64 s[4:5], s[24:25], 3
	s_delay_alu instid0(SALU_CYCLE_1) | instskip(SKIP_3) | instid1(VALU_DEP_1)
	s_add_u32 s2, s2, s4
	s_addc_u32 s3, s3, s5
	s_load_b128 s[4:7], s[2:3], 0x0
	v_sub_co_u32 v1, s2, v10, s16
	v_sub_co_ci_u32_e64 v2, null, 0, 0, s2
	s_waitcnt lgkmcnt(0)
	s_delay_alu instid0(VALU_DEP_2) | instskip(NEXT) | instid1(VALU_DEP_2)
	v_add_co_u32 v1, vcc_lo, s4, v1
	v_add_co_ci_u32_e32 v2, vcc_lo, s5, v2, vcc_lo
	s_sub_u32 s2, s6, s16
	s_subb_u32 s3, s7, 0
	s_delay_alu instid0(VALU_DEP_1) | instid1(SALU_CYCLE_1)
	v_cmpx_gt_i64_e64 s[2:3], v[1:2]
	s_cbranch_execz .LBB189_25
; %bb.8:
	s_clause 0x1
	s_load_b64 s[12:13], s[0:1], 0x48
	s_load_b256 s[4:11], s[0:1], 0x28
	v_and_b32_e32 v3, 63, v0
	s_mov_b32 s21, s17
	s_delay_alu instid0(VALU_DEP_1) | instskip(NEXT) | instid1(VALU_DEP_1)
	v_sub_co_u32 v12, s20, v3, s17
	v_sub_co_ci_u32_e64 v13, null, 0, 0, s20
	s_mov_b32 s20, 0
	s_branch .LBB189_10
.LBB189_9:                              ;   in Loop: Header=BB189_10 Depth=1
	s_or_b32 exec_lo, exec_lo, s22
	v_add_co_u32 v1, vcc_lo, v1, 16
	v_add_co_ci_u32_e32 v2, vcc_lo, 0, v2, vcc_lo
	s_delay_alu instid0(VALU_DEP_1) | instskip(SKIP_1) | instid1(SALU_CYCLE_1)
	v_cmp_le_i64_e32 vcc_lo, s[2:3], v[1:2]
	s_or_b32 s20, vcc_lo, s20
	s_and_not1_b32 exec_lo, exec_lo, s20
	s_cbranch_execz .LBB189_25
.LBB189_10:                             ; =>This Loop Header: Depth=1
                                        ;     Child Loop BB189_13 Depth 2
                                        ;       Child Loop BB189_15 Depth 3
	v_lshlrev_b64 v[7:8], 2, v[1:2]
	s_mov_b32 s22, exec_lo
	s_waitcnt lgkmcnt(0)
	s_delay_alu instid0(VALU_DEP_1) | instskip(NEXT) | instid1(VALU_DEP_2)
	v_add_co_u32 v3, vcc_lo, s4, v7
	v_add_co_ci_u32_e32 v4, vcc_lo, s5, v8, vcc_lo
	global_load_b32 v3, v[3:4], off
	s_waitcnt vmcnt(0)
	v_subrev_nc_u32_e32 v3, s16, v3
	s_delay_alu instid0(VALU_DEP_1) | instskip(NEXT) | instid1(VALU_DEP_1)
	v_ashrrev_i32_e32 v4, 31, v3
	v_lshlrev_b64 v[3:4], 3, v[3:4]
	s_delay_alu instid0(VALU_DEP_1) | instskip(NEXT) | instid1(VALU_DEP_2)
	v_add_co_u32 v3, vcc_lo, s8, v3
	v_add_co_ci_u32_e32 v4, vcc_lo, s9, v4, vcc_lo
	global_load_b128 v[14:17], v[3:4], off
	s_waitcnt vmcnt(0)
	v_sub_co_u32 v3, vcc_lo, v16, s21
	v_subrev_co_ci_u32_e32 v4, vcc_lo, 0, v17, vcc_lo
	v_add_co_u32 v5, vcc_lo, v14, v12
	v_add_co_ci_u32_e32 v6, vcc_lo, v15, v13, vcc_lo
	s_delay_alu instid0(VALU_DEP_1)
	v_cmpx_lt_i64_e64 v[5:6], v[3:4]
	s_cbranch_execz .LBB189_9
; %bb.11:                               ;   in Loop: Header=BB189_10 Depth=1
	v_add_co_u32 v7, vcc_lo, s6, v7
	v_add_co_ci_u32_e32 v8, vcc_lo, s7, v8, vcc_lo
	s_mov_b32 s23, 0
	global_load_b32 v7, v[7:8], off
	s_waitcnt vmcnt(0)
	v_mul_f32_e32 v7, v11, v7
	s_branch .LBB189_13
.LBB189_12:                             ;   in Loop: Header=BB189_13 Depth=2
	s_or_b32 exec_lo, exec_lo, s25
	v_add_co_u32 v5, vcc_lo, v5, 64
	v_add_co_ci_u32_e32 v6, vcc_lo, 0, v6, vcc_lo
	s_delay_alu instid0(VALU_DEP_1) | instskip(SKIP_1) | instid1(SALU_CYCLE_1)
	v_cmp_ge_i64_e32 vcc_lo, v[5:6], v[3:4]
	s_or_b32 s23, vcc_lo, s23
	s_and_not1_b32 exec_lo, exec_lo, s23
	s_cbranch_execz .LBB189_9
.LBB189_13:                             ;   Parent Loop BB189_10 Depth=1
                                        ; =>  This Loop Header: Depth=2
                                        ;       Child Loop BB189_15 Depth 3
	v_lshlrev_b64 v[14:15], 2, v[5:6]
	s_mov_b32 s25, 0
	s_delay_alu instid0(VALU_DEP_1) | instskip(NEXT) | instid1(VALU_DEP_2)
	v_add_co_u32 v16, vcc_lo, s10, v14
	v_add_co_ci_u32_e32 v17, vcc_lo, s11, v15, vcc_lo
	v_add_co_u32 v14, vcc_lo, s12, v14
	v_add_co_ci_u32_e32 v15, vcc_lo, s13, v15, vcc_lo
	global_load_b32 v8, v[16:17], off
	global_load_b32 v14, v[14:15], off
	s_waitcnt vmcnt(1)
	v_subrev_nc_u32_e32 v8, s17, v8
	s_delay_alu instid0(VALU_DEP_1) | instskip(SKIP_1) | instid1(VALU_DEP_1)
	v_mul_lo_u32 v15, 0x89, v8
	s_waitcnt vmcnt(0)
	v_dual_mul_f32 v14, v7, v14 :: v_dual_and_b32 v15, 0x1fff, v15
	s_branch .LBB189_15
.LBB189_14:                             ;   in Loop: Header=BB189_15 Depth=3
	s_or_b32 exec_lo, exec_lo, s27
	s_xor_b32 s27, s28, -1
	s_delay_alu instid0(SALU_CYCLE_1) | instskip(NEXT) | instid1(SALU_CYCLE_1)
	s_and_b32 s27, exec_lo, s27
	s_or_b32 s25, s27, s25
	s_delay_alu instid0(SALU_CYCLE_1)
	s_and_not1_b32 exec_lo, exec_lo, s25
	s_cbranch_execz .LBB189_12
.LBB189_15:                             ;   Parent Loop BB189_10 Depth=1
                                        ;     Parent Loop BB189_13 Depth=2
                                        ; =>    This Inner Loop Header: Depth=3
	s_delay_alu instid0(VALU_DEP_1)
	v_lshl_add_u32 v16, v15, 2, 0
	s_mov_b32 s27, exec_lo
                                        ; implicit-def: $sgpr28
	ds_load_b32 v17, v16
	s_waitcnt lgkmcnt(0)
	v_cmpx_ne_u32_e64 v17, v8
	s_xor_b32 s27, exec_lo, s27
	s_cbranch_execz .LBB189_23
; %bb.16:                               ;   in Loop: Header=BB189_15 Depth=3
	s_mov_b32 s29, exec_lo
                                        ; implicit-def: $sgpr28
	v_cmpx_ne_u32_e64 s26, v17
	s_xor_b32 s29, exec_lo, s29
; %bb.17:                               ;   in Loop: Header=BB189_15 Depth=3
	v_add_nc_u32_e32 v15, 1, v15
	s_mov_b32 s28, -1
                                        ; implicit-def: $vgpr16
	s_delay_alu instid0(VALU_DEP_1)
	v_and_b32_e32 v15, 0x1fff, v15
; %bb.18:                               ;   in Loop: Header=BB189_15 Depth=3
	s_and_not1_saveexec_b32 s29, s29
	s_cbranch_execz .LBB189_22
; %bb.19:                               ;   in Loop: Header=BB189_15 Depth=3
	v_mov_b32_e32 v17, s26
	s_mov_b32 s30, -1
	s_mov_b32 s31, exec_lo
	ds_cmpstore_rtn_b32 v17, v16, v8, v17
	s_waitcnt lgkmcnt(0)
	v_cmpx_eq_u32_e64 s26, v17
	s_cbranch_execz .LBB189_21
; %bb.20:                               ;   in Loop: Header=BB189_15 Depth=3
	ds_add_f32 v16, v14 offset:32768
	s_xor_b32 s30, exec_lo, -1
.LBB189_21:                             ;   in Loop: Header=BB189_15 Depth=3
	s_or_b32 exec_lo, exec_lo, s31
	s_delay_alu instid0(SALU_CYCLE_1) | instskip(SKIP_1) | instid1(SALU_CYCLE_1)
	s_and_not1_b32 s28, s28, exec_lo
	s_and_b32 s30, s30, exec_lo
	s_or_b32 s28, s28, s30
.LBB189_22:                             ;   in Loop: Header=BB189_15 Depth=3
	s_or_b32 exec_lo, exec_lo, s29
	s_delay_alu instid0(SALU_CYCLE_1)
	s_and_b32 s28, s28, exec_lo
                                        ; implicit-def: $vgpr16
.LBB189_23:                             ;   in Loop: Header=BB189_15 Depth=3
	s_and_not1_saveexec_b32 s27, s27
	s_cbranch_execz .LBB189_14
; %bb.24:                               ;   in Loop: Header=BB189_15 Depth=3
	ds_add_f32 v16, v14 offset:32768
	s_and_not1_b32 s28, s28, exec_lo
	s_branch .LBB189_14
.LBB189_25:
	s_or_b32 exec_lo, exec_lo, s15
.LBB189_26:
	s_clause 0x1
	s_load_b64 s[16:17], s[0:1], 0x80
	s_load_b128 s[20:23], s[0:1], 0x70
	s_and_not1_b32 vcc_lo, exec_lo, s14
	s_cbranch_vccnz .LBB189_43
; %bb.27:
	s_load_b64 s[2:3], s[0:1], 0x58
	s_waitcnt lgkmcnt(0)
	s_ashr_i32 s25, s24, 31
	s_delay_alu instid0(SALU_CYCLE_1) | instskip(NEXT) | instid1(SALU_CYCLE_1)
	s_lshl_b64 s[4:5], s[24:25], 3
	s_add_u32 s2, s2, s4
	s_addc_u32 s3, s3, s5
	s_load_b128 s[4:7], s[2:3], 0x0
	v_sub_co_u32 v1, s2, v0, s19
	s_delay_alu instid0(VALU_DEP_1) | instskip(SKIP_1) | instid1(VALU_DEP_2)
	v_sub_co_ci_u32_e64 v2, null, 0, 0, s2
	s_waitcnt lgkmcnt(0)
	v_add_co_u32 v1, vcc_lo, s4, v1
	s_delay_alu instid0(VALU_DEP_2)
	v_add_co_ci_u32_e32 v2, vcc_lo, s5, v2, vcc_lo
	s_sub_u32 s4, s6, s19
	s_subb_u32 s5, s7, 0
	s_mov_b32 s7, 0
	s_mov_b32 s6, exec_lo
	v_cmpx_gt_i64_e64 s[4:5], v[1:2]
	s_cbranch_execz .LBB189_42
; %bb.28:
	s_load_b128 s[0:3], s[0:1], 0x60
	s_branch .LBB189_30
.LBB189_29:                             ;   in Loop: Header=BB189_30 Depth=1
	s_or_b32 exec_lo, exec_lo, s8
	v_add_co_u32 v1, vcc_lo, 0x400, v1
	v_add_co_ci_u32_e32 v2, vcc_lo, 0, v2, vcc_lo
	s_delay_alu instid0(VALU_DEP_1) | instskip(SKIP_1) | instid1(SALU_CYCLE_1)
	v_cmp_le_i64_e32 vcc_lo, s[4:5], v[1:2]
	s_or_b32 s7, vcc_lo, s7
	s_and_not1_b32 exec_lo, exec_lo, s7
	s_cbranch_execz .LBB189_42
.LBB189_30:                             ; =>This Loop Header: Depth=1
                                        ;     Child Loop BB189_32 Depth 2
	v_lshlrev_b64 v[3:4], 2, v[1:2]
	s_mov_b32 s8, 0
	s_waitcnt lgkmcnt(0)
	s_delay_alu instid0(VALU_DEP_1) | instskip(NEXT) | instid1(VALU_DEP_2)
	v_add_co_u32 v5, vcc_lo, s0, v3
	v_add_co_ci_u32_e32 v6, vcc_lo, s1, v4, vcc_lo
	v_add_co_u32 v3, vcc_lo, s2, v3
	v_add_co_ci_u32_e32 v4, vcc_lo, s3, v4, vcc_lo
	global_load_b32 v5, v[5:6], off
	global_load_b32 v4, v[3:4], off
	s_waitcnt vmcnt(1)
	v_subrev_nc_u32_e32 v3, s19, v5
	s_delay_alu instid0(VALU_DEP_1) | instskip(SKIP_1) | instid1(VALU_DEP_1)
	v_mul_lo_u32 v5, 0x89, v3
	s_waitcnt vmcnt(0)
	v_dual_mul_f32 v4, v9, v4 :: v_dual_and_b32 v5, 0x1fff, v5
	s_branch .LBB189_32
.LBB189_31:                             ;   in Loop: Header=BB189_32 Depth=2
	s_or_b32 exec_lo, exec_lo, s9
	s_xor_b32 s9, s10, -1
	s_delay_alu instid0(SALU_CYCLE_1) | instskip(NEXT) | instid1(SALU_CYCLE_1)
	s_and_b32 s9, exec_lo, s9
	s_or_b32 s8, s9, s8
	s_delay_alu instid0(SALU_CYCLE_1)
	s_and_not1_b32 exec_lo, exec_lo, s8
	s_cbranch_execz .LBB189_29
.LBB189_32:                             ;   Parent Loop BB189_30 Depth=1
                                        ; =>  This Inner Loop Header: Depth=2
	s_delay_alu instid0(VALU_DEP_1)
	v_lshl_add_u32 v6, v5, 2, 0
	s_mov_b32 s9, exec_lo
                                        ; implicit-def: $sgpr10
	ds_load_b32 v7, v6
	s_waitcnt lgkmcnt(0)
	v_cmpx_ne_u32_e64 v7, v3
	s_xor_b32 s9, exec_lo, s9
	s_cbranch_execz .LBB189_40
; %bb.33:                               ;   in Loop: Header=BB189_32 Depth=2
	s_mov_b32 s11, exec_lo
                                        ; implicit-def: $sgpr10
	v_cmpx_ne_u32_e64 s26, v7
	s_xor_b32 s11, exec_lo, s11
; %bb.34:                               ;   in Loop: Header=BB189_32 Depth=2
	v_add_nc_u32_e32 v5, 1, v5
	s_mov_b32 s10, -1
                                        ; implicit-def: $vgpr6
	s_delay_alu instid0(VALU_DEP_1)
	v_and_b32_e32 v5, 0x1fff, v5
; %bb.35:                               ;   in Loop: Header=BB189_32 Depth=2
	s_and_not1_saveexec_b32 s11, s11
	s_cbranch_execz .LBB189_39
; %bb.36:                               ;   in Loop: Header=BB189_32 Depth=2
	v_mov_b32_e32 v7, s26
	s_mov_b32 s12, -1
	s_mov_b32 s13, exec_lo
	ds_cmpstore_rtn_b32 v7, v6, v3, v7
	s_waitcnt lgkmcnt(0)
	v_cmpx_eq_u32_e64 s26, v7
	s_cbranch_execz .LBB189_38
; %bb.37:                               ;   in Loop: Header=BB189_32 Depth=2
	ds_add_f32 v6, v4 offset:32768
	s_xor_b32 s12, exec_lo, -1
.LBB189_38:                             ;   in Loop: Header=BB189_32 Depth=2
	s_or_b32 exec_lo, exec_lo, s13
	s_delay_alu instid0(SALU_CYCLE_1) | instskip(SKIP_1) | instid1(SALU_CYCLE_1)
	s_and_not1_b32 s10, s10, exec_lo
	s_and_b32 s12, s12, exec_lo
	s_or_b32 s10, s10, s12
.LBB189_39:                             ;   in Loop: Header=BB189_32 Depth=2
	s_or_b32 exec_lo, exec_lo, s11
	s_delay_alu instid0(SALU_CYCLE_1)
	s_and_b32 s10, s10, exec_lo
                                        ; implicit-def: $vgpr6
.LBB189_40:                             ;   in Loop: Header=BB189_32 Depth=2
	s_and_not1_saveexec_b32 s9, s9
	s_cbranch_execz .LBB189_31
; %bb.41:                               ;   in Loop: Header=BB189_32 Depth=2
	ds_add_f32 v6, v4 offset:32768
	s_and_not1_b32 s10, s10, exec_lo
	s_branch .LBB189_31
.LBB189_42:
	s_or_b32 exec_lo, exec_lo, s6
.LBB189_43:
	v_mbcnt_lo_u32_b32 v1, -1, 0
	v_dual_mov_b32 v7, 0 :: v_dual_lshlrev_b32 v2, 2, v10
	s_add_i32 s38, 0, 0x1003c
	v_cmp_eq_u32_e32 vcc_lo, 0x3ff, v0
	s_delay_alu instid0(VALU_DEP_3) | instskip(NEXT) | instid1(VALU_DEP_3)
	v_xor_b32_e32 v1, 63, v1
	v_add3_u32 v4, 0, 0x10000, v2
	v_cmp_lt_u32_e64 s0, 63, v0
	v_cmp_lt_u32_e64 s1, 0x7f, v0
	v_cmp_lt_u32_e64 s2, 0xbf, v0
	v_lshrrev_b64 v[1:2], v1, -1
	v_cmp_lt_u32_e64 s3, 0xff, v0
	v_cmp_lt_u32_e64 s4, 0x13f, v0
	;; [unrolled: 1-line block ×12, first 2 shown]
	v_or_b32_e32 v5, 0xfffffc00, v0
	v_lshl_add_u32 v6, v0, 2, 0
	v_mov_b32_e32 v8, s38
	s_mov_b32 s19, 0
	s_add_i32 s25, 0, 0x10000
	s_add_i32 s27, 0, 0x10004
	;; [unrolled: 1-line block ×15, first 2 shown]
	s_waitcnt lgkmcnt(0)
	s_barrier
	buffer_gl0_inv
	s_branch .LBB189_45
.LBB189_44:                             ;   in Loop: Header=BB189_45 Depth=1
	s_or_b32 exec_lo, exec_lo, s15
	s_waitcnt lgkmcnt(0)
	s_barrier
	buffer_gl0_inv
	ds_load_b32 v2, v8
	v_add_nc_u32_e32 v5, 0x400, v5
	v_add_nc_u32_e32 v6, 0x1000, v6
	s_delay_alu instid0(VALU_DEP_2) | instskip(NEXT) | instid1(VALU_DEP_1)
	v_cmp_lt_u32_e64 s15, 0x1bff, v5
	s_or_b32 s19, s15, s19
	s_waitcnt lgkmcnt(0)
	v_add_nc_u32_e32 v7, v2, v7
	s_and_not1_b32 exec_lo, exec_lo, s19
	s_cbranch_execz .LBB189_79
.LBB189_45:                             ; =>This Inner Loop Header: Depth=1
	ds_load_2addr_stride64_b32 v[2:3], v6 offset1:128
	s_waitcnt lgkmcnt(0)
	s_barrier
	buffer_gl0_inv
	v_cmp_gt_i32_e64 s15, s26, v2
	s_delay_alu instid0(VALU_DEP_1) | instskip(NEXT) | instid1(SALU_CYCLE_1)
	s_bcnt1_i32_b32 s43, s15
	v_dual_mov_b32 v10, s43 :: v_dual_and_b32 v9, s15, v1
	s_delay_alu instid0(VALU_DEP_1)
	v_bcnt_u32_b32 v9, v9, 0
	ds_store_b32 v4, v10
	s_waitcnt lgkmcnt(0)
	s_barrier
	buffer_gl0_inv
	s_and_saveexec_b32 s43, s0
	s_cbranch_execnz .LBB189_62
; %bb.46:                               ;   in Loop: Header=BB189_45 Depth=1
	s_or_b32 exec_lo, exec_lo, s43
	s_and_saveexec_b32 s43, s1
	s_cbranch_execnz .LBB189_63
.LBB189_47:                             ;   in Loop: Header=BB189_45 Depth=1
	s_or_b32 exec_lo, exec_lo, s43
	s_and_saveexec_b32 s43, s2
	s_cbranch_execnz .LBB189_64
.LBB189_48:                             ;   in Loop: Header=BB189_45 Depth=1
	s_or_b32 exec_lo, exec_lo, s43
	s_and_saveexec_b32 s43, s3
	s_cbranch_execnz .LBB189_65
.LBB189_49:                             ;   in Loop: Header=BB189_45 Depth=1
	s_or_b32 exec_lo, exec_lo, s43
	s_and_saveexec_b32 s43, s4
	s_cbranch_execnz .LBB189_66
.LBB189_50:                             ;   in Loop: Header=BB189_45 Depth=1
	s_or_b32 exec_lo, exec_lo, s43
	s_and_saveexec_b32 s43, s5
	s_cbranch_execnz .LBB189_67
.LBB189_51:                             ;   in Loop: Header=BB189_45 Depth=1
	s_or_b32 exec_lo, exec_lo, s43
	s_and_saveexec_b32 s43, s6
	s_cbranch_execnz .LBB189_68
.LBB189_52:                             ;   in Loop: Header=BB189_45 Depth=1
	s_or_b32 exec_lo, exec_lo, s43
	s_and_saveexec_b32 s43, s7
	s_cbranch_execnz .LBB189_69
.LBB189_53:                             ;   in Loop: Header=BB189_45 Depth=1
	s_or_b32 exec_lo, exec_lo, s43
	s_and_saveexec_b32 s43, s8
	s_cbranch_execnz .LBB189_70
.LBB189_54:                             ;   in Loop: Header=BB189_45 Depth=1
	s_or_b32 exec_lo, exec_lo, s43
	s_and_saveexec_b32 s43, s9
	s_cbranch_execnz .LBB189_71
.LBB189_55:                             ;   in Loop: Header=BB189_45 Depth=1
	s_or_b32 exec_lo, exec_lo, s43
	s_and_saveexec_b32 s43, s10
	s_cbranch_execnz .LBB189_72
.LBB189_56:                             ;   in Loop: Header=BB189_45 Depth=1
	s_or_b32 exec_lo, exec_lo, s43
	s_and_saveexec_b32 s43, s11
	s_cbranch_execnz .LBB189_73
.LBB189_57:                             ;   in Loop: Header=BB189_45 Depth=1
	s_or_b32 exec_lo, exec_lo, s43
	s_and_saveexec_b32 s43, s12
	s_cbranch_execnz .LBB189_74
.LBB189_58:                             ;   in Loop: Header=BB189_45 Depth=1
	s_or_b32 exec_lo, exec_lo, s43
	s_and_saveexec_b32 s43, s13
	s_cbranch_execnz .LBB189_75
.LBB189_59:                             ;   in Loop: Header=BB189_45 Depth=1
	s_or_b32 exec_lo, exec_lo, s43
	s_and_saveexec_b32 s43, s14
	s_cbranch_execnz .LBB189_76
.LBB189_60:                             ;   in Loop: Header=BB189_45 Depth=1
	s_or_b32 exec_lo, exec_lo, s43
	s_and_saveexec_b32 s43, s15
	s_cbranch_execnz .LBB189_77
.LBB189_61:                             ;   in Loop: Header=BB189_45 Depth=1
	s_or_b32 exec_lo, exec_lo, s43
	s_and_saveexec_b32 s15, vcc_lo
	s_cbranch_execz .LBB189_44
	s_branch .LBB189_78
.LBB189_62:                             ;   in Loop: Header=BB189_45 Depth=1
	v_mov_b32_e32 v10, s25
	ds_load_b32 v10, v10
	s_waitcnt lgkmcnt(0)
	v_add_nc_u32_e32 v9, v10, v9
	s_or_b32 exec_lo, exec_lo, s43
	s_and_saveexec_b32 s43, s1
	s_cbranch_execz .LBB189_47
.LBB189_63:                             ;   in Loop: Header=BB189_45 Depth=1
	v_mov_b32_e32 v10, s27
	ds_load_b32 v10, v10
	s_waitcnt lgkmcnt(0)
	v_add_nc_u32_e32 v9, v10, v9
	s_or_b32 exec_lo, exec_lo, s43
	s_and_saveexec_b32 s43, s2
	s_cbranch_execz .LBB189_48
.LBB189_64:                             ;   in Loop: Header=BB189_45 Depth=1
	v_mov_b32_e32 v10, s28
	ds_load_b32 v10, v10
	s_waitcnt lgkmcnt(0)
	v_add_nc_u32_e32 v9, v10, v9
	s_or_b32 exec_lo, exec_lo, s43
	s_and_saveexec_b32 s43, s3
	s_cbranch_execz .LBB189_49
.LBB189_65:                             ;   in Loop: Header=BB189_45 Depth=1
	v_mov_b32_e32 v10, s29
	ds_load_b32 v10, v10
	s_waitcnt lgkmcnt(0)
	v_add_nc_u32_e32 v9, v10, v9
	s_or_b32 exec_lo, exec_lo, s43
	s_and_saveexec_b32 s43, s4
	s_cbranch_execz .LBB189_50
.LBB189_66:                             ;   in Loop: Header=BB189_45 Depth=1
	v_mov_b32_e32 v10, s30
	ds_load_b32 v10, v10
	s_waitcnt lgkmcnt(0)
	v_add_nc_u32_e32 v9, v10, v9
	s_or_b32 exec_lo, exec_lo, s43
	s_and_saveexec_b32 s43, s5
	s_cbranch_execz .LBB189_51
.LBB189_67:                             ;   in Loop: Header=BB189_45 Depth=1
	v_mov_b32_e32 v10, s31
	ds_load_b32 v10, v10
	s_waitcnt lgkmcnt(0)
	v_add_nc_u32_e32 v9, v10, v9
	s_or_b32 exec_lo, exec_lo, s43
	s_and_saveexec_b32 s43, s6
	s_cbranch_execz .LBB189_52
.LBB189_68:                             ;   in Loop: Header=BB189_45 Depth=1
	v_mov_b32_e32 v10, s33
	ds_load_b32 v10, v10
	s_waitcnt lgkmcnt(0)
	v_add_nc_u32_e32 v9, v10, v9
	s_or_b32 exec_lo, exec_lo, s43
	s_and_saveexec_b32 s43, s7
	s_cbranch_execz .LBB189_53
.LBB189_69:                             ;   in Loop: Header=BB189_45 Depth=1
	v_mov_b32_e32 v10, s34
	ds_load_b32 v10, v10
	s_waitcnt lgkmcnt(0)
	v_add_nc_u32_e32 v9, v10, v9
	s_or_b32 exec_lo, exec_lo, s43
	s_and_saveexec_b32 s43, s8
	s_cbranch_execz .LBB189_54
.LBB189_70:                             ;   in Loop: Header=BB189_45 Depth=1
	v_mov_b32_e32 v10, s35
	ds_load_b32 v10, v10
	s_waitcnt lgkmcnt(0)
	v_add_nc_u32_e32 v9, v10, v9
	s_or_b32 exec_lo, exec_lo, s43
	s_and_saveexec_b32 s43, s9
	s_cbranch_execz .LBB189_55
.LBB189_71:                             ;   in Loop: Header=BB189_45 Depth=1
	v_mov_b32_e32 v10, s36
	ds_load_b32 v10, v10
	s_waitcnt lgkmcnt(0)
	v_add_nc_u32_e32 v9, v10, v9
	s_or_b32 exec_lo, exec_lo, s43
	s_and_saveexec_b32 s43, s10
	s_cbranch_execz .LBB189_56
.LBB189_72:                             ;   in Loop: Header=BB189_45 Depth=1
	v_mov_b32_e32 v10, s37
	ds_load_b32 v10, v10
	s_waitcnt lgkmcnt(0)
	v_add_nc_u32_e32 v9, v10, v9
	s_or_b32 exec_lo, exec_lo, s43
	s_and_saveexec_b32 s43, s11
	s_cbranch_execz .LBB189_57
.LBB189_73:                             ;   in Loop: Header=BB189_45 Depth=1
	v_mov_b32_e32 v10, s39
	ds_load_b32 v10, v10
	s_waitcnt lgkmcnt(0)
	v_add_nc_u32_e32 v9, v10, v9
	s_or_b32 exec_lo, exec_lo, s43
	s_and_saveexec_b32 s43, s12
	s_cbranch_execz .LBB189_58
.LBB189_74:                             ;   in Loop: Header=BB189_45 Depth=1
	v_mov_b32_e32 v10, s40
	ds_load_b32 v10, v10
	s_waitcnt lgkmcnt(0)
	v_add_nc_u32_e32 v9, v10, v9
	s_or_b32 exec_lo, exec_lo, s43
	s_and_saveexec_b32 s43, s13
	s_cbranch_execz .LBB189_59
.LBB189_75:                             ;   in Loop: Header=BB189_45 Depth=1
	v_mov_b32_e32 v10, s41
	ds_load_b32 v10, v10
	s_waitcnt lgkmcnt(0)
	v_add_nc_u32_e32 v9, v10, v9
	s_or_b32 exec_lo, exec_lo, s43
	s_and_saveexec_b32 s43, s14
	s_cbranch_execz .LBB189_60
.LBB189_76:                             ;   in Loop: Header=BB189_45 Depth=1
	v_mov_b32_e32 v10, s42
	ds_load_b32 v10, v10
	s_waitcnt lgkmcnt(0)
	v_add_nc_u32_e32 v9, v10, v9
	s_or_b32 exec_lo, exec_lo, s43
	s_and_saveexec_b32 s43, s15
	s_cbranch_execz .LBB189_61
.LBB189_77:                             ;   in Loop: Header=BB189_45 Depth=1
	s_delay_alu instid0(VALU_DEP_1) | instskip(NEXT) | instid1(VALU_DEP_1)
	v_add3_u32 v10, v7, -1, v9
	v_lshl_add_u32 v10, v10, 2, 0
	ds_store_2addr_stride64_b32 v10, v2, v3 offset1:128
	s_or_b32 exec_lo, exec_lo, s43
	s_and_saveexec_b32 s15, vcc_lo
	s_cbranch_execz .LBB189_44
.LBB189_78:                             ;   in Loop: Header=BB189_45 Depth=1
	v_mov_b32_e32 v2, s38
	ds_store_b32 v2, v9
	s_branch .LBB189_44
.LBB189_79:
	s_or_b32 exec_lo, exec_lo, s19
	s_ashr_i32 s25, s24, 31
	s_mov_b32 s4, exec_lo
	s_lshl_b64 s[0:1], s[24:25], 3
	s_delay_alu instid0(SALU_CYCLE_1) | instskip(SKIP_4) | instid1(SALU_CYCLE_1)
	s_add_u32 s0, s20, s0
	s_addc_u32 s1, s21, s1
	s_load_b128 s[0:3], s[0:1], 0x0
	s_waitcnt lgkmcnt(0)
	s_sub_i32 s3, s2, s0
	v_cmpx_gt_i32_e64 s3, v0
	s_cbranch_execz .LBB189_89
; %bb.80:
	s_sub_u32 s4, s0, s18
	s_subb_u32 s5, s1, 0
	s_sub_i32 s0, s0, s2
	s_and_b32 s1, s3, 7
	s_cmp_lt_u32 s0, -7
	s_mov_b32 s8, 0
	s_cselect_b32 s2, -1, 0
	s_and_b32 s6, s3, -8
	s_cmp_lg_u32 s1, 0
	s_cselect_b32 s7, -1, 0
	s_branch .LBB189_82
.LBB189_81:                             ;   in Loop: Header=BB189_82 Depth=1
	s_delay_alu instid0(VALU_DEP_1) | instskip(SKIP_3) | instid1(VALU_DEP_3)
	v_lshlrev_b64 v[3:4], 2, v[3:4]
	v_add_nc_u32_e32 v0, 0x400, v0
	s_waitcnt lgkmcnt(0)
	v_add_nc_u32_e32 v1, s18, v1
	v_add_co_u32 v5, vcc_lo, s22, v3
	s_delay_alu instid0(VALU_DEP_4) | instskip(SKIP_2) | instid1(VALU_DEP_1)
	v_add_co_ci_u32_e32 v6, vcc_lo, s23, v4, vcc_lo
	v_cmp_le_i32_e32 vcc_lo, s3, v0
	v_add_co_u32 v3, s0, s16, v3
	v_add_co_ci_u32_e64 v4, s0, s17, v4, s0
	s_or_b32 s8, vcc_lo, s8
	global_store_b32 v[5:6], v1, off
	global_store_b32 v[3:4], v2, off
	s_and_not1_b32 exec_lo, exec_lo, s8
	s_cbranch_execz .LBB189_89
.LBB189_82:                             ; =>This Loop Header: Depth=1
                                        ;     Child Loop BB189_84 Depth 2
                                        ;     Child Loop BB189_88 Depth 2
	v_lshl_add_u32 v1, v0, 2, 0
	v_dual_mov_b32 v3, s4 :: v_dual_mov_b32 v4, s5
	s_and_not1_b32 vcc_lo, exec_lo, s2
	s_mov_b32 s0, 0
	ds_load_2addr_stride64_b32 v[1:2], v1 offset1:128
	s_cbranch_vccnz .LBB189_86
; %bb.83:                               ;   in Loop: Header=BB189_82 Depth=1
	v_dual_mov_b32 v3, s4 :: v_dual_mov_b32 v4, s5
	s_mov_b32 s9, 0
	s_mov_b32 s10, 0
.LBB189_84:                             ;   Parent Loop BB189_82 Depth=1
                                        ; =>  This Inner Loop Header: Depth=2
	s_delay_alu instid0(SALU_CYCLE_1)
	v_mov_b32_e32 v11, s10
	s_add_i32 s9, s9, 8
	s_add_i32 s10, s10, 32
	s_cmp_eq_u32 s6, s9
	ds_load_2addr_b32 v[5:6], v11 offset1:1
	ds_load_2addr_b32 v[7:8], v11 offset0:2 offset1:3
	ds_load_2addr_b32 v[9:10], v11 offset0:4 offset1:5
	;; [unrolled: 1-line block ×3, first 2 shown]
	s_waitcnt lgkmcnt(3)
	v_cmp_gt_i32_e32 vcc_lo, v1, v5
	v_cndmask_b32_e64 v5, 0, 1, vcc_lo
	v_cmp_gt_i32_e32 vcc_lo, v1, v6
	v_cndmask_b32_e64 v6, 0, 1, vcc_lo
	s_waitcnt lgkmcnt(2)
	v_cmp_gt_i32_e32 vcc_lo, v1, v7
	v_cndmask_b32_e64 v7, 0, 1, vcc_lo
	v_cmp_gt_i32_e32 vcc_lo, v1, v8
	v_cndmask_b32_e64 v8, 0, 1, vcc_lo
	s_waitcnt lgkmcnt(1)
	v_cmp_gt_i32_e32 vcc_lo, v1, v9
	v_cndmask_b32_e64 v9, 0, 1, vcc_lo
	v_add_co_u32 v3, vcc_lo, v3, v5
	v_add_co_ci_u32_e32 v4, vcc_lo, 0, v4, vcc_lo
	v_cmp_gt_i32_e32 vcc_lo, v1, v10
	s_delay_alu instid0(VALU_DEP_3) | instskip(NEXT) | instid1(VALU_DEP_1)
	v_add_co_u32 v3, s0, v3, v6
	v_add_co_ci_u32_e64 v4, s0, 0, v4, s0
	v_cndmask_b32_e64 v5, 0, 1, vcc_lo
	s_delay_alu instid0(VALU_DEP_3) | instskip(NEXT) | instid1(VALU_DEP_3)
	v_add_co_u32 v3, vcc_lo, v3, v7
	v_add_co_ci_u32_e32 v4, vcc_lo, 0, v4, vcc_lo
	s_waitcnt lgkmcnt(0)
	v_cmp_gt_i32_e32 vcc_lo, v1, v11
	s_delay_alu instid0(VALU_DEP_3) | instskip(NEXT) | instid1(VALU_DEP_1)
	v_add_co_u32 v3, s0, v3, v8
	v_add_co_ci_u32_e64 v4, s0, 0, v4, s0
	v_cndmask_b32_e64 v6, 0, 1, vcc_lo
	s_delay_alu instid0(VALU_DEP_3) | instskip(NEXT) | instid1(VALU_DEP_3)
	v_add_co_u32 v3, vcc_lo, v3, v9
	v_add_co_ci_u32_e32 v4, vcc_lo, 0, v4, vcc_lo
	v_cmp_gt_i32_e32 vcc_lo, v1, v12
	s_delay_alu instid0(VALU_DEP_3) | instskip(NEXT) | instid1(VALU_DEP_1)
	v_add_co_u32 v3, s0, v3, v5
	v_add_co_ci_u32_e64 v4, s0, 0, v4, s0
	v_cndmask_b32_e64 v5, 0, 1, vcc_lo
	s_delay_alu instid0(VALU_DEP_3) | instskip(NEXT) | instid1(VALU_DEP_3)
	v_add_co_u32 v3, vcc_lo, v3, v6
	v_add_co_ci_u32_e32 v4, vcc_lo, 0, v4, vcc_lo
	s_delay_alu instid0(VALU_DEP_2) | instskip(NEXT) | instid1(VALU_DEP_2)
	v_add_co_u32 v3, vcc_lo, v3, v5
	v_add_co_ci_u32_e32 v4, vcc_lo, 0, v4, vcc_lo
	s_cbranch_scc0 .LBB189_84
; %bb.85:                               ;   in Loop: Header=BB189_82 Depth=1
	s_mov_b32 s0, s6
.LBB189_86:                             ;   in Loop: Header=BB189_82 Depth=1
	s_and_not1_b32 vcc_lo, exec_lo, s7
	s_cbranch_vccnz .LBB189_81
; %bb.87:                               ;   in Loop: Header=BB189_82 Depth=1
	s_lshl_b32 s0, s0, 2
	s_mov_b32 s9, s1
	s_add_i32 s0, s0, 0
.LBB189_88:                             ;   Parent Loop BB189_82 Depth=1
                                        ; =>  This Inner Loop Header: Depth=2
	s_delay_alu instid0(SALU_CYCLE_1)
	v_mov_b32_e32 v5, s0
	s_add_i32 s9, s9, -1
	s_add_i32 s0, s0, 4
	s_cmp_lg_u32 s9, 0
	ds_load_b32 v5, v5
	s_waitcnt lgkmcnt(0)
	v_cmp_gt_i32_e32 vcc_lo, v1, v5
	v_cndmask_b32_e64 v5, 0, 1, vcc_lo
	s_delay_alu instid0(VALU_DEP_1)
	v_add_co_u32 v3, vcc_lo, v3, v5
	v_add_co_ci_u32_e32 v4, vcc_lo, 0, v4, vcc_lo
	s_cbranch_scc1 .LBB189_88
	s_branch .LBB189_81
.LBB189_89:
	s_nop 0
	s_sendmsg sendmsg(MSG_DEALLOC_VGPRS)
	s_endpgm
	.section	.rodata,"a",@progbits
	.p2align	6, 0x0
	.amdhsa_kernel _ZN9rocsparseL26csrgemm_fill_block_per_rowILj1024ELj64ELj8192ELj137ELj64ElifEEvT5_PKS1_S3_NS_24const_host_device_scalarIT6_EEPKT4_S3_PKS5_S9_S3_SB_S6_S9_S3_SB_S9_PS1_PS5_21rocsparse_index_base_SE_SE_SE_bbb
		.amdhsa_group_segment_fixed_size 0
		.amdhsa_private_segment_fixed_size 0
		.amdhsa_kernarg_size 156
		.amdhsa_user_sgpr_count 15
		.amdhsa_user_sgpr_dispatch_ptr 0
		.amdhsa_user_sgpr_queue_ptr 0
		.amdhsa_user_sgpr_kernarg_segment_ptr 1
		.amdhsa_user_sgpr_dispatch_id 0
		.amdhsa_user_sgpr_private_segment_size 0
		.amdhsa_wavefront_size32 1
		.amdhsa_uses_dynamic_stack 0
		.amdhsa_enable_private_segment 0
		.amdhsa_system_sgpr_workgroup_id_x 1
		.amdhsa_system_sgpr_workgroup_id_y 0
		.amdhsa_system_sgpr_workgroup_id_z 0
		.amdhsa_system_sgpr_workgroup_info 0
		.amdhsa_system_vgpr_workitem_id 0
		.amdhsa_next_free_vgpr 18
		.amdhsa_next_free_sgpr 44
		.amdhsa_reserve_vcc 1
		.amdhsa_float_round_mode_32 0
		.amdhsa_float_round_mode_16_64 0
		.amdhsa_float_denorm_mode_32 3
		.amdhsa_float_denorm_mode_16_64 3
		.amdhsa_dx10_clamp 1
		.amdhsa_ieee_mode 1
		.amdhsa_fp16_overflow 0
		.amdhsa_workgroup_processor_mode 1
		.amdhsa_memory_ordered 1
		.amdhsa_forward_progress 0
		.amdhsa_shared_vgpr_count 0
		.amdhsa_exception_fp_ieee_invalid_op 0
		.amdhsa_exception_fp_denorm_src 0
		.amdhsa_exception_fp_ieee_div_zero 0
		.amdhsa_exception_fp_ieee_overflow 0
		.amdhsa_exception_fp_ieee_underflow 0
		.amdhsa_exception_fp_ieee_inexact 0
		.amdhsa_exception_int_div_zero 0
	.end_amdhsa_kernel
	.section	.text._ZN9rocsparseL26csrgemm_fill_block_per_rowILj1024ELj64ELj8192ELj137ELj64ElifEEvT5_PKS1_S3_NS_24const_host_device_scalarIT6_EEPKT4_S3_PKS5_S9_S3_SB_S6_S9_S3_SB_S9_PS1_PS5_21rocsparse_index_base_SE_SE_SE_bbb,"axG",@progbits,_ZN9rocsparseL26csrgemm_fill_block_per_rowILj1024ELj64ELj8192ELj137ELj64ElifEEvT5_PKS1_S3_NS_24const_host_device_scalarIT6_EEPKT4_S3_PKS5_S9_S3_SB_S6_S9_S3_SB_S9_PS1_PS5_21rocsparse_index_base_SE_SE_SE_bbb,comdat
.Lfunc_end189:
	.size	_ZN9rocsparseL26csrgemm_fill_block_per_rowILj1024ELj64ELj8192ELj137ELj64ElifEEvT5_PKS1_S3_NS_24const_host_device_scalarIT6_EEPKT4_S3_PKS5_S9_S3_SB_S6_S9_S3_SB_S9_PS1_PS5_21rocsparse_index_base_SE_SE_SE_bbb, .Lfunc_end189-_ZN9rocsparseL26csrgemm_fill_block_per_rowILj1024ELj64ELj8192ELj137ELj64ElifEEvT5_PKS1_S3_NS_24const_host_device_scalarIT6_EEPKT4_S3_PKS5_S9_S3_SB_S6_S9_S3_SB_S9_PS1_PS5_21rocsparse_index_base_SE_SE_SE_bbb
                                        ; -- End function
	.section	.AMDGPU.csdata,"",@progbits
; Kernel info:
; codeLenInByte = 3592
; NumSgprs: 46
; NumVgprs: 18
; ScratchSize: 0
; MemoryBound: 0
; FloatMode: 240
; IeeeMode: 1
; LDSByteSize: 0 bytes/workgroup (compile time only)
; SGPRBlocks: 5
; VGPRBlocks: 2
; NumSGPRsForWavesPerEU: 46
; NumVGPRsForWavesPerEU: 18
; Occupancy: 16
; WaveLimiterHint : 1
; COMPUTE_PGM_RSRC2:SCRATCH_EN: 0
; COMPUTE_PGM_RSRC2:USER_SGPR: 15
; COMPUTE_PGM_RSRC2:TRAP_HANDLER: 0
; COMPUTE_PGM_RSRC2:TGID_X_EN: 1
; COMPUTE_PGM_RSRC2:TGID_Y_EN: 0
; COMPUTE_PGM_RSRC2:TGID_Z_EN: 0
; COMPUTE_PGM_RSRC2:TIDIG_COMP_CNT: 0
	.section	.text._ZN9rocsparseL26csrgemm_fill_block_per_rowILj1024ELj64ELj16384ELj137ELj32ElifEEvT5_PKS1_S3_NS_24const_host_device_scalarIT6_EEPKT4_S3_PKS5_S9_S3_SB_S6_S9_S3_SB_S9_PS1_PS5_21rocsparse_index_base_SE_SE_SE_bbb,"axG",@progbits,_ZN9rocsparseL26csrgemm_fill_block_per_rowILj1024ELj64ELj16384ELj137ELj32ElifEEvT5_PKS1_S3_NS_24const_host_device_scalarIT6_EEPKT4_S3_PKS5_S9_S3_SB_S6_S9_S3_SB_S9_PS1_PS5_21rocsparse_index_base_SE_SE_SE_bbb,comdat
	.globl	_ZN9rocsparseL26csrgemm_fill_block_per_rowILj1024ELj64ELj16384ELj137ELj32ElifEEvT5_PKS1_S3_NS_24const_host_device_scalarIT6_EEPKT4_S3_PKS5_S9_S3_SB_S6_S9_S3_SB_S9_PS1_PS5_21rocsparse_index_base_SE_SE_SE_bbb ; -- Begin function _ZN9rocsparseL26csrgemm_fill_block_per_rowILj1024ELj64ELj16384ELj137ELj32ElifEEvT5_PKS1_S3_NS_24const_host_device_scalarIT6_EEPKT4_S3_PKS5_S9_S3_SB_S6_S9_S3_SB_S9_PS1_PS5_21rocsparse_index_base_SE_SE_SE_bbb
	.p2align	8
	.type	_ZN9rocsparseL26csrgemm_fill_block_per_rowILj1024ELj64ELj16384ELj137ELj32ElifEEvT5_PKS1_S3_NS_24const_host_device_scalarIT6_EEPKT4_S3_PKS5_S9_S3_SB_S6_S9_S3_SB_S9_PS1_PS5_21rocsparse_index_base_SE_SE_SE_bbb,@function
_ZN9rocsparseL26csrgemm_fill_block_per_rowILj1024ELj64ELj16384ELj137ELj32ElifEEvT5_PKS1_S3_NS_24const_host_device_scalarIT6_EEPKT4_S3_PKS5_S9_S3_SB_S6_S9_S3_SB_S9_PS1_PS5_21rocsparse_index_base_SE_SE_SE_bbb: ; @_ZN9rocsparseL26csrgemm_fill_block_per_rowILj1024ELj64ELj16384ELj137ELj32ElifEEvT5_PKS1_S3_NS_24const_host_device_scalarIT6_EEPKT4_S3_PKS5_S9_S3_SB_S6_S9_S3_SB_S9_PS1_PS5_21rocsparse_index_base_SE_SE_SE_bbb
; %bb.0:
	s_clause 0x3
	s_load_b32 s12, s[0:1], 0x98
	s_load_b128 s[44:47], s[0:1], 0x88
	s_load_b64 s[4:5], s[0:1], 0x18
	s_load_b64 s[2:3], s[0:1], 0x50
	s_waitcnt lgkmcnt(0)
	s_bitcmp1_b32 s12, 0
	s_cselect_b32 s13, -1, 0
	s_bitcmp1_b32 s12, 16
	s_cselect_b32 s14, -1, 0
	s_xor_b32 s6, s13, -1
	s_delay_alu instid0(SALU_CYCLE_1) | instskip(NEXT) | instid1(SALU_CYCLE_1)
	s_or_b32 s6, s6, s14
	s_and_b32 vcc_lo, exec_lo, s6
	s_cbranch_vccnz .LBB190_2
; %bb.1:
	s_load_b32 s4, s[4:5], 0x0
	s_waitcnt lgkmcnt(0)
	v_mov_b32_e32 v12, s4
	s_branch .LBB190_3
.LBB190_2:
	v_cndmask_b32_e64 v12, 0, s4, s13
.LBB190_3:
	s_clause 0x4
	s_load_b128 s[48:51], s[0:1], 0x78
	s_load_b256 s[36:43], s[0:1], 0x58
	s_load_b128 s[16:19], s[0:1], 0x40
	s_load_b128 s[20:23], s[0:1], 0x8
	s_load_b256 s[4:11], s[0:1], 0x20
	s_bitcmp1_b32 s12, 8
	s_cselect_b32 s12, -1, 0
	s_delay_alu instid0(SALU_CYCLE_1) | instskip(NEXT) | instid1(SALU_CYCLE_1)
	s_xor_b32 s24, s12, -1
	s_or_b32 s14, s24, s14
	s_delay_alu instid0(SALU_CYCLE_1)
	s_and_b32 vcc_lo, exec_lo, s14
	s_cbranch_vccnz .LBB190_5
; %bb.4:
	s_load_b32 s2, s[2:3], 0x0
	s_waitcnt lgkmcnt(0)
	v_mov_b32_e32 v11, s2
	s_branch .LBB190_6
.LBB190_5:
	v_cndmask_b32_e64 v11, 0, s2, s12
.LBB190_6:
	s_load_b32 s33, s[0:1], 0x0
	v_lshl_add_u32 v9, v0, 2, 0
	v_or_b32_e32 v10, 0xfffffc00, v0
	v_mov_b32_e32 v1, 0
	s_mov_b32 s0, 0
	s_delay_alu instid0(VALU_DEP_3)
	v_mov_b32_e32 v2, v9
	s_waitcnt lgkmcnt(0)
	v_dual_mov_b32 v4, v10 :: v_dual_mov_b32 v3, s33
.LBB190_7:                              ; =>This Inner Loop Header: Depth=1
	s_delay_alu instid0(VALU_DEP_1) | instskip(NEXT) | instid1(VALU_DEP_3)
	v_add_nc_u32_e32 v4, 0x400, v4
	v_add_nc_u32_e32 v5, 0x10000, v2
	ds_store_b32 v2, v3
	v_add_nc_u32_e32 v2, 0x1000, v2
	v_cmp_lt_u32_e32 vcc_lo, 0x3bff, v4
	ds_store_b32 v5, v1
	s_or_b32 s0, vcc_lo, s0
	s_delay_alu instid0(SALU_CYCLE_1)
	s_and_not1_b32 exec_lo, exec_lo, s0
	s_cbranch_execnz .LBB190_7
; %bb.8:
	s_or_b32 exec_lo, exec_lo, s0
	s_waitcnt lgkmcnt(0)
	s_barrier
	buffer_gl0_inv
	s_load_b32 s0, s[20:21], 0x0
	s_mov_b32 s1, 0
	s_waitcnt lgkmcnt(0)
	s_add_i32 s0, s0, s15
	s_delay_alu instid0(SALU_CYCLE_1) | instskip(NEXT) | instid1(SALU_CYCLE_1)
	s_lshl_b64 s[0:1], s[0:1], 2
	s_add_u32 s0, s22, s0
	s_addc_u32 s1, s23, s1
	s_and_b32 vcc_lo, exec_lo, s13
	s_load_b32 s34, s[0:1], 0x0
	s_cbranch_vccz .LBB190_28
; %bb.9:
	s_waitcnt lgkmcnt(0)
	s_ashr_i32 s35, s34, 31
	v_lshrrev_b32_e32 v1, 6, v0
	s_lshl_b64 s[0:1], s[34:35], 3
	s_delay_alu instid0(SALU_CYCLE_1) | instskip(SKIP_1) | instid1(VALU_DEP_1)
	s_add_u32 s0, s4, s0
	s_addc_u32 s1, s5, s1
	v_sub_co_u32 v1, s4, v1, s44
	s_load_b128 s[0:3], s[0:1], 0x0
	v_sub_co_ci_u32_e64 v2, null, 0, 0, s4
	s_waitcnt lgkmcnt(0)
	s_delay_alu instid0(VALU_DEP_2) | instskip(NEXT) | instid1(VALU_DEP_2)
	v_add_co_u32 v1, vcc_lo, s0, v1
	v_add_co_ci_u32_e32 v2, vcc_lo, s1, v2, vcc_lo
	s_sub_u32 s0, s2, s44
	s_subb_u32 s1, s3, 0
	s_mov_b32 s2, exec_lo
	s_delay_alu instid0(VALU_DEP_1)
	v_cmpx_gt_i64_e64 s[0:1], v[1:2]
	s_cbranch_execz .LBB190_27
; %bb.10:
	v_and_b32_e32 v3, 63, v0
	s_mov_b32 s4, s45
	s_delay_alu instid0(VALU_DEP_1) | instskip(NEXT) | instid1(VALU_DEP_1)
	v_sub_co_u32 v13, s3, v3, s45
	v_sub_co_ci_u32_e64 v14, null, 0, 0, s3
	s_mov_b32 s3, 0
	s_branch .LBB190_12
.LBB190_11:                             ;   in Loop: Header=BB190_12 Depth=1
	s_or_b32 exec_lo, exec_lo, s5
	v_add_co_u32 v1, vcc_lo, v1, 16
	v_add_co_ci_u32_e32 v2, vcc_lo, 0, v2, vcc_lo
	s_delay_alu instid0(VALU_DEP_1) | instskip(SKIP_1) | instid1(SALU_CYCLE_1)
	v_cmp_le_i64_e32 vcc_lo, s[0:1], v[1:2]
	s_or_b32 s3, vcc_lo, s3
	s_and_not1_b32 exec_lo, exec_lo, s3
	s_cbranch_execz .LBB190_27
.LBB190_12:                             ; =>This Loop Header: Depth=1
                                        ;     Child Loop BB190_15 Depth 2
                                        ;       Child Loop BB190_17 Depth 3
	v_lshlrev_b64 v[7:8], 2, v[1:2]
	s_mov_b32 s5, exec_lo
	s_delay_alu instid0(VALU_DEP_1) | instskip(NEXT) | instid1(VALU_DEP_2)
	v_add_co_u32 v3, vcc_lo, s6, v7
	v_add_co_ci_u32_e32 v4, vcc_lo, s7, v8, vcc_lo
	global_load_b32 v3, v[3:4], off
	s_waitcnt vmcnt(0)
	v_subrev_nc_u32_e32 v3, s44, v3
	s_delay_alu instid0(VALU_DEP_1) | instskip(NEXT) | instid1(VALU_DEP_1)
	v_ashrrev_i32_e32 v4, 31, v3
	v_lshlrev_b64 v[3:4], 3, v[3:4]
	s_delay_alu instid0(VALU_DEP_1) | instskip(NEXT) | instid1(VALU_DEP_2)
	v_add_co_u32 v3, vcc_lo, s10, v3
	v_add_co_ci_u32_e32 v4, vcc_lo, s11, v4, vcc_lo
	global_load_b128 v[15:18], v[3:4], off
	s_waitcnt vmcnt(0)
	v_sub_co_u32 v3, vcc_lo, v17, s4
	v_subrev_co_ci_u32_e32 v4, vcc_lo, 0, v18, vcc_lo
	v_add_co_u32 v5, vcc_lo, v15, v13
	v_add_co_ci_u32_e32 v6, vcc_lo, v16, v14, vcc_lo
	s_delay_alu instid0(VALU_DEP_1)
	v_cmpx_lt_i64_e64 v[5:6], v[3:4]
	s_cbranch_execz .LBB190_11
; %bb.13:                               ;   in Loop: Header=BB190_12 Depth=1
	v_add_co_u32 v7, vcc_lo, s8, v7
	v_add_co_ci_u32_e32 v8, vcc_lo, s9, v8, vcc_lo
	s_mov_b32 s13, 0
	global_load_b32 v7, v[7:8], off
	s_waitcnt vmcnt(0)
	v_mul_f32_e32 v7, v12, v7
	s_branch .LBB190_15
.LBB190_14:                             ;   in Loop: Header=BB190_15 Depth=2
	s_or_b32 exec_lo, exec_lo, s14
	v_add_co_u32 v5, vcc_lo, v5, 64
	v_add_co_ci_u32_e32 v6, vcc_lo, 0, v6, vcc_lo
	s_delay_alu instid0(VALU_DEP_1) | instskip(SKIP_1) | instid1(SALU_CYCLE_1)
	v_cmp_ge_i64_e32 vcc_lo, v[5:6], v[3:4]
	s_or_b32 s13, vcc_lo, s13
	s_and_not1_b32 exec_lo, exec_lo, s13
	s_cbranch_execz .LBB190_11
.LBB190_15:                             ;   Parent Loop BB190_12 Depth=1
                                        ; =>  This Loop Header: Depth=2
                                        ;       Child Loop BB190_17 Depth 3
	v_lshlrev_b64 v[15:16], 2, v[5:6]
	s_mov_b32 s14, 0
	s_delay_alu instid0(VALU_DEP_1) | instskip(NEXT) | instid1(VALU_DEP_2)
	v_add_co_u32 v17, vcc_lo, s16, v15
	v_add_co_ci_u32_e32 v18, vcc_lo, s17, v16, vcc_lo
	v_add_co_u32 v15, vcc_lo, s18, v15
	v_add_co_ci_u32_e32 v16, vcc_lo, s19, v16, vcc_lo
	global_load_b32 v8, v[17:18], off
	global_load_b32 v15, v[15:16], off
	s_waitcnt vmcnt(1)
	v_subrev_nc_u32_e32 v8, s45, v8
	s_delay_alu instid0(VALU_DEP_1) | instskip(SKIP_1) | instid1(VALU_DEP_1)
	v_mul_lo_u32 v16, 0x89, v8
	s_waitcnt vmcnt(0)
	v_dual_mul_f32 v15, v7, v15 :: v_dual_and_b32 v16, 0x3fff, v16
	s_branch .LBB190_17
.LBB190_16:                             ;   in Loop: Header=BB190_17 Depth=3
	s_or_b32 exec_lo, exec_lo, s15
	s_xor_b32 s15, s20, -1
	s_delay_alu instid0(SALU_CYCLE_1) | instskip(NEXT) | instid1(SALU_CYCLE_1)
	s_and_b32 s15, exec_lo, s15
	s_or_b32 s14, s15, s14
	s_delay_alu instid0(SALU_CYCLE_1)
	s_and_not1_b32 exec_lo, exec_lo, s14
	s_cbranch_execz .LBB190_14
.LBB190_17:                             ;   Parent Loop BB190_12 Depth=1
                                        ;     Parent Loop BB190_15 Depth=2
                                        ; =>    This Inner Loop Header: Depth=3
	s_delay_alu instid0(VALU_DEP_1)
	v_lshl_add_u32 v17, v16, 2, 0
	s_mov_b32 s15, exec_lo
                                        ; implicit-def: $sgpr20
	ds_load_b32 v18, v17
	s_waitcnt lgkmcnt(0)
	v_cmpx_ne_u32_e64 v18, v8
	s_xor_b32 s15, exec_lo, s15
	s_cbranch_execz .LBB190_25
; %bb.18:                               ;   in Loop: Header=BB190_17 Depth=3
	s_mov_b32 s21, exec_lo
                                        ; implicit-def: $sgpr20
	v_cmpx_ne_u32_e64 s33, v18
	s_xor_b32 s21, exec_lo, s21
; %bb.19:                               ;   in Loop: Header=BB190_17 Depth=3
	v_add_nc_u32_e32 v16, 1, v16
	s_mov_b32 s20, -1
                                        ; implicit-def: $vgpr17
	s_delay_alu instid0(VALU_DEP_1)
	v_and_b32_e32 v16, 0x3fff, v16
; %bb.20:                               ;   in Loop: Header=BB190_17 Depth=3
	s_and_not1_saveexec_b32 s21, s21
	s_cbranch_execz .LBB190_24
; %bb.21:                               ;   in Loop: Header=BB190_17 Depth=3
	v_mov_b32_e32 v18, s33
	s_mov_b32 s22, -1
	s_mov_b32 s23, exec_lo
	ds_cmpstore_rtn_b32 v17, v17, v8, v18
	s_waitcnt lgkmcnt(0)
	v_cmpx_eq_u32_e64 s33, v17
	s_cbranch_execz .LBB190_23
; %bb.22:                               ;   in Loop: Header=BB190_17 Depth=3
	v_lshlrev_b32_e32 v17, 2, v16
	s_xor_b32 s22, exec_lo, -1
	s_delay_alu instid0(VALU_DEP_1)
	v_add3_u32 v17, 0, v17, 0x10000
	ds_add_f32 v17, v15
.LBB190_23:                             ;   in Loop: Header=BB190_17 Depth=3
	s_or_b32 exec_lo, exec_lo, s23
	s_delay_alu instid0(SALU_CYCLE_1) | instskip(SKIP_1) | instid1(SALU_CYCLE_1)
	s_and_not1_b32 s20, s20, exec_lo
	s_and_b32 s22, s22, exec_lo
	s_or_b32 s20, s20, s22
.LBB190_24:                             ;   in Loop: Header=BB190_17 Depth=3
	s_or_b32 exec_lo, exec_lo, s21
	s_delay_alu instid0(SALU_CYCLE_1)
	s_and_b32 s20, s20, exec_lo
.LBB190_25:                             ;   in Loop: Header=BB190_17 Depth=3
	s_and_not1_saveexec_b32 s15, s15
	s_cbranch_execz .LBB190_16
; %bb.26:                               ;   in Loop: Header=BB190_17 Depth=3
	v_lshlrev_b32_e32 v17, 2, v16
	s_and_not1_b32 s20, s20, exec_lo
	s_delay_alu instid0(VALU_DEP_1)
	v_add3_u32 v17, 0, v17, 0x10000
	ds_add_f32 v17, v15
	s_branch .LBB190_16
.LBB190_27:
	s_or_b32 exec_lo, exec_lo, s2
.LBB190_28:
	s_delay_alu instid0(SALU_CYCLE_1)
	s_and_not1_b32 vcc_lo, exec_lo, s12
	s_cbranch_vccnz .LBB190_31
; %bb.29:
	s_waitcnt lgkmcnt(0)
	s_ashr_i32 s35, s34, 31
	v_sub_co_u32 v1, s4, v0, s47
	s_lshl_b64 s[0:1], s[34:35], 3
	v_sub_co_ci_u32_e64 v2, null, 0, 0, s4
	s_add_u32 s0, s36, s0
	s_addc_u32 s1, s37, s1
	s_load_b128 s[0:3], s[0:1], 0x0
	s_waitcnt lgkmcnt(0)
	v_add_co_u32 v1, vcc_lo, s0, v1
	v_add_co_ci_u32_e32 v2, vcc_lo, s1, v2, vcc_lo
	s_sub_u32 s0, s2, s47
	s_subb_u32 s1, s3, 0
	s_mov_b32 s3, 0
	s_mov_b32 s2, exec_lo
	v_cmpx_gt_i64_e64 s[0:1], v[1:2]
	s_cbranch_execnz .LBB190_100
.LBB190_30:
	s_or_b32 exec_lo, exec_lo, s2
.LBB190_31:
	v_mbcnt_lo_u32_b32 v1, -1, 0
	v_lshrrev_b32_e32 v2, 3, v0
	s_add_i32 s70, 0, 0x2007c
	v_cmp_eq_u32_e32 vcc_lo, 0x3ff, v0
	v_cmp_lt_u32_e64 s0, 31, v0
	v_xor_b32_e32 v1, 63, v1
	v_dual_mov_b32 v4, s70 :: v_dual_and_b32 v3, 0x7c, v2
	v_cmp_lt_u32_e64 s1, 63, v0
	v_cmp_lt_u32_e64 s2, 0x5f, v0
	s_delay_alu instid0(VALU_DEP_4) | instskip(NEXT) | instid1(VALU_DEP_4)
	v_lshrrev_b64 v[1:2], v1, -1
	v_add3_u32 v2, 0, 0x20000, v3
	v_cmp_lt_u32_e64 s3, 0x7f, v0
	v_cmp_lt_u32_e64 s4, 0x9f, v0
	;; [unrolled: 1-line block ×28, first 2 shown]
	v_mov_b32_e32 v3, 0
	s_mov_b32 s35, 0
	s_add_i32 s36, 0, 0x20000
	s_add_i32 s37, 0, 0x20004
	s_add_i32 s38, 0, 0x20008
	s_add_i32 s39, 0, 0x2000c
	s_add_i32 s40, 0, 0x20010
	s_add_i32 s41, 0, 0x20014
	s_add_i32 s44, 0, 0x20018
	s_add_i32 s45, 0, 0x2001c
	s_add_i32 s47, 0, 0x20020
	s_add_i32 s52, 0, 0x20024
	s_add_i32 s53, 0, 0x20028
	s_add_i32 s54, 0, 0x2002c
	s_add_i32 s55, 0, 0x20030
	s_add_i32 s56, 0, 0x20034
	s_add_i32 s57, 0, 0x20038
	s_add_i32 s58, 0, 0x2003c
	s_add_i32 s59, 0, 0x20040
	s_add_i32 s60, 0, 0x20044
	s_add_i32 s61, 0, 0x20048
	s_add_i32 s62, 0, 0x2004c
	s_add_i32 s63, 0, 0x20050
	s_add_i32 s64, 0, 0x20054
	s_add_i32 s65, 0, 0x20058
	s_add_i32 s66, 0, 0x2005c
	s_add_i32 s67, 0, 0x20060
	s_add_i32 s68, 0, 0x20064
	s_add_i32 s69, 0, 0x20068
	s_add_i32 s71, 0, 0x2006c
	s_add_i32 s72, 0, 0x20070
	s_add_i32 s73, 0, 0x20074
	s_add_i32 s74, 0, 0x20078
	s_waitcnt lgkmcnt(0)
	s_barrier
	buffer_gl0_inv
	s_branch .LBB190_33
.LBB190_32:                             ;   in Loop: Header=BB190_33 Depth=1
	s_or_b32 exec_lo, exec_lo, s31
	s_waitcnt lgkmcnt(0)
	s_barrier
	buffer_gl0_inv
	ds_load_b32 v5, v4
	v_add_nc_u32_e32 v10, 0x400, v10
	v_add_nc_u32_e32 v9, 0x1000, v9
	s_delay_alu instid0(VALU_DEP_2) | instskip(NEXT) | instid1(VALU_DEP_1)
	v_cmp_lt_u32_e64 s31, 0x3bff, v10
	s_or_b32 s35, s31, s35
	s_waitcnt lgkmcnt(0)
	v_add_nc_u32_e32 v3, v5, v3
	s_and_not1_b32 exec_lo, exec_lo, s35
	s_cbranch_execz .LBB190_112
.LBB190_33:                             ; =>This Inner Loop Header: Depth=1
	ds_load_b32 v5, v9
	v_add_nc_u32_e32 v6, 0x10000, v9
	ds_load_b32 v6, v6
	s_waitcnt lgkmcnt(0)
	s_barrier
	buffer_gl0_inv
	v_cmp_gt_i32_e64 s31, s33, v5
	s_delay_alu instid0(VALU_DEP_1) | instskip(NEXT) | instid1(SALU_CYCLE_1)
	s_bcnt1_i32_b32 s75, s31
	v_dual_mov_b32 v8, s75 :: v_dual_and_b32 v7, s31, v1
	s_delay_alu instid0(VALU_DEP_1)
	v_bcnt_u32_b32 v7, v7, 0
	ds_store_b32 v2, v8
	s_waitcnt lgkmcnt(0)
	s_barrier
	buffer_gl0_inv
	s_and_saveexec_b32 s75, s0
	s_cbranch_execnz .LBB190_66
; %bb.34:                               ;   in Loop: Header=BB190_33 Depth=1
	s_or_b32 exec_lo, exec_lo, s75
	s_and_saveexec_b32 s75, s1
	s_cbranch_execnz .LBB190_67
.LBB190_35:                             ;   in Loop: Header=BB190_33 Depth=1
	s_or_b32 exec_lo, exec_lo, s75
	s_and_saveexec_b32 s75, s2
	s_cbranch_execnz .LBB190_68
.LBB190_36:                             ;   in Loop: Header=BB190_33 Depth=1
	s_or_b32 exec_lo, exec_lo, s75
	s_and_saveexec_b32 s75, s3
	s_cbranch_execnz .LBB190_69
.LBB190_37:                             ;   in Loop: Header=BB190_33 Depth=1
	s_or_b32 exec_lo, exec_lo, s75
	s_and_saveexec_b32 s75, s4
	s_cbranch_execnz .LBB190_70
.LBB190_38:                             ;   in Loop: Header=BB190_33 Depth=1
	s_or_b32 exec_lo, exec_lo, s75
	s_and_saveexec_b32 s75, s5
	s_cbranch_execnz .LBB190_71
.LBB190_39:                             ;   in Loop: Header=BB190_33 Depth=1
	s_or_b32 exec_lo, exec_lo, s75
	s_and_saveexec_b32 s75, s6
	s_cbranch_execnz .LBB190_72
.LBB190_40:                             ;   in Loop: Header=BB190_33 Depth=1
	s_or_b32 exec_lo, exec_lo, s75
	s_and_saveexec_b32 s75, s7
	s_cbranch_execnz .LBB190_73
.LBB190_41:                             ;   in Loop: Header=BB190_33 Depth=1
	s_or_b32 exec_lo, exec_lo, s75
	s_and_saveexec_b32 s75, s8
	s_cbranch_execnz .LBB190_74
.LBB190_42:                             ;   in Loop: Header=BB190_33 Depth=1
	s_or_b32 exec_lo, exec_lo, s75
	s_and_saveexec_b32 s75, s9
	s_cbranch_execnz .LBB190_75
.LBB190_43:                             ;   in Loop: Header=BB190_33 Depth=1
	s_or_b32 exec_lo, exec_lo, s75
	s_and_saveexec_b32 s75, s10
	s_cbranch_execnz .LBB190_76
.LBB190_44:                             ;   in Loop: Header=BB190_33 Depth=1
	s_or_b32 exec_lo, exec_lo, s75
	s_and_saveexec_b32 s75, s11
	s_cbranch_execnz .LBB190_77
.LBB190_45:                             ;   in Loop: Header=BB190_33 Depth=1
	s_or_b32 exec_lo, exec_lo, s75
	s_and_saveexec_b32 s75, s12
	s_cbranch_execnz .LBB190_78
.LBB190_46:                             ;   in Loop: Header=BB190_33 Depth=1
	s_or_b32 exec_lo, exec_lo, s75
	s_and_saveexec_b32 s75, s13
	s_cbranch_execnz .LBB190_79
.LBB190_47:                             ;   in Loop: Header=BB190_33 Depth=1
	s_or_b32 exec_lo, exec_lo, s75
	s_and_saveexec_b32 s75, s14
	s_cbranch_execnz .LBB190_80
.LBB190_48:                             ;   in Loop: Header=BB190_33 Depth=1
	s_or_b32 exec_lo, exec_lo, s75
	s_and_saveexec_b32 s75, s15
	s_cbranch_execnz .LBB190_81
.LBB190_49:                             ;   in Loop: Header=BB190_33 Depth=1
	s_or_b32 exec_lo, exec_lo, s75
	s_and_saveexec_b32 s75, s16
	s_cbranch_execnz .LBB190_82
.LBB190_50:                             ;   in Loop: Header=BB190_33 Depth=1
	s_or_b32 exec_lo, exec_lo, s75
	s_and_saveexec_b32 s75, s17
	s_cbranch_execnz .LBB190_83
.LBB190_51:                             ;   in Loop: Header=BB190_33 Depth=1
	s_or_b32 exec_lo, exec_lo, s75
	s_and_saveexec_b32 s75, s18
	s_cbranch_execnz .LBB190_84
.LBB190_52:                             ;   in Loop: Header=BB190_33 Depth=1
	s_or_b32 exec_lo, exec_lo, s75
	s_and_saveexec_b32 s75, s19
	s_cbranch_execnz .LBB190_85
.LBB190_53:                             ;   in Loop: Header=BB190_33 Depth=1
	s_or_b32 exec_lo, exec_lo, s75
	s_and_saveexec_b32 s75, s20
	s_cbranch_execnz .LBB190_86
.LBB190_54:                             ;   in Loop: Header=BB190_33 Depth=1
	s_or_b32 exec_lo, exec_lo, s75
	s_and_saveexec_b32 s75, s21
	s_cbranch_execnz .LBB190_87
.LBB190_55:                             ;   in Loop: Header=BB190_33 Depth=1
	s_or_b32 exec_lo, exec_lo, s75
	s_and_saveexec_b32 s75, s22
	s_cbranch_execnz .LBB190_88
.LBB190_56:                             ;   in Loop: Header=BB190_33 Depth=1
	s_or_b32 exec_lo, exec_lo, s75
	s_and_saveexec_b32 s75, s23
	s_cbranch_execnz .LBB190_89
.LBB190_57:                             ;   in Loop: Header=BB190_33 Depth=1
	s_or_b32 exec_lo, exec_lo, s75
	s_and_saveexec_b32 s75, s24
	s_cbranch_execnz .LBB190_90
.LBB190_58:                             ;   in Loop: Header=BB190_33 Depth=1
	s_or_b32 exec_lo, exec_lo, s75
	s_and_saveexec_b32 s75, s25
	s_cbranch_execnz .LBB190_91
.LBB190_59:                             ;   in Loop: Header=BB190_33 Depth=1
	s_or_b32 exec_lo, exec_lo, s75
	s_and_saveexec_b32 s75, s26
	s_cbranch_execnz .LBB190_92
.LBB190_60:                             ;   in Loop: Header=BB190_33 Depth=1
	s_or_b32 exec_lo, exec_lo, s75
	s_and_saveexec_b32 s75, s27
	s_cbranch_execnz .LBB190_93
.LBB190_61:                             ;   in Loop: Header=BB190_33 Depth=1
	s_or_b32 exec_lo, exec_lo, s75
	s_and_saveexec_b32 s75, s28
	s_cbranch_execnz .LBB190_94
.LBB190_62:                             ;   in Loop: Header=BB190_33 Depth=1
	s_or_b32 exec_lo, exec_lo, s75
	s_and_saveexec_b32 s75, s29
	s_cbranch_execnz .LBB190_95
.LBB190_63:                             ;   in Loop: Header=BB190_33 Depth=1
	s_or_b32 exec_lo, exec_lo, s75
	s_and_saveexec_b32 s75, s30
	s_cbranch_execnz .LBB190_96
.LBB190_64:                             ;   in Loop: Header=BB190_33 Depth=1
	s_or_b32 exec_lo, exec_lo, s75
	s_and_saveexec_b32 s75, s31
	s_cbranch_execnz .LBB190_97
.LBB190_65:                             ;   in Loop: Header=BB190_33 Depth=1
	s_or_b32 exec_lo, exec_lo, s75
	s_and_saveexec_b32 s31, vcc_lo
	s_cbranch_execz .LBB190_32
	s_branch .LBB190_98
.LBB190_66:                             ;   in Loop: Header=BB190_33 Depth=1
	v_mov_b32_e32 v8, s36
	ds_load_b32 v8, v8
	s_waitcnt lgkmcnt(0)
	v_add_nc_u32_e32 v7, v8, v7
	s_or_b32 exec_lo, exec_lo, s75
	s_and_saveexec_b32 s75, s1
	s_cbranch_execz .LBB190_35
.LBB190_67:                             ;   in Loop: Header=BB190_33 Depth=1
	v_mov_b32_e32 v8, s37
	ds_load_b32 v8, v8
	s_waitcnt lgkmcnt(0)
	v_add_nc_u32_e32 v7, v8, v7
	s_or_b32 exec_lo, exec_lo, s75
	s_and_saveexec_b32 s75, s2
	s_cbranch_execz .LBB190_36
.LBB190_68:                             ;   in Loop: Header=BB190_33 Depth=1
	v_mov_b32_e32 v8, s38
	ds_load_b32 v8, v8
	s_waitcnt lgkmcnt(0)
	v_add_nc_u32_e32 v7, v8, v7
	s_or_b32 exec_lo, exec_lo, s75
	s_and_saveexec_b32 s75, s3
	s_cbranch_execz .LBB190_37
.LBB190_69:                             ;   in Loop: Header=BB190_33 Depth=1
	v_mov_b32_e32 v8, s39
	ds_load_b32 v8, v8
	s_waitcnt lgkmcnt(0)
	v_add_nc_u32_e32 v7, v8, v7
	s_or_b32 exec_lo, exec_lo, s75
	s_and_saveexec_b32 s75, s4
	s_cbranch_execz .LBB190_38
.LBB190_70:                             ;   in Loop: Header=BB190_33 Depth=1
	v_mov_b32_e32 v8, s40
	ds_load_b32 v8, v8
	s_waitcnt lgkmcnt(0)
	v_add_nc_u32_e32 v7, v8, v7
	s_or_b32 exec_lo, exec_lo, s75
	s_and_saveexec_b32 s75, s5
	s_cbranch_execz .LBB190_39
.LBB190_71:                             ;   in Loop: Header=BB190_33 Depth=1
	v_mov_b32_e32 v8, s41
	ds_load_b32 v8, v8
	s_waitcnt lgkmcnt(0)
	v_add_nc_u32_e32 v7, v8, v7
	s_or_b32 exec_lo, exec_lo, s75
	s_and_saveexec_b32 s75, s6
	s_cbranch_execz .LBB190_40
.LBB190_72:                             ;   in Loop: Header=BB190_33 Depth=1
	v_mov_b32_e32 v8, s44
	ds_load_b32 v8, v8
	s_waitcnt lgkmcnt(0)
	v_add_nc_u32_e32 v7, v8, v7
	s_or_b32 exec_lo, exec_lo, s75
	s_and_saveexec_b32 s75, s7
	s_cbranch_execz .LBB190_41
.LBB190_73:                             ;   in Loop: Header=BB190_33 Depth=1
	v_mov_b32_e32 v8, s45
	ds_load_b32 v8, v8
	s_waitcnt lgkmcnt(0)
	v_add_nc_u32_e32 v7, v8, v7
	s_or_b32 exec_lo, exec_lo, s75
	s_and_saveexec_b32 s75, s8
	s_cbranch_execz .LBB190_42
.LBB190_74:                             ;   in Loop: Header=BB190_33 Depth=1
	v_mov_b32_e32 v8, s47
	ds_load_b32 v8, v8
	s_waitcnt lgkmcnt(0)
	v_add_nc_u32_e32 v7, v8, v7
	s_or_b32 exec_lo, exec_lo, s75
	s_and_saveexec_b32 s75, s9
	s_cbranch_execz .LBB190_43
.LBB190_75:                             ;   in Loop: Header=BB190_33 Depth=1
	v_mov_b32_e32 v8, s52
	ds_load_b32 v8, v8
	s_waitcnt lgkmcnt(0)
	v_add_nc_u32_e32 v7, v8, v7
	s_or_b32 exec_lo, exec_lo, s75
	s_and_saveexec_b32 s75, s10
	s_cbranch_execz .LBB190_44
.LBB190_76:                             ;   in Loop: Header=BB190_33 Depth=1
	v_mov_b32_e32 v8, s53
	ds_load_b32 v8, v8
	s_waitcnt lgkmcnt(0)
	v_add_nc_u32_e32 v7, v8, v7
	s_or_b32 exec_lo, exec_lo, s75
	s_and_saveexec_b32 s75, s11
	s_cbranch_execz .LBB190_45
.LBB190_77:                             ;   in Loop: Header=BB190_33 Depth=1
	v_mov_b32_e32 v8, s54
	ds_load_b32 v8, v8
	s_waitcnt lgkmcnt(0)
	v_add_nc_u32_e32 v7, v8, v7
	s_or_b32 exec_lo, exec_lo, s75
	s_and_saveexec_b32 s75, s12
	s_cbranch_execz .LBB190_46
.LBB190_78:                             ;   in Loop: Header=BB190_33 Depth=1
	v_mov_b32_e32 v8, s55
	ds_load_b32 v8, v8
	s_waitcnt lgkmcnt(0)
	v_add_nc_u32_e32 v7, v8, v7
	s_or_b32 exec_lo, exec_lo, s75
	s_and_saveexec_b32 s75, s13
	s_cbranch_execz .LBB190_47
.LBB190_79:                             ;   in Loop: Header=BB190_33 Depth=1
	v_mov_b32_e32 v8, s56
	ds_load_b32 v8, v8
	s_waitcnt lgkmcnt(0)
	v_add_nc_u32_e32 v7, v8, v7
	s_or_b32 exec_lo, exec_lo, s75
	s_and_saveexec_b32 s75, s14
	s_cbranch_execz .LBB190_48
.LBB190_80:                             ;   in Loop: Header=BB190_33 Depth=1
	v_mov_b32_e32 v8, s57
	ds_load_b32 v8, v8
	s_waitcnt lgkmcnt(0)
	v_add_nc_u32_e32 v7, v8, v7
	s_or_b32 exec_lo, exec_lo, s75
	s_and_saveexec_b32 s75, s15
	s_cbranch_execz .LBB190_49
.LBB190_81:                             ;   in Loop: Header=BB190_33 Depth=1
	v_mov_b32_e32 v8, s58
	ds_load_b32 v8, v8
	s_waitcnt lgkmcnt(0)
	v_add_nc_u32_e32 v7, v8, v7
	s_or_b32 exec_lo, exec_lo, s75
	s_and_saveexec_b32 s75, s16
	s_cbranch_execz .LBB190_50
.LBB190_82:                             ;   in Loop: Header=BB190_33 Depth=1
	v_mov_b32_e32 v8, s59
	ds_load_b32 v8, v8
	s_waitcnt lgkmcnt(0)
	v_add_nc_u32_e32 v7, v8, v7
	s_or_b32 exec_lo, exec_lo, s75
	s_and_saveexec_b32 s75, s17
	s_cbranch_execz .LBB190_51
.LBB190_83:                             ;   in Loop: Header=BB190_33 Depth=1
	v_mov_b32_e32 v8, s60
	ds_load_b32 v8, v8
	s_waitcnt lgkmcnt(0)
	v_add_nc_u32_e32 v7, v8, v7
	s_or_b32 exec_lo, exec_lo, s75
	s_and_saveexec_b32 s75, s18
	s_cbranch_execz .LBB190_52
.LBB190_84:                             ;   in Loop: Header=BB190_33 Depth=1
	v_mov_b32_e32 v8, s61
	ds_load_b32 v8, v8
	s_waitcnt lgkmcnt(0)
	v_add_nc_u32_e32 v7, v8, v7
	s_or_b32 exec_lo, exec_lo, s75
	s_and_saveexec_b32 s75, s19
	s_cbranch_execz .LBB190_53
.LBB190_85:                             ;   in Loop: Header=BB190_33 Depth=1
	v_mov_b32_e32 v8, s62
	ds_load_b32 v8, v8
	s_waitcnt lgkmcnt(0)
	v_add_nc_u32_e32 v7, v8, v7
	s_or_b32 exec_lo, exec_lo, s75
	s_and_saveexec_b32 s75, s20
	s_cbranch_execz .LBB190_54
.LBB190_86:                             ;   in Loop: Header=BB190_33 Depth=1
	v_mov_b32_e32 v8, s63
	ds_load_b32 v8, v8
	s_waitcnt lgkmcnt(0)
	v_add_nc_u32_e32 v7, v8, v7
	s_or_b32 exec_lo, exec_lo, s75
	s_and_saveexec_b32 s75, s21
	s_cbranch_execz .LBB190_55
.LBB190_87:                             ;   in Loop: Header=BB190_33 Depth=1
	v_mov_b32_e32 v8, s64
	ds_load_b32 v8, v8
	s_waitcnt lgkmcnt(0)
	v_add_nc_u32_e32 v7, v8, v7
	s_or_b32 exec_lo, exec_lo, s75
	s_and_saveexec_b32 s75, s22
	s_cbranch_execz .LBB190_56
.LBB190_88:                             ;   in Loop: Header=BB190_33 Depth=1
	v_mov_b32_e32 v8, s65
	ds_load_b32 v8, v8
	s_waitcnt lgkmcnt(0)
	v_add_nc_u32_e32 v7, v8, v7
	s_or_b32 exec_lo, exec_lo, s75
	s_and_saveexec_b32 s75, s23
	s_cbranch_execz .LBB190_57
.LBB190_89:                             ;   in Loop: Header=BB190_33 Depth=1
	v_mov_b32_e32 v8, s66
	ds_load_b32 v8, v8
	s_waitcnt lgkmcnt(0)
	v_add_nc_u32_e32 v7, v8, v7
	s_or_b32 exec_lo, exec_lo, s75
	s_and_saveexec_b32 s75, s24
	s_cbranch_execz .LBB190_58
.LBB190_90:                             ;   in Loop: Header=BB190_33 Depth=1
	v_mov_b32_e32 v8, s67
	ds_load_b32 v8, v8
	s_waitcnt lgkmcnt(0)
	v_add_nc_u32_e32 v7, v8, v7
	s_or_b32 exec_lo, exec_lo, s75
	s_and_saveexec_b32 s75, s25
	s_cbranch_execz .LBB190_59
.LBB190_91:                             ;   in Loop: Header=BB190_33 Depth=1
	v_mov_b32_e32 v8, s68
	ds_load_b32 v8, v8
	s_waitcnt lgkmcnt(0)
	v_add_nc_u32_e32 v7, v8, v7
	s_or_b32 exec_lo, exec_lo, s75
	s_and_saveexec_b32 s75, s26
	s_cbranch_execz .LBB190_60
.LBB190_92:                             ;   in Loop: Header=BB190_33 Depth=1
	v_mov_b32_e32 v8, s69
	ds_load_b32 v8, v8
	s_waitcnt lgkmcnt(0)
	v_add_nc_u32_e32 v7, v8, v7
	s_or_b32 exec_lo, exec_lo, s75
	s_and_saveexec_b32 s75, s27
	s_cbranch_execz .LBB190_61
.LBB190_93:                             ;   in Loop: Header=BB190_33 Depth=1
	v_mov_b32_e32 v8, s71
	ds_load_b32 v8, v8
	s_waitcnt lgkmcnt(0)
	v_add_nc_u32_e32 v7, v8, v7
	s_or_b32 exec_lo, exec_lo, s75
	s_and_saveexec_b32 s75, s28
	s_cbranch_execz .LBB190_62
.LBB190_94:                             ;   in Loop: Header=BB190_33 Depth=1
	v_mov_b32_e32 v8, s72
	ds_load_b32 v8, v8
	s_waitcnt lgkmcnt(0)
	v_add_nc_u32_e32 v7, v8, v7
	s_or_b32 exec_lo, exec_lo, s75
	s_and_saveexec_b32 s75, s29
	s_cbranch_execz .LBB190_63
.LBB190_95:                             ;   in Loop: Header=BB190_33 Depth=1
	v_mov_b32_e32 v8, s73
	ds_load_b32 v8, v8
	s_waitcnt lgkmcnt(0)
	v_add_nc_u32_e32 v7, v8, v7
	s_or_b32 exec_lo, exec_lo, s75
	s_and_saveexec_b32 s75, s30
	s_cbranch_execz .LBB190_64
.LBB190_96:                             ;   in Loop: Header=BB190_33 Depth=1
	v_mov_b32_e32 v8, s74
	ds_load_b32 v8, v8
	s_waitcnt lgkmcnt(0)
	v_add_nc_u32_e32 v7, v8, v7
	s_or_b32 exec_lo, exec_lo, s75
	s_and_saveexec_b32 s75, s31
	s_cbranch_execz .LBB190_65
.LBB190_97:                             ;   in Loop: Header=BB190_33 Depth=1
	s_delay_alu instid0(VALU_DEP_1) | instskip(NEXT) | instid1(VALU_DEP_1)
	v_add3_u32 v8, v3, -1, v7
	v_lshl_add_u32 v8, v8, 2, 0
	s_delay_alu instid0(VALU_DEP_1)
	v_add_nc_u32_e32 v11, 0x10000, v8
	ds_store_b32 v8, v5
	ds_store_b32 v11, v6
	s_or_b32 exec_lo, exec_lo, s75
	s_and_saveexec_b32 s31, vcc_lo
	s_cbranch_execz .LBB190_32
.LBB190_98:                             ;   in Loop: Header=BB190_33 Depth=1
	v_mov_b32_e32 v5, s70
	ds_store_b32 v5, v7
	s_branch .LBB190_32
.LBB190_99:                             ;   in Loop: Header=BB190_100 Depth=1
	s_or_b32 exec_lo, exec_lo, s4
	v_add_co_u32 v1, vcc_lo, 0x400, v1
	v_add_co_ci_u32_e32 v2, vcc_lo, 0, v2, vcc_lo
	s_delay_alu instid0(VALU_DEP_1) | instskip(SKIP_1) | instid1(SALU_CYCLE_1)
	v_cmp_le_i64_e32 vcc_lo, s[0:1], v[1:2]
	s_or_b32 s3, vcc_lo, s3
	s_and_not1_b32 exec_lo, exec_lo, s3
	s_cbranch_execz .LBB190_30
.LBB190_100:                            ; =>This Loop Header: Depth=1
                                        ;     Child Loop BB190_102 Depth 2
	v_lshlrev_b64 v[3:4], 2, v[1:2]
	s_mov_b32 s4, 0
	s_delay_alu instid0(VALU_DEP_1) | instskip(NEXT) | instid1(VALU_DEP_2)
	v_add_co_u32 v5, vcc_lo, s38, v3
	v_add_co_ci_u32_e32 v6, vcc_lo, s39, v4, vcc_lo
	v_add_co_u32 v3, vcc_lo, s40, v3
	v_add_co_ci_u32_e32 v4, vcc_lo, s41, v4, vcc_lo
	global_load_b32 v5, v[5:6], off
	global_load_b32 v4, v[3:4], off
	s_waitcnt vmcnt(1)
	v_subrev_nc_u32_e32 v3, s47, v5
	s_delay_alu instid0(VALU_DEP_1) | instskip(SKIP_1) | instid1(VALU_DEP_1)
	v_mul_lo_u32 v5, 0x89, v3
	s_waitcnt vmcnt(0)
	v_dual_mul_f32 v4, v11, v4 :: v_dual_and_b32 v5, 0x3fff, v5
	s_branch .LBB190_102
.LBB190_101:                            ;   in Loop: Header=BB190_102 Depth=2
	s_or_b32 exec_lo, exec_lo, s5
	s_xor_b32 s5, s6, -1
	s_delay_alu instid0(SALU_CYCLE_1) | instskip(NEXT) | instid1(SALU_CYCLE_1)
	s_and_b32 s5, exec_lo, s5
	s_or_b32 s4, s5, s4
	s_delay_alu instid0(SALU_CYCLE_1)
	s_and_not1_b32 exec_lo, exec_lo, s4
	s_cbranch_execz .LBB190_99
.LBB190_102:                            ;   Parent Loop BB190_100 Depth=1
                                        ; =>  This Inner Loop Header: Depth=2
	s_delay_alu instid0(VALU_DEP_1)
	v_lshl_add_u32 v6, v5, 2, 0
	s_mov_b32 s5, exec_lo
                                        ; implicit-def: $sgpr6
	ds_load_b32 v7, v6
	s_waitcnt lgkmcnt(0)
	v_cmpx_ne_u32_e64 v7, v3
	s_xor_b32 s5, exec_lo, s5
	s_cbranch_execz .LBB190_110
; %bb.103:                              ;   in Loop: Header=BB190_102 Depth=2
	s_mov_b32 s7, exec_lo
                                        ; implicit-def: $sgpr6
	v_cmpx_ne_u32_e64 s33, v7
	s_xor_b32 s7, exec_lo, s7
; %bb.104:                              ;   in Loop: Header=BB190_102 Depth=2
	v_add_nc_u32_e32 v5, 1, v5
	s_mov_b32 s6, -1
                                        ; implicit-def: $vgpr6
	s_delay_alu instid0(VALU_DEP_1)
	v_and_b32_e32 v5, 0x3fff, v5
; %bb.105:                              ;   in Loop: Header=BB190_102 Depth=2
	s_and_not1_saveexec_b32 s7, s7
	s_cbranch_execz .LBB190_109
; %bb.106:                              ;   in Loop: Header=BB190_102 Depth=2
	v_mov_b32_e32 v7, s33
	s_mov_b32 s8, -1
	s_mov_b32 s9, exec_lo
	ds_cmpstore_rtn_b32 v6, v6, v3, v7
	s_waitcnt lgkmcnt(0)
	v_cmpx_eq_u32_e64 s33, v6
	s_cbranch_execz .LBB190_108
; %bb.107:                              ;   in Loop: Header=BB190_102 Depth=2
	v_lshlrev_b32_e32 v6, 2, v5
	s_xor_b32 s8, exec_lo, -1
	s_delay_alu instid0(VALU_DEP_1)
	v_add3_u32 v6, 0, v6, 0x10000
	ds_add_f32 v6, v4
.LBB190_108:                            ;   in Loop: Header=BB190_102 Depth=2
	s_or_b32 exec_lo, exec_lo, s9
	s_delay_alu instid0(SALU_CYCLE_1) | instskip(SKIP_1) | instid1(SALU_CYCLE_1)
	s_and_not1_b32 s6, s6, exec_lo
	s_and_b32 s8, s8, exec_lo
	s_or_b32 s6, s6, s8
.LBB190_109:                            ;   in Loop: Header=BB190_102 Depth=2
	s_or_b32 exec_lo, exec_lo, s7
	s_delay_alu instid0(SALU_CYCLE_1)
	s_and_b32 s6, s6, exec_lo
.LBB190_110:                            ;   in Loop: Header=BB190_102 Depth=2
	s_and_not1_saveexec_b32 s5, s5
	s_cbranch_execz .LBB190_101
; %bb.111:                              ;   in Loop: Header=BB190_102 Depth=2
	v_lshlrev_b32_e32 v6, 2, v5
	s_and_not1_b32 s6, s6, exec_lo
	s_delay_alu instid0(VALU_DEP_1)
	v_add3_u32 v6, 0, v6, 0x10000
	ds_add_f32 v6, v4
	s_branch .LBB190_101
.LBB190_112:
	s_or_b32 exec_lo, exec_lo, s35
	s_ashr_i32 s35, s34, 31
	s_mov_b32 s4, exec_lo
	s_lshl_b64 s[0:1], s[34:35], 3
	s_delay_alu instid0(SALU_CYCLE_1) | instskip(SKIP_4) | instid1(SALU_CYCLE_1)
	s_add_u32 s0, s42, s0
	s_addc_u32 s1, s43, s1
	s_load_b128 s[0:3], s[0:1], 0x0
	s_waitcnt lgkmcnt(0)
	s_sub_i32 s3, s2, s0
	v_cmpx_gt_i32_e64 s3, v0
	s_cbranch_execz .LBB190_122
; %bb.113:
	s_sub_u32 s4, s0, s46
	s_subb_u32 s5, s1, 0
	s_sub_i32 s0, s0, s2
	s_and_b32 s1, s3, 7
	s_cmp_lt_u32 s0, -7
	s_mov_b32 s8, 0
	s_cselect_b32 s2, -1, 0
	s_and_b32 s6, s3, -8
	s_cmp_lg_u32 s1, 0
	s_cselect_b32 s7, -1, 0
	s_branch .LBB190_115
.LBB190_114:                            ;   in Loop: Header=BB190_115 Depth=1
	s_delay_alu instid0(VALU_DEP_1) | instskip(SKIP_3) | instid1(VALU_DEP_3)
	v_lshlrev_b64 v[1:2], 2, v[1:2]
	v_add_nc_u32_e32 v0, 0x400, v0
	s_waitcnt lgkmcnt(1)
	v_add_nc_u32_e32 v6, s46, v4
	v_add_co_u32 v4, vcc_lo, s48, v1
	s_delay_alu instid0(VALU_DEP_4) | instskip(SKIP_2) | instid1(VALU_DEP_1)
	v_add_co_ci_u32_e32 v5, vcc_lo, s49, v2, vcc_lo
	v_cmp_le_i32_e32 vcc_lo, s3, v0
	v_add_co_u32 v1, s0, s50, v1
	v_add_co_ci_u32_e64 v2, s0, s51, v2, s0
	s_or_b32 s8, vcc_lo, s8
	global_store_b32 v[4:5], v6, off
	s_waitcnt lgkmcnt(0)
	global_store_b32 v[1:2], v3, off
	s_and_not1_b32 exec_lo, exec_lo, s8
	s_cbranch_execz .LBB190_122
.LBB190_115:                            ; =>This Loop Header: Depth=1
                                        ;     Child Loop BB190_117 Depth 2
                                        ;     Child Loop BB190_121 Depth 2
	v_lshl_add_u32 v1, v0, 2, 0
	s_and_not1_b32 vcc_lo, exec_lo, s2
	s_mov_b32 s0, 0
	s_delay_alu instid0(VALU_DEP_1)
	v_add_nc_u32_e32 v2, 0x10000, v1
	ds_load_b32 v4, v1
	ds_load_b32 v3, v2
	v_dual_mov_b32 v1, s4 :: v_dual_mov_b32 v2, s5
	s_cbranch_vccnz .LBB190_119
; %bb.116:                              ;   in Loop: Header=BB190_115 Depth=1
	v_dual_mov_b32 v1, s4 :: v_dual_mov_b32 v2, s5
	s_mov_b32 s9, 0
	s_mov_b32 s10, 0
.LBB190_117:                            ;   Parent Loop BB190_115 Depth=1
                                        ; =>  This Inner Loop Header: Depth=2
	s_delay_alu instid0(SALU_CYCLE_1)
	v_mov_b32_e32 v11, s10
	s_add_i32 s9, s9, 8
	s_add_i32 s10, s10, 32
	s_cmp_eq_u32 s6, s9
	ds_load_2addr_b32 v[5:6], v11 offset1:1
	ds_load_2addr_b32 v[7:8], v11 offset0:2 offset1:3
	ds_load_2addr_b32 v[9:10], v11 offset0:4 offset1:5
	;; [unrolled: 1-line block ×3, first 2 shown]
	s_waitcnt lgkmcnt(3)
	v_cmp_gt_i32_e32 vcc_lo, v4, v5
	v_cndmask_b32_e64 v5, 0, 1, vcc_lo
	v_cmp_gt_i32_e32 vcc_lo, v4, v6
	v_cndmask_b32_e64 v6, 0, 1, vcc_lo
	s_waitcnt lgkmcnt(2)
	v_cmp_gt_i32_e32 vcc_lo, v4, v7
	v_cndmask_b32_e64 v7, 0, 1, vcc_lo
	v_cmp_gt_i32_e32 vcc_lo, v4, v8
	v_cndmask_b32_e64 v8, 0, 1, vcc_lo
	s_waitcnt lgkmcnt(1)
	v_cmp_gt_i32_e32 vcc_lo, v4, v9
	v_cndmask_b32_e64 v9, 0, 1, vcc_lo
	v_add_co_u32 v1, vcc_lo, v1, v5
	v_add_co_ci_u32_e32 v2, vcc_lo, 0, v2, vcc_lo
	v_cmp_gt_i32_e32 vcc_lo, v4, v10
	s_delay_alu instid0(VALU_DEP_3) | instskip(NEXT) | instid1(VALU_DEP_1)
	v_add_co_u32 v1, s0, v1, v6
	v_add_co_ci_u32_e64 v2, s0, 0, v2, s0
	v_cndmask_b32_e64 v5, 0, 1, vcc_lo
	s_delay_alu instid0(VALU_DEP_3) | instskip(NEXT) | instid1(VALU_DEP_3)
	v_add_co_u32 v1, vcc_lo, v1, v7
	v_add_co_ci_u32_e32 v2, vcc_lo, 0, v2, vcc_lo
	s_waitcnt lgkmcnt(0)
	v_cmp_gt_i32_e32 vcc_lo, v4, v11
	s_delay_alu instid0(VALU_DEP_3) | instskip(NEXT) | instid1(VALU_DEP_1)
	v_add_co_u32 v1, s0, v1, v8
	v_add_co_ci_u32_e64 v2, s0, 0, v2, s0
	v_cndmask_b32_e64 v6, 0, 1, vcc_lo
	s_delay_alu instid0(VALU_DEP_3) | instskip(NEXT) | instid1(VALU_DEP_3)
	v_add_co_u32 v1, vcc_lo, v1, v9
	v_add_co_ci_u32_e32 v2, vcc_lo, 0, v2, vcc_lo
	v_cmp_gt_i32_e32 vcc_lo, v4, v12
	s_delay_alu instid0(VALU_DEP_3) | instskip(NEXT) | instid1(VALU_DEP_1)
	v_add_co_u32 v1, s0, v1, v5
	v_add_co_ci_u32_e64 v2, s0, 0, v2, s0
	v_cndmask_b32_e64 v5, 0, 1, vcc_lo
	s_delay_alu instid0(VALU_DEP_3) | instskip(NEXT) | instid1(VALU_DEP_3)
	v_add_co_u32 v1, vcc_lo, v1, v6
	v_add_co_ci_u32_e32 v2, vcc_lo, 0, v2, vcc_lo
	s_delay_alu instid0(VALU_DEP_2) | instskip(NEXT) | instid1(VALU_DEP_2)
	v_add_co_u32 v1, vcc_lo, v1, v5
	v_add_co_ci_u32_e32 v2, vcc_lo, 0, v2, vcc_lo
	s_cbranch_scc0 .LBB190_117
; %bb.118:                              ;   in Loop: Header=BB190_115 Depth=1
	s_mov_b32 s0, s6
.LBB190_119:                            ;   in Loop: Header=BB190_115 Depth=1
	s_and_not1_b32 vcc_lo, exec_lo, s7
	s_cbranch_vccnz .LBB190_114
; %bb.120:                              ;   in Loop: Header=BB190_115 Depth=1
	s_lshl_b32 s0, s0, 2
	s_mov_b32 s9, s1
	s_add_i32 s0, s0, 0
.LBB190_121:                            ;   Parent Loop BB190_115 Depth=1
                                        ; =>  This Inner Loop Header: Depth=2
	s_delay_alu instid0(SALU_CYCLE_1)
	v_mov_b32_e32 v5, s0
	s_add_i32 s9, s9, -1
	s_add_i32 s0, s0, 4
	s_cmp_lg_u32 s9, 0
	ds_load_b32 v5, v5
	s_waitcnt lgkmcnt(0)
	v_cmp_gt_i32_e32 vcc_lo, v4, v5
	v_cndmask_b32_e64 v5, 0, 1, vcc_lo
	s_delay_alu instid0(VALU_DEP_1)
	v_add_co_u32 v1, vcc_lo, v1, v5
	v_add_co_ci_u32_e32 v2, vcc_lo, 0, v2, vcc_lo
	s_cbranch_scc1 .LBB190_121
	s_branch .LBB190_114
.LBB190_122:
	s_nop 0
	s_sendmsg sendmsg(MSG_DEALLOC_VGPRS)
	s_endpgm
	.section	.rodata,"a",@progbits
	.p2align	6, 0x0
	.amdhsa_kernel _ZN9rocsparseL26csrgemm_fill_block_per_rowILj1024ELj64ELj16384ELj137ELj32ElifEEvT5_PKS1_S3_NS_24const_host_device_scalarIT6_EEPKT4_S3_PKS5_S9_S3_SB_S6_S9_S3_SB_S9_PS1_PS5_21rocsparse_index_base_SE_SE_SE_bbb
		.amdhsa_group_segment_fixed_size 0
		.amdhsa_private_segment_fixed_size 0
		.amdhsa_kernarg_size 156
		.amdhsa_user_sgpr_count 15
		.amdhsa_user_sgpr_dispatch_ptr 0
		.amdhsa_user_sgpr_queue_ptr 0
		.amdhsa_user_sgpr_kernarg_segment_ptr 1
		.amdhsa_user_sgpr_dispatch_id 0
		.amdhsa_user_sgpr_private_segment_size 0
		.amdhsa_wavefront_size32 1
		.amdhsa_uses_dynamic_stack 0
		.amdhsa_enable_private_segment 0
		.amdhsa_system_sgpr_workgroup_id_x 1
		.amdhsa_system_sgpr_workgroup_id_y 0
		.amdhsa_system_sgpr_workgroup_id_z 0
		.amdhsa_system_sgpr_workgroup_info 0
		.amdhsa_system_vgpr_workitem_id 0
		.amdhsa_next_free_vgpr 19
		.amdhsa_next_free_sgpr 76
		.amdhsa_reserve_vcc 1
		.amdhsa_float_round_mode_32 0
		.amdhsa_float_round_mode_16_64 0
		.amdhsa_float_denorm_mode_32 3
		.amdhsa_float_denorm_mode_16_64 3
		.amdhsa_dx10_clamp 1
		.amdhsa_ieee_mode 1
		.amdhsa_fp16_overflow 0
		.amdhsa_workgroup_processor_mode 1
		.amdhsa_memory_ordered 1
		.amdhsa_forward_progress 0
		.amdhsa_shared_vgpr_count 0
		.amdhsa_exception_fp_ieee_invalid_op 0
		.amdhsa_exception_fp_denorm_src 0
		.amdhsa_exception_fp_ieee_div_zero 0
		.amdhsa_exception_fp_ieee_overflow 0
		.amdhsa_exception_fp_ieee_underflow 0
		.amdhsa_exception_fp_ieee_inexact 0
		.amdhsa_exception_int_div_zero 0
	.end_amdhsa_kernel
	.section	.text._ZN9rocsparseL26csrgemm_fill_block_per_rowILj1024ELj64ELj16384ELj137ELj32ElifEEvT5_PKS1_S3_NS_24const_host_device_scalarIT6_EEPKT4_S3_PKS5_S9_S3_SB_S6_S9_S3_SB_S9_PS1_PS5_21rocsparse_index_base_SE_SE_SE_bbb,"axG",@progbits,_ZN9rocsparseL26csrgemm_fill_block_per_rowILj1024ELj64ELj16384ELj137ELj32ElifEEvT5_PKS1_S3_NS_24const_host_device_scalarIT6_EEPKT4_S3_PKS5_S9_S3_SB_S6_S9_S3_SB_S9_PS1_PS5_21rocsparse_index_base_SE_SE_SE_bbb,comdat
.Lfunc_end190:
	.size	_ZN9rocsparseL26csrgemm_fill_block_per_rowILj1024ELj64ELj16384ELj137ELj32ElifEEvT5_PKS1_S3_NS_24const_host_device_scalarIT6_EEPKT4_S3_PKS5_S9_S3_SB_S6_S9_S3_SB_S9_PS1_PS5_21rocsparse_index_base_SE_SE_SE_bbb, .Lfunc_end190-_ZN9rocsparseL26csrgemm_fill_block_per_rowILj1024ELj64ELj16384ELj137ELj32ElifEEvT5_PKS1_S3_NS_24const_host_device_scalarIT6_EEPKT4_S3_PKS5_S9_S3_SB_S6_S9_S3_SB_S9_PS1_PS5_21rocsparse_index_base_SE_SE_SE_bbb
                                        ; -- End function
	.section	.AMDGPU.csdata,"",@progbits
; Kernel info:
; codeLenInByte = 4676
; NumSgprs: 78
; NumVgprs: 19
; ScratchSize: 0
; MemoryBound: 0
; FloatMode: 240
; IeeeMode: 1
; LDSByteSize: 0 bytes/workgroup (compile time only)
; SGPRBlocks: 9
; VGPRBlocks: 2
; NumSGPRsForWavesPerEU: 78
; NumVGPRsForWavesPerEU: 19
; Occupancy: 16
; WaveLimiterHint : 1
; COMPUTE_PGM_RSRC2:SCRATCH_EN: 0
; COMPUTE_PGM_RSRC2:USER_SGPR: 15
; COMPUTE_PGM_RSRC2:TRAP_HANDLER: 0
; COMPUTE_PGM_RSRC2:TGID_X_EN: 1
; COMPUTE_PGM_RSRC2:TGID_Y_EN: 0
; COMPUTE_PGM_RSRC2:TGID_Z_EN: 0
; COMPUTE_PGM_RSRC2:TIDIG_COMP_CNT: 0
	.section	.text._ZN9rocsparseL26csrgemm_fill_block_per_rowILj1024ELj64ELj16384ELj137ELj64ElifEEvT5_PKS1_S3_NS_24const_host_device_scalarIT6_EEPKT4_S3_PKS5_S9_S3_SB_S6_S9_S3_SB_S9_PS1_PS5_21rocsparse_index_base_SE_SE_SE_bbb,"axG",@progbits,_ZN9rocsparseL26csrgemm_fill_block_per_rowILj1024ELj64ELj16384ELj137ELj64ElifEEvT5_PKS1_S3_NS_24const_host_device_scalarIT6_EEPKT4_S3_PKS5_S9_S3_SB_S6_S9_S3_SB_S9_PS1_PS5_21rocsparse_index_base_SE_SE_SE_bbb,comdat
	.globl	_ZN9rocsparseL26csrgemm_fill_block_per_rowILj1024ELj64ELj16384ELj137ELj64ElifEEvT5_PKS1_S3_NS_24const_host_device_scalarIT6_EEPKT4_S3_PKS5_S9_S3_SB_S6_S9_S3_SB_S9_PS1_PS5_21rocsparse_index_base_SE_SE_SE_bbb ; -- Begin function _ZN9rocsparseL26csrgemm_fill_block_per_rowILj1024ELj64ELj16384ELj137ELj64ElifEEvT5_PKS1_S3_NS_24const_host_device_scalarIT6_EEPKT4_S3_PKS5_S9_S3_SB_S6_S9_S3_SB_S9_PS1_PS5_21rocsparse_index_base_SE_SE_SE_bbb
	.p2align	8
	.type	_ZN9rocsparseL26csrgemm_fill_block_per_rowILj1024ELj64ELj16384ELj137ELj64ElifEEvT5_PKS1_S3_NS_24const_host_device_scalarIT6_EEPKT4_S3_PKS5_S9_S3_SB_S6_S9_S3_SB_S9_PS1_PS5_21rocsparse_index_base_SE_SE_SE_bbb,@function
_ZN9rocsparseL26csrgemm_fill_block_per_rowILj1024ELj64ELj16384ELj137ELj64ElifEEvT5_PKS1_S3_NS_24const_host_device_scalarIT6_EEPKT4_S3_PKS5_S9_S3_SB_S6_S9_S3_SB_S9_PS1_PS5_21rocsparse_index_base_SE_SE_SE_bbb: ; @_ZN9rocsparseL26csrgemm_fill_block_per_rowILj1024ELj64ELj16384ELj137ELj64ElifEEvT5_PKS1_S3_NS_24const_host_device_scalarIT6_EEPKT4_S3_PKS5_S9_S3_SB_S6_S9_S3_SB_S9_PS1_PS5_21rocsparse_index_base_SE_SE_SE_bbb
; %bb.0:
	s_clause 0x3
	s_load_b32 s12, s[0:1], 0x98
	s_load_b128 s[24:27], s[0:1], 0x88
	s_load_b64 s[4:5], s[0:1], 0x18
	s_load_b64 s[2:3], s[0:1], 0x50
	s_waitcnt lgkmcnt(0)
	s_bitcmp1_b32 s12, 0
	s_cselect_b32 s13, -1, 0
	s_bitcmp1_b32 s12, 16
	s_cselect_b32 s14, -1, 0
	s_xor_b32 s6, s13, -1
	s_delay_alu instid0(SALU_CYCLE_1) | instskip(NEXT) | instid1(SALU_CYCLE_1)
	s_or_b32 s6, s6, s14
	s_and_b32 vcc_lo, exec_lo, s6
	s_cbranch_vccnz .LBB191_2
; %bb.1:
	s_load_b32 s4, s[4:5], 0x0
	s_waitcnt lgkmcnt(0)
	v_mov_b32_e32 v13, s4
	s_branch .LBB191_3
.LBB191_2:
	v_cndmask_b32_e64 v13, 0, s4, s13
.LBB191_3:
	s_clause 0x4
	s_load_b128 s[28:31], s[0:1], 0x78
	s_load_b256 s[16:23], s[0:1], 0x58
	s_load_b128 s[36:39], s[0:1], 0x40
	s_load_b128 s[40:43], s[0:1], 0x8
	s_load_b256 s[4:11], s[0:1], 0x20
	s_bitcmp1_b32 s12, 8
	s_cselect_b32 s12, -1, 0
	s_delay_alu instid0(SALU_CYCLE_1) | instskip(NEXT) | instid1(SALU_CYCLE_1)
	s_xor_b32 s33, s12, -1
	s_or_b32 s14, s33, s14
	s_delay_alu instid0(SALU_CYCLE_1)
	s_and_b32 vcc_lo, exec_lo, s14
	s_cbranch_vccnz .LBB191_5
; %bb.4:
	s_load_b32 s2, s[2:3], 0x0
	s_waitcnt lgkmcnt(0)
	v_mov_b32_e32 v11, s2
	s_branch .LBB191_6
.LBB191_5:
	v_cndmask_b32_e64 v11, 0, s2, s12
.LBB191_6:
	s_load_b32 s33, s[0:1], 0x0
	v_lshl_add_u32 v9, v0, 2, 0
	v_or_b32_e32 v10, 0xfffffc00, v0
	v_mov_b32_e32 v1, 0
	s_mov_b32 s0, 0
	s_delay_alu instid0(VALU_DEP_3)
	v_mov_b32_e32 v2, v9
	s_waitcnt lgkmcnt(0)
	v_dual_mov_b32 v4, v10 :: v_dual_mov_b32 v3, s33
.LBB191_7:                              ; =>This Inner Loop Header: Depth=1
	s_delay_alu instid0(VALU_DEP_1) | instskip(NEXT) | instid1(VALU_DEP_3)
	v_add_nc_u32_e32 v4, 0x400, v4
	v_add_nc_u32_e32 v5, 0x10000, v2
	ds_store_b32 v2, v3
	v_add_nc_u32_e32 v2, 0x1000, v2
	v_cmp_lt_u32_e32 vcc_lo, 0x3bff, v4
	ds_store_b32 v5, v1
	s_or_b32 s0, vcc_lo, s0
	s_delay_alu instid0(SALU_CYCLE_1)
	s_and_not1_b32 exec_lo, exec_lo, s0
	s_cbranch_execnz .LBB191_7
; %bb.8:
	s_or_b32 exec_lo, exec_lo, s0
	s_waitcnt lgkmcnt(0)
	s_barrier
	buffer_gl0_inv
	s_load_b32 s0, s[40:41], 0x0
	s_mov_b32 s1, 0
	v_lshrrev_b32_e32 v12, 6, v0
	s_waitcnt lgkmcnt(0)
	s_add_i32 s0, s0, s15
	s_delay_alu instid0(SALU_CYCLE_1) | instskip(NEXT) | instid1(SALU_CYCLE_1)
	s_lshl_b64 s[0:1], s[0:1], 2
	s_add_u32 s0, s42, s0
	s_addc_u32 s1, s43, s1
	s_and_b32 vcc_lo, exec_lo, s13
	s_load_b32 s34, s[0:1], 0x0
	s_cbranch_vccz .LBB191_28
; %bb.9:
	s_waitcnt lgkmcnt(0)
	s_ashr_i32 s35, s34, 31
	s_delay_alu instid0(SALU_CYCLE_1) | instskip(NEXT) | instid1(SALU_CYCLE_1)
	s_lshl_b64 s[0:1], s[34:35], 3
	s_add_u32 s0, s4, s0
	s_addc_u32 s1, s5, s1
	v_sub_co_u32 v1, s4, v12, s24
	s_load_b128 s[0:3], s[0:1], 0x0
	v_sub_co_ci_u32_e64 v2, null, 0, 0, s4
	s_waitcnt lgkmcnt(0)
	s_delay_alu instid0(VALU_DEP_2) | instskip(NEXT) | instid1(VALU_DEP_2)
	v_add_co_u32 v1, vcc_lo, s0, v1
	v_add_co_ci_u32_e32 v2, vcc_lo, s1, v2, vcc_lo
	s_sub_u32 s0, s2, s24
	s_subb_u32 s1, s3, 0
	s_mov_b32 s2, exec_lo
	s_delay_alu instid0(VALU_DEP_1)
	v_cmpx_gt_i64_e64 s[0:1], v[1:2]
	s_cbranch_execz .LBB191_27
; %bb.10:
	v_and_b32_e32 v3, 63, v0
	s_mov_b32 s4, s25
	s_delay_alu instid0(VALU_DEP_1) | instskip(NEXT) | instid1(VALU_DEP_1)
	v_sub_co_u32 v14, s3, v3, s25
	v_sub_co_ci_u32_e64 v15, null, 0, 0, s3
	s_mov_b32 s3, 0
	s_branch .LBB191_12
.LBB191_11:                             ;   in Loop: Header=BB191_12 Depth=1
	s_or_b32 exec_lo, exec_lo, s5
	v_add_co_u32 v1, vcc_lo, v1, 16
	v_add_co_ci_u32_e32 v2, vcc_lo, 0, v2, vcc_lo
	s_delay_alu instid0(VALU_DEP_1) | instskip(SKIP_1) | instid1(SALU_CYCLE_1)
	v_cmp_le_i64_e32 vcc_lo, s[0:1], v[1:2]
	s_or_b32 s3, vcc_lo, s3
	s_and_not1_b32 exec_lo, exec_lo, s3
	s_cbranch_execz .LBB191_27
.LBB191_12:                             ; =>This Loop Header: Depth=1
                                        ;     Child Loop BB191_15 Depth 2
                                        ;       Child Loop BB191_17 Depth 3
	v_lshlrev_b64 v[7:8], 2, v[1:2]
	s_mov_b32 s5, exec_lo
	s_delay_alu instid0(VALU_DEP_1) | instskip(NEXT) | instid1(VALU_DEP_2)
	v_add_co_u32 v3, vcc_lo, s6, v7
	v_add_co_ci_u32_e32 v4, vcc_lo, s7, v8, vcc_lo
	global_load_b32 v3, v[3:4], off
	s_waitcnt vmcnt(0)
	v_subrev_nc_u32_e32 v3, s24, v3
	s_delay_alu instid0(VALU_DEP_1) | instskip(NEXT) | instid1(VALU_DEP_1)
	v_ashrrev_i32_e32 v4, 31, v3
	v_lshlrev_b64 v[3:4], 3, v[3:4]
	s_delay_alu instid0(VALU_DEP_1) | instskip(NEXT) | instid1(VALU_DEP_2)
	v_add_co_u32 v3, vcc_lo, s10, v3
	v_add_co_ci_u32_e32 v4, vcc_lo, s11, v4, vcc_lo
	global_load_b128 v[16:19], v[3:4], off
	s_waitcnt vmcnt(0)
	v_sub_co_u32 v3, vcc_lo, v18, s4
	v_subrev_co_ci_u32_e32 v4, vcc_lo, 0, v19, vcc_lo
	v_add_co_u32 v5, vcc_lo, v16, v14
	v_add_co_ci_u32_e32 v6, vcc_lo, v17, v15, vcc_lo
	s_delay_alu instid0(VALU_DEP_1)
	v_cmpx_lt_i64_e64 v[5:6], v[3:4]
	s_cbranch_execz .LBB191_11
; %bb.13:                               ;   in Loop: Header=BB191_12 Depth=1
	v_add_co_u32 v7, vcc_lo, s8, v7
	v_add_co_ci_u32_e32 v8, vcc_lo, s9, v8, vcc_lo
	s_mov_b32 s13, 0
	global_load_b32 v7, v[7:8], off
	s_waitcnt vmcnt(0)
	v_mul_f32_e32 v7, v13, v7
	s_branch .LBB191_15
.LBB191_14:                             ;   in Loop: Header=BB191_15 Depth=2
	s_or_b32 exec_lo, exec_lo, s14
	v_add_co_u32 v5, vcc_lo, v5, 64
	v_add_co_ci_u32_e32 v6, vcc_lo, 0, v6, vcc_lo
	s_delay_alu instid0(VALU_DEP_1) | instskip(SKIP_1) | instid1(SALU_CYCLE_1)
	v_cmp_ge_i64_e32 vcc_lo, v[5:6], v[3:4]
	s_or_b32 s13, vcc_lo, s13
	s_and_not1_b32 exec_lo, exec_lo, s13
	s_cbranch_execz .LBB191_11
.LBB191_15:                             ;   Parent Loop BB191_12 Depth=1
                                        ; =>  This Loop Header: Depth=2
                                        ;       Child Loop BB191_17 Depth 3
	v_lshlrev_b64 v[16:17], 2, v[5:6]
	s_mov_b32 s14, 0
	s_delay_alu instid0(VALU_DEP_1) | instskip(NEXT) | instid1(VALU_DEP_2)
	v_add_co_u32 v18, vcc_lo, s36, v16
	v_add_co_ci_u32_e32 v19, vcc_lo, s37, v17, vcc_lo
	v_add_co_u32 v16, vcc_lo, s38, v16
	v_add_co_ci_u32_e32 v17, vcc_lo, s39, v17, vcc_lo
	global_load_b32 v8, v[18:19], off
	global_load_b32 v16, v[16:17], off
	s_waitcnt vmcnt(1)
	v_subrev_nc_u32_e32 v8, s25, v8
	s_delay_alu instid0(VALU_DEP_1) | instskip(SKIP_1) | instid1(VALU_DEP_1)
	v_mul_lo_u32 v17, 0x89, v8
	s_waitcnt vmcnt(0)
	v_dual_mul_f32 v16, v7, v16 :: v_dual_and_b32 v17, 0x3fff, v17
	s_branch .LBB191_17
.LBB191_16:                             ;   in Loop: Header=BB191_17 Depth=3
	s_or_b32 exec_lo, exec_lo, s15
	s_xor_b32 s15, s35, -1
	s_delay_alu instid0(SALU_CYCLE_1) | instskip(NEXT) | instid1(SALU_CYCLE_1)
	s_and_b32 s15, exec_lo, s15
	s_or_b32 s14, s15, s14
	s_delay_alu instid0(SALU_CYCLE_1)
	s_and_not1_b32 exec_lo, exec_lo, s14
	s_cbranch_execz .LBB191_14
.LBB191_17:                             ;   Parent Loop BB191_12 Depth=1
                                        ;     Parent Loop BB191_15 Depth=2
                                        ; =>    This Inner Loop Header: Depth=3
	s_delay_alu instid0(VALU_DEP_1)
	v_lshl_add_u32 v18, v17, 2, 0
	s_mov_b32 s15, exec_lo
                                        ; implicit-def: $sgpr35
	ds_load_b32 v19, v18
	s_waitcnt lgkmcnt(0)
	v_cmpx_ne_u32_e64 v19, v8
	s_xor_b32 s15, exec_lo, s15
	s_cbranch_execz .LBB191_25
; %bb.18:                               ;   in Loop: Header=BB191_17 Depth=3
	s_mov_b32 s40, exec_lo
                                        ; implicit-def: $sgpr35
	v_cmpx_ne_u32_e64 s33, v19
	s_xor_b32 s40, exec_lo, s40
; %bb.19:                               ;   in Loop: Header=BB191_17 Depth=3
	v_add_nc_u32_e32 v17, 1, v17
	s_mov_b32 s35, -1
                                        ; implicit-def: $vgpr18
	s_delay_alu instid0(VALU_DEP_1)
	v_and_b32_e32 v17, 0x3fff, v17
; %bb.20:                               ;   in Loop: Header=BB191_17 Depth=3
	s_and_not1_saveexec_b32 s40, s40
	s_cbranch_execz .LBB191_24
; %bb.21:                               ;   in Loop: Header=BB191_17 Depth=3
	v_mov_b32_e32 v19, s33
	s_mov_b32 s41, -1
	s_mov_b32 s42, exec_lo
	ds_cmpstore_rtn_b32 v18, v18, v8, v19
	s_waitcnt lgkmcnt(0)
	v_cmpx_eq_u32_e64 s33, v18
	s_cbranch_execz .LBB191_23
; %bb.22:                               ;   in Loop: Header=BB191_17 Depth=3
	v_lshlrev_b32_e32 v18, 2, v17
	s_xor_b32 s41, exec_lo, -1
	s_delay_alu instid0(VALU_DEP_1)
	v_add3_u32 v18, 0, v18, 0x10000
	ds_add_f32 v18, v16
.LBB191_23:                             ;   in Loop: Header=BB191_17 Depth=3
	s_or_b32 exec_lo, exec_lo, s42
	s_delay_alu instid0(SALU_CYCLE_1) | instskip(SKIP_1) | instid1(SALU_CYCLE_1)
	s_and_not1_b32 s35, s35, exec_lo
	s_and_b32 s41, s41, exec_lo
	s_or_b32 s35, s35, s41
.LBB191_24:                             ;   in Loop: Header=BB191_17 Depth=3
	s_or_b32 exec_lo, exec_lo, s40
	s_delay_alu instid0(SALU_CYCLE_1)
	s_and_b32 s35, s35, exec_lo
.LBB191_25:                             ;   in Loop: Header=BB191_17 Depth=3
	s_and_not1_saveexec_b32 s15, s15
	s_cbranch_execz .LBB191_16
; %bb.26:                               ;   in Loop: Header=BB191_17 Depth=3
	v_lshlrev_b32_e32 v18, 2, v17
	s_and_not1_b32 s35, s35, exec_lo
	s_delay_alu instid0(VALU_DEP_1)
	v_add3_u32 v18, 0, v18, 0x10000
	ds_add_f32 v18, v16
	s_branch .LBB191_16
.LBB191_27:
	s_or_b32 exec_lo, exec_lo, s2
.LBB191_28:
	s_delay_alu instid0(SALU_CYCLE_1)
	s_and_not1_b32 vcc_lo, exec_lo, s12
	s_cbranch_vccnz .LBB191_31
; %bb.29:
	s_waitcnt lgkmcnt(0)
	s_ashr_i32 s35, s34, 31
	v_sub_co_u32 v1, s4, v0, s27
	s_lshl_b64 s[0:1], s[34:35], 3
	v_sub_co_ci_u32_e64 v2, null, 0, 0, s4
	s_add_u32 s0, s16, s0
	s_addc_u32 s1, s17, s1
	s_load_b128 s[0:3], s[0:1], 0x0
	s_waitcnt lgkmcnt(0)
	v_add_co_u32 v1, vcc_lo, s0, v1
	v_add_co_ci_u32_e32 v2, vcc_lo, s1, v2, vcc_lo
	s_sub_u32 s0, s2, s27
	s_subb_u32 s1, s3, 0
	s_mov_b32 s3, 0
	s_mov_b32 s2, exec_lo
	v_cmpx_gt_i64_e64 s[0:1], v[1:2]
	s_cbranch_execnz .LBB191_68
.LBB191_30:
	s_or_b32 exec_lo, exec_lo, s2
.LBB191_31:
	v_mbcnt_lo_u32_b32 v1, -1, 0
	v_lshlrev_b32_e32 v2, 2, v12
	s_add_i32 s38, 0, 0x2003c
	v_cmp_eq_u32_e32 vcc_lo, 0x3ff, v0
	v_cmp_lt_u32_e64 s0, 63, v0
	v_xor_b32_e32 v1, 63, v1
	v_add3_u32 v3, 0, 0x20000, v2
	v_cmp_lt_u32_e64 s1, 0x7f, v0
	v_cmp_lt_u32_e64 s2, 0xbf, v0
	;; [unrolled: 1-line block ×3, first 2 shown]
	v_lshrrev_b64 v[1:2], v1, -1
	v_cmp_lt_u32_e64 s4, 0x13f, v0
	v_cmp_lt_u32_e64 s5, 0x17f, v0
	;; [unrolled: 1-line block ×11, first 2 shown]
	v_mov_b32_e32 v2, 0
	v_mov_b32_e32 v4, s38
	s_mov_b32 s16, 0
	s_add_i32 s17, 0, 0x20000
	s_add_i32 s18, 0, 0x20004
	;; [unrolled: 1-line block ×15, first 2 shown]
	s_waitcnt lgkmcnt(0)
	s_barrier
	buffer_gl0_inv
	s_branch .LBB191_33
.LBB191_32:                             ;   in Loop: Header=BB191_33 Depth=1
	s_or_b32 exec_lo, exec_lo, s15
	s_waitcnt lgkmcnt(0)
	s_barrier
	buffer_gl0_inv
	ds_load_b32 v5, v4
	v_add_nc_u32_e32 v10, 0x400, v10
	v_add_nc_u32_e32 v9, 0x1000, v9
	s_delay_alu instid0(VALU_DEP_2) | instskip(NEXT) | instid1(VALU_DEP_1)
	v_cmp_lt_u32_e64 s15, 0x3bff, v10
	s_or_b32 s16, s15, s16
	s_waitcnt lgkmcnt(0)
	v_add_nc_u32_e32 v2, v5, v2
	s_and_not1_b32 exec_lo, exec_lo, s16
	s_cbranch_execz .LBB191_80
.LBB191_33:                             ; =>This Inner Loop Header: Depth=1
	ds_load_b32 v5, v9
	v_add_nc_u32_e32 v6, 0x10000, v9
	ds_load_b32 v6, v6
	s_waitcnt lgkmcnt(0)
	s_barrier
	buffer_gl0_inv
	v_cmp_gt_i32_e64 s15, s33, v5
	s_delay_alu instid0(VALU_DEP_1) | instskip(NEXT) | instid1(SALU_CYCLE_1)
	s_bcnt1_i32_b32 s43, s15
	v_dual_mov_b32 v8, s43 :: v_dual_and_b32 v7, s15, v1
	s_delay_alu instid0(VALU_DEP_1)
	v_bcnt_u32_b32 v7, v7, 0
	ds_store_b32 v3, v8
	s_waitcnt lgkmcnt(0)
	s_barrier
	buffer_gl0_inv
	s_and_saveexec_b32 s43, s0
	s_cbranch_execnz .LBB191_50
; %bb.34:                               ;   in Loop: Header=BB191_33 Depth=1
	s_or_b32 exec_lo, exec_lo, s43
	s_and_saveexec_b32 s43, s1
	s_cbranch_execnz .LBB191_51
.LBB191_35:                             ;   in Loop: Header=BB191_33 Depth=1
	s_or_b32 exec_lo, exec_lo, s43
	s_and_saveexec_b32 s43, s2
	s_cbranch_execnz .LBB191_52
.LBB191_36:                             ;   in Loop: Header=BB191_33 Depth=1
	s_or_b32 exec_lo, exec_lo, s43
	s_and_saveexec_b32 s43, s3
	s_cbranch_execnz .LBB191_53
.LBB191_37:                             ;   in Loop: Header=BB191_33 Depth=1
	s_or_b32 exec_lo, exec_lo, s43
	s_and_saveexec_b32 s43, s4
	s_cbranch_execnz .LBB191_54
.LBB191_38:                             ;   in Loop: Header=BB191_33 Depth=1
	s_or_b32 exec_lo, exec_lo, s43
	s_and_saveexec_b32 s43, s5
	s_cbranch_execnz .LBB191_55
.LBB191_39:                             ;   in Loop: Header=BB191_33 Depth=1
	s_or_b32 exec_lo, exec_lo, s43
	s_and_saveexec_b32 s43, s6
	s_cbranch_execnz .LBB191_56
.LBB191_40:                             ;   in Loop: Header=BB191_33 Depth=1
	s_or_b32 exec_lo, exec_lo, s43
	s_and_saveexec_b32 s43, s7
	s_cbranch_execnz .LBB191_57
.LBB191_41:                             ;   in Loop: Header=BB191_33 Depth=1
	s_or_b32 exec_lo, exec_lo, s43
	s_and_saveexec_b32 s43, s8
	s_cbranch_execnz .LBB191_58
.LBB191_42:                             ;   in Loop: Header=BB191_33 Depth=1
	s_or_b32 exec_lo, exec_lo, s43
	s_and_saveexec_b32 s43, s9
	s_cbranch_execnz .LBB191_59
.LBB191_43:                             ;   in Loop: Header=BB191_33 Depth=1
	s_or_b32 exec_lo, exec_lo, s43
	s_and_saveexec_b32 s43, s10
	s_cbranch_execnz .LBB191_60
.LBB191_44:                             ;   in Loop: Header=BB191_33 Depth=1
	s_or_b32 exec_lo, exec_lo, s43
	s_and_saveexec_b32 s43, s11
	s_cbranch_execnz .LBB191_61
.LBB191_45:                             ;   in Loop: Header=BB191_33 Depth=1
	s_or_b32 exec_lo, exec_lo, s43
	s_and_saveexec_b32 s43, s12
	s_cbranch_execnz .LBB191_62
.LBB191_46:                             ;   in Loop: Header=BB191_33 Depth=1
	s_or_b32 exec_lo, exec_lo, s43
	s_and_saveexec_b32 s43, s13
	s_cbranch_execnz .LBB191_63
.LBB191_47:                             ;   in Loop: Header=BB191_33 Depth=1
	s_or_b32 exec_lo, exec_lo, s43
	s_and_saveexec_b32 s43, s14
	s_cbranch_execnz .LBB191_64
.LBB191_48:                             ;   in Loop: Header=BB191_33 Depth=1
	s_or_b32 exec_lo, exec_lo, s43
	s_and_saveexec_b32 s43, s15
	s_cbranch_execnz .LBB191_65
.LBB191_49:                             ;   in Loop: Header=BB191_33 Depth=1
	s_or_b32 exec_lo, exec_lo, s43
	s_and_saveexec_b32 s15, vcc_lo
	s_cbranch_execz .LBB191_32
	s_branch .LBB191_66
.LBB191_50:                             ;   in Loop: Header=BB191_33 Depth=1
	v_mov_b32_e32 v8, s17
	ds_load_b32 v8, v8
	s_waitcnt lgkmcnt(0)
	v_add_nc_u32_e32 v7, v8, v7
	s_or_b32 exec_lo, exec_lo, s43
	s_and_saveexec_b32 s43, s1
	s_cbranch_execz .LBB191_35
.LBB191_51:                             ;   in Loop: Header=BB191_33 Depth=1
	v_mov_b32_e32 v8, s18
	ds_load_b32 v8, v8
	s_waitcnt lgkmcnt(0)
	v_add_nc_u32_e32 v7, v8, v7
	s_or_b32 exec_lo, exec_lo, s43
	s_and_saveexec_b32 s43, s2
	s_cbranch_execz .LBB191_36
.LBB191_52:                             ;   in Loop: Header=BB191_33 Depth=1
	v_mov_b32_e32 v8, s19
	ds_load_b32 v8, v8
	s_waitcnt lgkmcnt(0)
	v_add_nc_u32_e32 v7, v8, v7
	s_or_b32 exec_lo, exec_lo, s43
	s_and_saveexec_b32 s43, s3
	s_cbranch_execz .LBB191_37
.LBB191_53:                             ;   in Loop: Header=BB191_33 Depth=1
	v_mov_b32_e32 v8, s20
	ds_load_b32 v8, v8
	s_waitcnt lgkmcnt(0)
	v_add_nc_u32_e32 v7, v8, v7
	s_or_b32 exec_lo, exec_lo, s43
	s_and_saveexec_b32 s43, s4
	s_cbranch_execz .LBB191_38
.LBB191_54:                             ;   in Loop: Header=BB191_33 Depth=1
	v_mov_b32_e32 v8, s21
	ds_load_b32 v8, v8
	s_waitcnt lgkmcnt(0)
	v_add_nc_u32_e32 v7, v8, v7
	s_or_b32 exec_lo, exec_lo, s43
	s_and_saveexec_b32 s43, s5
	s_cbranch_execz .LBB191_39
.LBB191_55:                             ;   in Loop: Header=BB191_33 Depth=1
	v_mov_b32_e32 v8, s24
	ds_load_b32 v8, v8
	s_waitcnt lgkmcnt(0)
	v_add_nc_u32_e32 v7, v8, v7
	s_or_b32 exec_lo, exec_lo, s43
	s_and_saveexec_b32 s43, s6
	s_cbranch_execz .LBB191_40
.LBB191_56:                             ;   in Loop: Header=BB191_33 Depth=1
	v_mov_b32_e32 v8, s25
	ds_load_b32 v8, v8
	s_waitcnt lgkmcnt(0)
	v_add_nc_u32_e32 v7, v8, v7
	s_or_b32 exec_lo, exec_lo, s43
	s_and_saveexec_b32 s43, s7
	s_cbranch_execz .LBB191_41
.LBB191_57:                             ;   in Loop: Header=BB191_33 Depth=1
	v_mov_b32_e32 v8, s27
	ds_load_b32 v8, v8
	s_waitcnt lgkmcnt(0)
	v_add_nc_u32_e32 v7, v8, v7
	s_or_b32 exec_lo, exec_lo, s43
	s_and_saveexec_b32 s43, s8
	s_cbranch_execz .LBB191_42
.LBB191_58:                             ;   in Loop: Header=BB191_33 Depth=1
	v_mov_b32_e32 v8, s35
	ds_load_b32 v8, v8
	s_waitcnt lgkmcnt(0)
	v_add_nc_u32_e32 v7, v8, v7
	s_or_b32 exec_lo, exec_lo, s43
	s_and_saveexec_b32 s43, s9
	s_cbranch_execz .LBB191_43
.LBB191_59:                             ;   in Loop: Header=BB191_33 Depth=1
	v_mov_b32_e32 v8, s36
	ds_load_b32 v8, v8
	s_waitcnt lgkmcnt(0)
	v_add_nc_u32_e32 v7, v8, v7
	s_or_b32 exec_lo, exec_lo, s43
	s_and_saveexec_b32 s43, s10
	s_cbranch_execz .LBB191_44
.LBB191_60:                             ;   in Loop: Header=BB191_33 Depth=1
	v_mov_b32_e32 v8, s37
	ds_load_b32 v8, v8
	s_waitcnt lgkmcnt(0)
	v_add_nc_u32_e32 v7, v8, v7
	s_or_b32 exec_lo, exec_lo, s43
	s_and_saveexec_b32 s43, s11
	s_cbranch_execz .LBB191_45
.LBB191_61:                             ;   in Loop: Header=BB191_33 Depth=1
	v_mov_b32_e32 v8, s39
	ds_load_b32 v8, v8
	s_waitcnt lgkmcnt(0)
	v_add_nc_u32_e32 v7, v8, v7
	s_or_b32 exec_lo, exec_lo, s43
	s_and_saveexec_b32 s43, s12
	s_cbranch_execz .LBB191_46
.LBB191_62:                             ;   in Loop: Header=BB191_33 Depth=1
	v_mov_b32_e32 v8, s40
	ds_load_b32 v8, v8
	s_waitcnt lgkmcnt(0)
	v_add_nc_u32_e32 v7, v8, v7
	s_or_b32 exec_lo, exec_lo, s43
	s_and_saveexec_b32 s43, s13
	s_cbranch_execz .LBB191_47
.LBB191_63:                             ;   in Loop: Header=BB191_33 Depth=1
	v_mov_b32_e32 v8, s41
	ds_load_b32 v8, v8
	s_waitcnt lgkmcnt(0)
	v_add_nc_u32_e32 v7, v8, v7
	s_or_b32 exec_lo, exec_lo, s43
	s_and_saveexec_b32 s43, s14
	s_cbranch_execz .LBB191_48
.LBB191_64:                             ;   in Loop: Header=BB191_33 Depth=1
	v_mov_b32_e32 v8, s42
	ds_load_b32 v8, v8
	s_waitcnt lgkmcnt(0)
	v_add_nc_u32_e32 v7, v8, v7
	s_or_b32 exec_lo, exec_lo, s43
	s_and_saveexec_b32 s43, s15
	s_cbranch_execz .LBB191_49
.LBB191_65:                             ;   in Loop: Header=BB191_33 Depth=1
	s_delay_alu instid0(VALU_DEP_1) | instskip(NEXT) | instid1(VALU_DEP_1)
	v_add3_u32 v8, v2, -1, v7
	v_lshl_add_u32 v8, v8, 2, 0
	s_delay_alu instid0(VALU_DEP_1)
	v_add_nc_u32_e32 v11, 0x10000, v8
	ds_store_b32 v8, v5
	ds_store_b32 v11, v6
	s_or_b32 exec_lo, exec_lo, s43
	s_and_saveexec_b32 s15, vcc_lo
	s_cbranch_execz .LBB191_32
.LBB191_66:                             ;   in Loop: Header=BB191_33 Depth=1
	v_mov_b32_e32 v5, s38
	ds_store_b32 v5, v7
	s_branch .LBB191_32
.LBB191_67:                             ;   in Loop: Header=BB191_68 Depth=1
	s_or_b32 exec_lo, exec_lo, s4
	v_add_co_u32 v1, vcc_lo, 0x400, v1
	v_add_co_ci_u32_e32 v2, vcc_lo, 0, v2, vcc_lo
	s_delay_alu instid0(VALU_DEP_1) | instskip(SKIP_1) | instid1(SALU_CYCLE_1)
	v_cmp_le_i64_e32 vcc_lo, s[0:1], v[1:2]
	s_or_b32 s3, vcc_lo, s3
	s_and_not1_b32 exec_lo, exec_lo, s3
	s_cbranch_execz .LBB191_30
.LBB191_68:                             ; =>This Loop Header: Depth=1
                                        ;     Child Loop BB191_70 Depth 2
	v_lshlrev_b64 v[3:4], 2, v[1:2]
	s_mov_b32 s4, 0
	s_delay_alu instid0(VALU_DEP_1) | instskip(NEXT) | instid1(VALU_DEP_2)
	v_add_co_u32 v5, vcc_lo, s18, v3
	v_add_co_ci_u32_e32 v6, vcc_lo, s19, v4, vcc_lo
	v_add_co_u32 v3, vcc_lo, s20, v3
	v_add_co_ci_u32_e32 v4, vcc_lo, s21, v4, vcc_lo
	global_load_b32 v5, v[5:6], off
	global_load_b32 v4, v[3:4], off
	s_waitcnt vmcnt(1)
	v_subrev_nc_u32_e32 v3, s27, v5
	s_delay_alu instid0(VALU_DEP_1) | instskip(SKIP_1) | instid1(VALU_DEP_1)
	v_mul_lo_u32 v5, 0x89, v3
	s_waitcnt vmcnt(0)
	v_dual_mul_f32 v4, v11, v4 :: v_dual_and_b32 v5, 0x3fff, v5
	s_branch .LBB191_70
.LBB191_69:                             ;   in Loop: Header=BB191_70 Depth=2
	s_or_b32 exec_lo, exec_lo, s5
	s_xor_b32 s5, s6, -1
	s_delay_alu instid0(SALU_CYCLE_1) | instskip(NEXT) | instid1(SALU_CYCLE_1)
	s_and_b32 s5, exec_lo, s5
	s_or_b32 s4, s5, s4
	s_delay_alu instid0(SALU_CYCLE_1)
	s_and_not1_b32 exec_lo, exec_lo, s4
	s_cbranch_execz .LBB191_67
.LBB191_70:                             ;   Parent Loop BB191_68 Depth=1
                                        ; =>  This Inner Loop Header: Depth=2
	s_delay_alu instid0(VALU_DEP_1)
	v_lshl_add_u32 v6, v5, 2, 0
	s_mov_b32 s5, exec_lo
                                        ; implicit-def: $sgpr6
	ds_load_b32 v7, v6
	s_waitcnt lgkmcnt(0)
	v_cmpx_ne_u32_e64 v7, v3
	s_xor_b32 s5, exec_lo, s5
	s_cbranch_execz .LBB191_78
; %bb.71:                               ;   in Loop: Header=BB191_70 Depth=2
	s_mov_b32 s7, exec_lo
                                        ; implicit-def: $sgpr6
	v_cmpx_ne_u32_e64 s33, v7
	s_xor_b32 s7, exec_lo, s7
; %bb.72:                               ;   in Loop: Header=BB191_70 Depth=2
	v_add_nc_u32_e32 v5, 1, v5
	s_mov_b32 s6, -1
                                        ; implicit-def: $vgpr6
	s_delay_alu instid0(VALU_DEP_1)
	v_and_b32_e32 v5, 0x3fff, v5
; %bb.73:                               ;   in Loop: Header=BB191_70 Depth=2
	s_and_not1_saveexec_b32 s7, s7
	s_cbranch_execz .LBB191_77
; %bb.74:                               ;   in Loop: Header=BB191_70 Depth=2
	v_mov_b32_e32 v7, s33
	s_mov_b32 s8, -1
	s_mov_b32 s9, exec_lo
	ds_cmpstore_rtn_b32 v6, v6, v3, v7
	s_waitcnt lgkmcnt(0)
	v_cmpx_eq_u32_e64 s33, v6
	s_cbranch_execz .LBB191_76
; %bb.75:                               ;   in Loop: Header=BB191_70 Depth=2
	v_lshlrev_b32_e32 v6, 2, v5
	s_xor_b32 s8, exec_lo, -1
	s_delay_alu instid0(VALU_DEP_1)
	v_add3_u32 v6, 0, v6, 0x10000
	ds_add_f32 v6, v4
.LBB191_76:                             ;   in Loop: Header=BB191_70 Depth=2
	s_or_b32 exec_lo, exec_lo, s9
	s_delay_alu instid0(SALU_CYCLE_1) | instskip(SKIP_1) | instid1(SALU_CYCLE_1)
	s_and_not1_b32 s6, s6, exec_lo
	s_and_b32 s8, s8, exec_lo
	s_or_b32 s6, s6, s8
.LBB191_77:                             ;   in Loop: Header=BB191_70 Depth=2
	s_or_b32 exec_lo, exec_lo, s7
	s_delay_alu instid0(SALU_CYCLE_1)
	s_and_b32 s6, s6, exec_lo
.LBB191_78:                             ;   in Loop: Header=BB191_70 Depth=2
	s_and_not1_saveexec_b32 s5, s5
	s_cbranch_execz .LBB191_69
; %bb.79:                               ;   in Loop: Header=BB191_70 Depth=2
	v_lshlrev_b32_e32 v6, 2, v5
	s_and_not1_b32 s6, s6, exec_lo
	s_delay_alu instid0(VALU_DEP_1)
	v_add3_u32 v6, 0, v6, 0x10000
	ds_add_f32 v6, v4
	s_branch .LBB191_69
.LBB191_80:
	s_or_b32 exec_lo, exec_lo, s16
	s_ashr_i32 s35, s34, 31
	s_mov_b32 s4, exec_lo
	s_lshl_b64 s[0:1], s[34:35], 3
	s_delay_alu instid0(SALU_CYCLE_1) | instskip(SKIP_4) | instid1(SALU_CYCLE_1)
	s_add_u32 s0, s22, s0
	s_addc_u32 s1, s23, s1
	s_load_b128 s[0:3], s[0:1], 0x0
	s_waitcnt lgkmcnt(0)
	s_sub_i32 s3, s2, s0
	v_cmpx_gt_i32_e64 s3, v0
	s_cbranch_execz .LBB191_90
; %bb.81:
	s_sub_u32 s4, s0, s26
	s_subb_u32 s5, s1, 0
	s_sub_i32 s0, s0, s2
	s_and_b32 s1, s3, 7
	s_cmp_lt_u32 s0, -7
	s_mov_b32 s8, 0
	s_cselect_b32 s2, -1, 0
	s_and_b32 s6, s3, -8
	s_cmp_lg_u32 s1, 0
	s_cselect_b32 s7, -1, 0
	s_branch .LBB191_83
.LBB191_82:                             ;   in Loop: Header=BB191_83 Depth=1
	s_delay_alu instid0(VALU_DEP_1) | instskip(SKIP_3) | instid1(VALU_DEP_3)
	v_lshlrev_b64 v[1:2], 2, v[1:2]
	v_add_nc_u32_e32 v0, 0x400, v0
	s_waitcnt lgkmcnt(1)
	v_add_nc_u32_e32 v6, s26, v4
	v_add_co_u32 v4, vcc_lo, s28, v1
	s_delay_alu instid0(VALU_DEP_4) | instskip(SKIP_2) | instid1(VALU_DEP_1)
	v_add_co_ci_u32_e32 v5, vcc_lo, s29, v2, vcc_lo
	v_cmp_le_i32_e32 vcc_lo, s3, v0
	v_add_co_u32 v1, s0, s30, v1
	v_add_co_ci_u32_e64 v2, s0, s31, v2, s0
	s_or_b32 s8, vcc_lo, s8
	global_store_b32 v[4:5], v6, off
	s_waitcnt lgkmcnt(0)
	global_store_b32 v[1:2], v3, off
	s_and_not1_b32 exec_lo, exec_lo, s8
	s_cbranch_execz .LBB191_90
.LBB191_83:                             ; =>This Loop Header: Depth=1
                                        ;     Child Loop BB191_85 Depth 2
                                        ;     Child Loop BB191_89 Depth 2
	v_lshl_add_u32 v1, v0, 2, 0
	s_and_not1_b32 vcc_lo, exec_lo, s2
	s_mov_b32 s0, 0
	s_delay_alu instid0(VALU_DEP_1)
	v_add_nc_u32_e32 v2, 0x10000, v1
	ds_load_b32 v4, v1
	ds_load_b32 v3, v2
	v_dual_mov_b32 v1, s4 :: v_dual_mov_b32 v2, s5
	s_cbranch_vccnz .LBB191_87
; %bb.84:                               ;   in Loop: Header=BB191_83 Depth=1
	v_dual_mov_b32 v1, s4 :: v_dual_mov_b32 v2, s5
	s_mov_b32 s9, 0
	s_mov_b32 s10, 0
.LBB191_85:                             ;   Parent Loop BB191_83 Depth=1
                                        ; =>  This Inner Loop Header: Depth=2
	s_delay_alu instid0(SALU_CYCLE_1)
	v_mov_b32_e32 v11, s10
	s_add_i32 s9, s9, 8
	s_add_i32 s10, s10, 32
	s_cmp_eq_u32 s6, s9
	ds_load_2addr_b32 v[5:6], v11 offset1:1
	ds_load_2addr_b32 v[7:8], v11 offset0:2 offset1:3
	ds_load_2addr_b32 v[9:10], v11 offset0:4 offset1:5
	ds_load_2addr_b32 v[11:12], v11 offset0:6 offset1:7
	s_waitcnt lgkmcnt(3)
	v_cmp_gt_i32_e32 vcc_lo, v4, v5
	v_cndmask_b32_e64 v5, 0, 1, vcc_lo
	v_cmp_gt_i32_e32 vcc_lo, v4, v6
	v_cndmask_b32_e64 v6, 0, 1, vcc_lo
	s_waitcnt lgkmcnt(2)
	v_cmp_gt_i32_e32 vcc_lo, v4, v7
	v_cndmask_b32_e64 v7, 0, 1, vcc_lo
	v_cmp_gt_i32_e32 vcc_lo, v4, v8
	v_cndmask_b32_e64 v8, 0, 1, vcc_lo
	s_waitcnt lgkmcnt(1)
	v_cmp_gt_i32_e32 vcc_lo, v4, v9
	v_cndmask_b32_e64 v9, 0, 1, vcc_lo
	v_add_co_u32 v1, vcc_lo, v1, v5
	v_add_co_ci_u32_e32 v2, vcc_lo, 0, v2, vcc_lo
	v_cmp_gt_i32_e32 vcc_lo, v4, v10
	s_delay_alu instid0(VALU_DEP_3) | instskip(NEXT) | instid1(VALU_DEP_1)
	v_add_co_u32 v1, s0, v1, v6
	v_add_co_ci_u32_e64 v2, s0, 0, v2, s0
	v_cndmask_b32_e64 v5, 0, 1, vcc_lo
	s_delay_alu instid0(VALU_DEP_3) | instskip(NEXT) | instid1(VALU_DEP_3)
	v_add_co_u32 v1, vcc_lo, v1, v7
	v_add_co_ci_u32_e32 v2, vcc_lo, 0, v2, vcc_lo
	s_waitcnt lgkmcnt(0)
	v_cmp_gt_i32_e32 vcc_lo, v4, v11
	s_delay_alu instid0(VALU_DEP_3) | instskip(NEXT) | instid1(VALU_DEP_1)
	v_add_co_u32 v1, s0, v1, v8
	v_add_co_ci_u32_e64 v2, s0, 0, v2, s0
	v_cndmask_b32_e64 v6, 0, 1, vcc_lo
	s_delay_alu instid0(VALU_DEP_3) | instskip(NEXT) | instid1(VALU_DEP_3)
	v_add_co_u32 v1, vcc_lo, v1, v9
	v_add_co_ci_u32_e32 v2, vcc_lo, 0, v2, vcc_lo
	v_cmp_gt_i32_e32 vcc_lo, v4, v12
	s_delay_alu instid0(VALU_DEP_3) | instskip(NEXT) | instid1(VALU_DEP_1)
	v_add_co_u32 v1, s0, v1, v5
	v_add_co_ci_u32_e64 v2, s0, 0, v2, s0
	v_cndmask_b32_e64 v5, 0, 1, vcc_lo
	s_delay_alu instid0(VALU_DEP_3) | instskip(NEXT) | instid1(VALU_DEP_3)
	v_add_co_u32 v1, vcc_lo, v1, v6
	v_add_co_ci_u32_e32 v2, vcc_lo, 0, v2, vcc_lo
	s_delay_alu instid0(VALU_DEP_2) | instskip(NEXT) | instid1(VALU_DEP_2)
	v_add_co_u32 v1, vcc_lo, v1, v5
	v_add_co_ci_u32_e32 v2, vcc_lo, 0, v2, vcc_lo
	s_cbranch_scc0 .LBB191_85
; %bb.86:                               ;   in Loop: Header=BB191_83 Depth=1
	s_mov_b32 s0, s6
.LBB191_87:                             ;   in Loop: Header=BB191_83 Depth=1
	s_and_not1_b32 vcc_lo, exec_lo, s7
	s_cbranch_vccnz .LBB191_82
; %bb.88:                               ;   in Loop: Header=BB191_83 Depth=1
	s_lshl_b32 s0, s0, 2
	s_mov_b32 s9, s1
	s_add_i32 s0, s0, 0
.LBB191_89:                             ;   Parent Loop BB191_83 Depth=1
                                        ; =>  This Inner Loop Header: Depth=2
	s_delay_alu instid0(SALU_CYCLE_1)
	v_mov_b32_e32 v5, s0
	s_add_i32 s9, s9, -1
	s_add_i32 s0, s0, 4
	s_cmp_lg_u32 s9, 0
	ds_load_b32 v5, v5
	s_waitcnt lgkmcnt(0)
	v_cmp_gt_i32_e32 vcc_lo, v4, v5
	v_cndmask_b32_e64 v5, 0, 1, vcc_lo
	s_delay_alu instid0(VALU_DEP_1)
	v_add_co_u32 v1, vcc_lo, v1, v5
	v_add_co_ci_u32_e32 v2, vcc_lo, 0, v2, vcc_lo
	s_cbranch_scc1 .LBB191_89
	s_branch .LBB191_82
.LBB191_90:
	s_nop 0
	s_sendmsg sendmsg(MSG_DEALLOC_VGPRS)
	s_endpgm
	.section	.rodata,"a",@progbits
	.p2align	6, 0x0
	.amdhsa_kernel _ZN9rocsparseL26csrgemm_fill_block_per_rowILj1024ELj64ELj16384ELj137ELj64ElifEEvT5_PKS1_S3_NS_24const_host_device_scalarIT6_EEPKT4_S3_PKS5_S9_S3_SB_S6_S9_S3_SB_S9_PS1_PS5_21rocsparse_index_base_SE_SE_SE_bbb
		.amdhsa_group_segment_fixed_size 0
		.amdhsa_private_segment_fixed_size 0
		.amdhsa_kernarg_size 156
		.amdhsa_user_sgpr_count 15
		.amdhsa_user_sgpr_dispatch_ptr 0
		.amdhsa_user_sgpr_queue_ptr 0
		.amdhsa_user_sgpr_kernarg_segment_ptr 1
		.amdhsa_user_sgpr_dispatch_id 0
		.amdhsa_user_sgpr_private_segment_size 0
		.amdhsa_wavefront_size32 1
		.amdhsa_uses_dynamic_stack 0
		.amdhsa_enable_private_segment 0
		.amdhsa_system_sgpr_workgroup_id_x 1
		.amdhsa_system_sgpr_workgroup_id_y 0
		.amdhsa_system_sgpr_workgroup_id_z 0
		.amdhsa_system_sgpr_workgroup_info 0
		.amdhsa_system_vgpr_workitem_id 0
		.amdhsa_next_free_vgpr 20
		.amdhsa_next_free_sgpr 44
		.amdhsa_reserve_vcc 1
		.amdhsa_float_round_mode_32 0
		.amdhsa_float_round_mode_16_64 0
		.amdhsa_float_denorm_mode_32 3
		.amdhsa_float_denorm_mode_16_64 3
		.amdhsa_dx10_clamp 1
		.amdhsa_ieee_mode 1
		.amdhsa_fp16_overflow 0
		.amdhsa_workgroup_processor_mode 1
		.amdhsa_memory_ordered 1
		.amdhsa_forward_progress 0
		.amdhsa_shared_vgpr_count 0
		.amdhsa_exception_fp_ieee_invalid_op 0
		.amdhsa_exception_fp_denorm_src 0
		.amdhsa_exception_fp_ieee_div_zero 0
		.amdhsa_exception_fp_ieee_overflow 0
		.amdhsa_exception_fp_ieee_underflow 0
		.amdhsa_exception_fp_ieee_inexact 0
		.amdhsa_exception_int_div_zero 0
	.end_amdhsa_kernel
	.section	.text._ZN9rocsparseL26csrgemm_fill_block_per_rowILj1024ELj64ELj16384ELj137ELj64ElifEEvT5_PKS1_S3_NS_24const_host_device_scalarIT6_EEPKT4_S3_PKS5_S9_S3_SB_S6_S9_S3_SB_S9_PS1_PS5_21rocsparse_index_base_SE_SE_SE_bbb,"axG",@progbits,_ZN9rocsparseL26csrgemm_fill_block_per_rowILj1024ELj64ELj16384ELj137ELj64ElifEEvT5_PKS1_S3_NS_24const_host_device_scalarIT6_EEPKT4_S3_PKS5_S9_S3_SB_S6_S9_S3_SB_S9_PS1_PS5_21rocsparse_index_base_SE_SE_SE_bbb,comdat
.Lfunc_end191:
	.size	_ZN9rocsparseL26csrgemm_fill_block_per_rowILj1024ELj64ELj16384ELj137ELj64ElifEEvT5_PKS1_S3_NS_24const_host_device_scalarIT6_EEPKT4_S3_PKS5_S9_S3_SB_S6_S9_S3_SB_S9_PS1_PS5_21rocsparse_index_base_SE_SE_SE_bbb, .Lfunc_end191-_ZN9rocsparseL26csrgemm_fill_block_per_rowILj1024ELj64ELj16384ELj137ELj64ElifEEvT5_PKS1_S3_NS_24const_host_device_scalarIT6_EEPKT4_S3_PKS5_S9_S3_SB_S6_S9_S3_SB_S9_PS1_PS5_21rocsparse_index_base_SE_SE_SE_bbb
                                        ; -- End function
	.section	.AMDGPU.csdata,"",@progbits
; Kernel info:
; codeLenInByte = 3644
; NumSgprs: 46
; NumVgprs: 20
; ScratchSize: 0
; MemoryBound: 0
; FloatMode: 240
; IeeeMode: 1
; LDSByteSize: 0 bytes/workgroup (compile time only)
; SGPRBlocks: 5
; VGPRBlocks: 2
; NumSGPRsForWavesPerEU: 46
; NumVGPRsForWavesPerEU: 20
; Occupancy: 16
; WaveLimiterHint : 1
; COMPUTE_PGM_RSRC2:SCRATCH_EN: 0
; COMPUTE_PGM_RSRC2:USER_SGPR: 15
; COMPUTE_PGM_RSRC2:TRAP_HANDLER: 0
; COMPUTE_PGM_RSRC2:TGID_X_EN: 1
; COMPUTE_PGM_RSRC2:TGID_Y_EN: 0
; COMPUTE_PGM_RSRC2:TGID_Z_EN: 0
; COMPUTE_PGM_RSRC2:TIDIG_COMP_CNT: 0
	.section	.text._ZN9rocsparseL26csrgemm_fill_block_per_rowILj1024ELj64ELj32768ELj137ELj32ElifEEvT5_PKS1_S3_NS_24const_host_device_scalarIT6_EEPKT4_S3_PKS5_S9_S3_SB_S6_S9_S3_SB_S9_PS1_PS5_21rocsparse_index_base_SE_SE_SE_bbb,"axG",@progbits,_ZN9rocsparseL26csrgemm_fill_block_per_rowILj1024ELj64ELj32768ELj137ELj32ElifEEvT5_PKS1_S3_NS_24const_host_device_scalarIT6_EEPKT4_S3_PKS5_S9_S3_SB_S6_S9_S3_SB_S9_PS1_PS5_21rocsparse_index_base_SE_SE_SE_bbb,comdat
	.globl	_ZN9rocsparseL26csrgemm_fill_block_per_rowILj1024ELj64ELj32768ELj137ELj32ElifEEvT5_PKS1_S3_NS_24const_host_device_scalarIT6_EEPKT4_S3_PKS5_S9_S3_SB_S6_S9_S3_SB_S9_PS1_PS5_21rocsparse_index_base_SE_SE_SE_bbb ; -- Begin function _ZN9rocsparseL26csrgemm_fill_block_per_rowILj1024ELj64ELj32768ELj137ELj32ElifEEvT5_PKS1_S3_NS_24const_host_device_scalarIT6_EEPKT4_S3_PKS5_S9_S3_SB_S6_S9_S3_SB_S9_PS1_PS5_21rocsparse_index_base_SE_SE_SE_bbb
	.p2align	8
	.type	_ZN9rocsparseL26csrgemm_fill_block_per_rowILj1024ELj64ELj32768ELj137ELj32ElifEEvT5_PKS1_S3_NS_24const_host_device_scalarIT6_EEPKT4_S3_PKS5_S9_S3_SB_S6_S9_S3_SB_S9_PS1_PS5_21rocsparse_index_base_SE_SE_SE_bbb,@function
_ZN9rocsparseL26csrgemm_fill_block_per_rowILj1024ELj64ELj32768ELj137ELj32ElifEEvT5_PKS1_S3_NS_24const_host_device_scalarIT6_EEPKT4_S3_PKS5_S9_S3_SB_S6_S9_S3_SB_S9_PS1_PS5_21rocsparse_index_base_SE_SE_SE_bbb: ; @_ZN9rocsparseL26csrgemm_fill_block_per_rowILj1024ELj64ELj32768ELj137ELj32ElifEEvT5_PKS1_S3_NS_24const_host_device_scalarIT6_EEPKT4_S3_PKS5_S9_S3_SB_S6_S9_S3_SB_S9_PS1_PS5_21rocsparse_index_base_SE_SE_SE_bbb
; %bb.0:
	s_clause 0x3
	s_load_b32 s12, s[0:1], 0x98
	s_load_b128 s[44:47], s[0:1], 0x88
	s_load_b64 s[4:5], s[0:1], 0x18
	s_load_b64 s[2:3], s[0:1], 0x50
	s_waitcnt lgkmcnt(0)
	s_bitcmp1_b32 s12, 0
	s_cselect_b32 s13, -1, 0
	s_bitcmp1_b32 s12, 16
	s_cselect_b32 s14, -1, 0
	s_xor_b32 s6, s13, -1
	s_delay_alu instid0(SALU_CYCLE_1) | instskip(NEXT) | instid1(SALU_CYCLE_1)
	s_or_b32 s6, s6, s14
	s_and_b32 vcc_lo, exec_lo, s6
	s_cbranch_vccnz .LBB192_2
; %bb.1:
	s_load_b32 s4, s[4:5], 0x0
	s_waitcnt lgkmcnt(0)
	v_mov_b32_e32 v12, s4
	s_branch .LBB192_3
.LBB192_2:
	v_cndmask_b32_e64 v12, 0, s4, s13
.LBB192_3:
	s_clause 0x4
	s_load_b128 s[48:51], s[0:1], 0x78
	s_load_b256 s[36:43], s[0:1], 0x58
	s_load_b128 s[16:19], s[0:1], 0x40
	s_load_b128 s[20:23], s[0:1], 0x8
	s_load_b256 s[4:11], s[0:1], 0x20
	s_bitcmp1_b32 s12, 8
	s_cselect_b32 s12, -1, 0
	s_delay_alu instid0(SALU_CYCLE_1) | instskip(NEXT) | instid1(SALU_CYCLE_1)
	s_xor_b32 s24, s12, -1
	s_or_b32 s14, s24, s14
	s_delay_alu instid0(SALU_CYCLE_1)
	s_and_b32 vcc_lo, exec_lo, s14
	s_cbranch_vccnz .LBB192_5
; %bb.4:
	s_load_b32 s2, s[2:3], 0x0
	s_waitcnt lgkmcnt(0)
	v_mov_b32_e32 v11, s2
	s_branch .LBB192_6
.LBB192_5:
	v_cndmask_b32_e64 v11, 0, s2, s12
.LBB192_6:
	s_load_b32 s33, s[0:1], 0x0
	v_lshl_add_u32 v9, v0, 2, 0
	v_or_b32_e32 v10, 0xfffffc00, v0
	v_mov_b32_e32 v1, 0
	s_mov_b32 s0, 0
	s_delay_alu instid0(VALU_DEP_3)
	v_mov_b32_e32 v2, v9
	s_waitcnt lgkmcnt(0)
	v_dual_mov_b32 v4, v10 :: v_dual_mov_b32 v3, s33
.LBB192_7:                              ; =>This Inner Loop Header: Depth=1
	s_delay_alu instid0(VALU_DEP_1) | instskip(NEXT) | instid1(VALU_DEP_3)
	v_add_nc_u32_e32 v4, 0x400, v4
	v_add_nc_u32_e32 v5, 0x20000, v2
	ds_store_b32 v2, v3
	v_add_nc_u32_e32 v2, 0x1000, v2
	v_cmp_lt_u32_e32 vcc_lo, 0x7bff, v4
	ds_store_b32 v5, v1
	s_or_b32 s0, vcc_lo, s0
	s_delay_alu instid0(SALU_CYCLE_1)
	s_and_not1_b32 exec_lo, exec_lo, s0
	s_cbranch_execnz .LBB192_7
; %bb.8:
	s_or_b32 exec_lo, exec_lo, s0
	s_waitcnt lgkmcnt(0)
	s_barrier
	buffer_gl0_inv
	s_load_b32 s0, s[20:21], 0x0
	s_mov_b32 s1, 0
	s_waitcnt lgkmcnt(0)
	s_add_i32 s0, s0, s15
	s_delay_alu instid0(SALU_CYCLE_1) | instskip(NEXT) | instid1(SALU_CYCLE_1)
	s_lshl_b64 s[0:1], s[0:1], 2
	s_add_u32 s0, s22, s0
	s_addc_u32 s1, s23, s1
	s_and_b32 vcc_lo, exec_lo, s13
	s_load_b32 s34, s[0:1], 0x0
	s_cbranch_vccz .LBB192_28
; %bb.9:
	s_waitcnt lgkmcnt(0)
	s_ashr_i32 s35, s34, 31
	v_lshrrev_b32_e32 v1, 6, v0
	s_lshl_b64 s[0:1], s[34:35], 3
	s_delay_alu instid0(SALU_CYCLE_1) | instskip(SKIP_1) | instid1(VALU_DEP_1)
	s_add_u32 s0, s4, s0
	s_addc_u32 s1, s5, s1
	v_sub_co_u32 v1, s4, v1, s44
	s_load_b128 s[0:3], s[0:1], 0x0
	v_sub_co_ci_u32_e64 v2, null, 0, 0, s4
	s_waitcnt lgkmcnt(0)
	s_delay_alu instid0(VALU_DEP_2) | instskip(NEXT) | instid1(VALU_DEP_2)
	v_add_co_u32 v1, vcc_lo, s0, v1
	v_add_co_ci_u32_e32 v2, vcc_lo, s1, v2, vcc_lo
	s_sub_u32 s0, s2, s44
	s_subb_u32 s1, s3, 0
	s_mov_b32 s2, exec_lo
	s_delay_alu instid0(VALU_DEP_1)
	v_cmpx_gt_i64_e64 s[0:1], v[1:2]
	s_cbranch_execz .LBB192_27
; %bb.10:
	v_and_b32_e32 v3, 63, v0
	s_mov_b32 s4, s45
	s_delay_alu instid0(VALU_DEP_1) | instskip(NEXT) | instid1(VALU_DEP_1)
	v_sub_co_u32 v13, s3, v3, s45
	v_sub_co_ci_u32_e64 v14, null, 0, 0, s3
	s_mov_b32 s3, 0
	s_branch .LBB192_12
.LBB192_11:                             ;   in Loop: Header=BB192_12 Depth=1
	s_or_b32 exec_lo, exec_lo, s5
	v_add_co_u32 v1, vcc_lo, v1, 16
	v_add_co_ci_u32_e32 v2, vcc_lo, 0, v2, vcc_lo
	s_delay_alu instid0(VALU_DEP_1) | instskip(SKIP_1) | instid1(SALU_CYCLE_1)
	v_cmp_le_i64_e32 vcc_lo, s[0:1], v[1:2]
	s_or_b32 s3, vcc_lo, s3
	s_and_not1_b32 exec_lo, exec_lo, s3
	s_cbranch_execz .LBB192_27
.LBB192_12:                             ; =>This Loop Header: Depth=1
                                        ;     Child Loop BB192_15 Depth 2
                                        ;       Child Loop BB192_17 Depth 3
	v_lshlrev_b64 v[7:8], 2, v[1:2]
	s_mov_b32 s5, exec_lo
	s_delay_alu instid0(VALU_DEP_1) | instskip(NEXT) | instid1(VALU_DEP_2)
	v_add_co_u32 v3, vcc_lo, s6, v7
	v_add_co_ci_u32_e32 v4, vcc_lo, s7, v8, vcc_lo
	global_load_b32 v3, v[3:4], off
	s_waitcnt vmcnt(0)
	v_subrev_nc_u32_e32 v3, s44, v3
	s_delay_alu instid0(VALU_DEP_1) | instskip(NEXT) | instid1(VALU_DEP_1)
	v_ashrrev_i32_e32 v4, 31, v3
	v_lshlrev_b64 v[3:4], 3, v[3:4]
	s_delay_alu instid0(VALU_DEP_1) | instskip(NEXT) | instid1(VALU_DEP_2)
	v_add_co_u32 v3, vcc_lo, s10, v3
	v_add_co_ci_u32_e32 v4, vcc_lo, s11, v4, vcc_lo
	global_load_b128 v[15:18], v[3:4], off
	s_waitcnt vmcnt(0)
	v_sub_co_u32 v3, vcc_lo, v17, s4
	v_subrev_co_ci_u32_e32 v4, vcc_lo, 0, v18, vcc_lo
	v_add_co_u32 v5, vcc_lo, v15, v13
	v_add_co_ci_u32_e32 v6, vcc_lo, v16, v14, vcc_lo
	s_delay_alu instid0(VALU_DEP_1)
	v_cmpx_lt_i64_e64 v[5:6], v[3:4]
	s_cbranch_execz .LBB192_11
; %bb.13:                               ;   in Loop: Header=BB192_12 Depth=1
	v_add_co_u32 v7, vcc_lo, s8, v7
	v_add_co_ci_u32_e32 v8, vcc_lo, s9, v8, vcc_lo
	s_mov_b32 s13, 0
	global_load_b32 v7, v[7:8], off
	s_waitcnt vmcnt(0)
	v_mul_f32_e32 v7, v12, v7
	s_branch .LBB192_15
.LBB192_14:                             ;   in Loop: Header=BB192_15 Depth=2
	s_or_b32 exec_lo, exec_lo, s14
	v_add_co_u32 v5, vcc_lo, v5, 64
	v_add_co_ci_u32_e32 v6, vcc_lo, 0, v6, vcc_lo
	s_delay_alu instid0(VALU_DEP_1) | instskip(SKIP_1) | instid1(SALU_CYCLE_1)
	v_cmp_ge_i64_e32 vcc_lo, v[5:6], v[3:4]
	s_or_b32 s13, vcc_lo, s13
	s_and_not1_b32 exec_lo, exec_lo, s13
	s_cbranch_execz .LBB192_11
.LBB192_15:                             ;   Parent Loop BB192_12 Depth=1
                                        ; =>  This Loop Header: Depth=2
                                        ;       Child Loop BB192_17 Depth 3
	v_lshlrev_b64 v[15:16], 2, v[5:6]
	s_mov_b32 s14, 0
	s_delay_alu instid0(VALU_DEP_1) | instskip(NEXT) | instid1(VALU_DEP_2)
	v_add_co_u32 v17, vcc_lo, s16, v15
	v_add_co_ci_u32_e32 v18, vcc_lo, s17, v16, vcc_lo
	v_add_co_u32 v15, vcc_lo, s18, v15
	v_add_co_ci_u32_e32 v16, vcc_lo, s19, v16, vcc_lo
	global_load_b32 v8, v[17:18], off
	global_load_b32 v15, v[15:16], off
	s_waitcnt vmcnt(1)
	v_subrev_nc_u32_e32 v8, s45, v8
	s_delay_alu instid0(VALU_DEP_1) | instskip(SKIP_1) | instid1(VALU_DEP_1)
	v_mul_lo_u32 v16, 0x89, v8
	s_waitcnt vmcnt(0)
	v_dual_mul_f32 v15, v7, v15 :: v_dual_and_b32 v16, 0x7fff, v16
	s_branch .LBB192_17
.LBB192_16:                             ;   in Loop: Header=BB192_17 Depth=3
	s_or_b32 exec_lo, exec_lo, s15
	s_xor_b32 s15, s20, -1
	s_delay_alu instid0(SALU_CYCLE_1) | instskip(NEXT) | instid1(SALU_CYCLE_1)
	s_and_b32 s15, exec_lo, s15
	s_or_b32 s14, s15, s14
	s_delay_alu instid0(SALU_CYCLE_1)
	s_and_not1_b32 exec_lo, exec_lo, s14
	s_cbranch_execz .LBB192_14
.LBB192_17:                             ;   Parent Loop BB192_12 Depth=1
                                        ;     Parent Loop BB192_15 Depth=2
                                        ; =>    This Inner Loop Header: Depth=3
	s_delay_alu instid0(VALU_DEP_1)
	v_lshl_add_u32 v17, v16, 2, 0
	s_mov_b32 s15, exec_lo
                                        ; implicit-def: $sgpr20
	ds_load_b32 v18, v17
	s_waitcnt lgkmcnt(0)
	v_cmpx_ne_u32_e64 v18, v8
	s_xor_b32 s15, exec_lo, s15
	s_cbranch_execz .LBB192_25
; %bb.18:                               ;   in Loop: Header=BB192_17 Depth=3
	s_mov_b32 s21, exec_lo
                                        ; implicit-def: $sgpr20
	v_cmpx_ne_u32_e64 s33, v18
	s_xor_b32 s21, exec_lo, s21
; %bb.19:                               ;   in Loop: Header=BB192_17 Depth=3
	v_add_nc_u32_e32 v16, 1, v16
	s_mov_b32 s20, -1
                                        ; implicit-def: $vgpr17
	s_delay_alu instid0(VALU_DEP_1)
	v_and_b32_e32 v16, 0x7fff, v16
; %bb.20:                               ;   in Loop: Header=BB192_17 Depth=3
	s_and_not1_saveexec_b32 s21, s21
	s_cbranch_execz .LBB192_24
; %bb.21:                               ;   in Loop: Header=BB192_17 Depth=3
	v_mov_b32_e32 v18, s33
	s_mov_b32 s22, -1
	s_mov_b32 s23, exec_lo
	ds_cmpstore_rtn_b32 v17, v17, v8, v18
	s_waitcnt lgkmcnt(0)
	v_cmpx_eq_u32_e64 s33, v17
	s_cbranch_execz .LBB192_23
; %bb.22:                               ;   in Loop: Header=BB192_17 Depth=3
	v_lshlrev_b32_e32 v17, 2, v16
	s_xor_b32 s22, exec_lo, -1
	s_delay_alu instid0(VALU_DEP_1)
	v_add3_u32 v17, 0, v17, 0x20000
	ds_add_f32 v17, v15
.LBB192_23:                             ;   in Loop: Header=BB192_17 Depth=3
	s_or_b32 exec_lo, exec_lo, s23
	s_delay_alu instid0(SALU_CYCLE_1) | instskip(SKIP_1) | instid1(SALU_CYCLE_1)
	s_and_not1_b32 s20, s20, exec_lo
	s_and_b32 s22, s22, exec_lo
	s_or_b32 s20, s20, s22
.LBB192_24:                             ;   in Loop: Header=BB192_17 Depth=3
	s_or_b32 exec_lo, exec_lo, s21
	s_delay_alu instid0(SALU_CYCLE_1)
	s_and_b32 s20, s20, exec_lo
.LBB192_25:                             ;   in Loop: Header=BB192_17 Depth=3
	s_and_not1_saveexec_b32 s15, s15
	s_cbranch_execz .LBB192_16
; %bb.26:                               ;   in Loop: Header=BB192_17 Depth=3
	v_lshlrev_b32_e32 v17, 2, v16
	s_and_not1_b32 s20, s20, exec_lo
	s_delay_alu instid0(VALU_DEP_1)
	v_add3_u32 v17, 0, v17, 0x20000
	ds_add_f32 v17, v15
	s_branch .LBB192_16
.LBB192_27:
	s_or_b32 exec_lo, exec_lo, s2
.LBB192_28:
	s_delay_alu instid0(SALU_CYCLE_1)
	s_and_not1_b32 vcc_lo, exec_lo, s12
	s_cbranch_vccnz .LBB192_31
; %bb.29:
	s_waitcnt lgkmcnt(0)
	s_ashr_i32 s35, s34, 31
	v_sub_co_u32 v1, s4, v0, s47
	s_lshl_b64 s[0:1], s[34:35], 3
	v_sub_co_ci_u32_e64 v2, null, 0, 0, s4
	s_add_u32 s0, s36, s0
	s_addc_u32 s1, s37, s1
	s_load_b128 s[0:3], s[0:1], 0x0
	s_waitcnt lgkmcnt(0)
	v_add_co_u32 v1, vcc_lo, s0, v1
	v_add_co_ci_u32_e32 v2, vcc_lo, s1, v2, vcc_lo
	s_sub_u32 s0, s2, s47
	s_subb_u32 s1, s3, 0
	s_mov_b32 s3, 0
	s_mov_b32 s2, exec_lo
	v_cmpx_gt_i64_e64 s[0:1], v[1:2]
	s_cbranch_execnz .LBB192_100
.LBB192_30:
	s_or_b32 exec_lo, exec_lo, s2
.LBB192_31:
	v_mbcnt_lo_u32_b32 v1, -1, 0
	v_lshrrev_b32_e32 v2, 3, v0
	s_add_i32 s70, 0, 0x4007c
	v_cmp_eq_u32_e32 vcc_lo, 0x3ff, v0
	v_cmp_lt_u32_e64 s0, 31, v0
	v_xor_b32_e32 v1, 63, v1
	v_dual_mov_b32 v4, s70 :: v_dual_and_b32 v3, 0x7c, v2
	v_cmp_lt_u32_e64 s1, 63, v0
	v_cmp_lt_u32_e64 s2, 0x5f, v0
	s_delay_alu instid0(VALU_DEP_4) | instskip(NEXT) | instid1(VALU_DEP_4)
	v_lshrrev_b64 v[1:2], v1, -1
	v_add3_u32 v2, 0, 0x40000, v3
	v_cmp_lt_u32_e64 s3, 0x7f, v0
	v_cmp_lt_u32_e64 s4, 0x9f, v0
	;; [unrolled: 1-line block ×28, first 2 shown]
	v_mov_b32_e32 v3, 0
	s_mov_b32 s35, 0
	s_add_i32 s36, 0, 0x40000
	s_add_i32 s37, 0, 0x40004
	;; [unrolled: 1-line block ×31, first 2 shown]
	s_waitcnt lgkmcnt(0)
	s_barrier
	buffer_gl0_inv
	s_branch .LBB192_33
.LBB192_32:                             ;   in Loop: Header=BB192_33 Depth=1
	s_or_b32 exec_lo, exec_lo, s31
	s_waitcnt lgkmcnt(0)
	s_barrier
	buffer_gl0_inv
	ds_load_b32 v5, v4
	v_add_nc_u32_e32 v10, 0x400, v10
	v_add_nc_u32_e32 v9, 0x1000, v9
	s_delay_alu instid0(VALU_DEP_2) | instskip(NEXT) | instid1(VALU_DEP_1)
	v_cmp_lt_u32_e64 s31, 0x7bff, v10
	s_or_b32 s35, s31, s35
	s_waitcnt lgkmcnt(0)
	v_add_nc_u32_e32 v3, v5, v3
	s_and_not1_b32 exec_lo, exec_lo, s35
	s_cbranch_execz .LBB192_112
.LBB192_33:                             ; =>This Inner Loop Header: Depth=1
	ds_load_b32 v5, v9
	v_add_nc_u32_e32 v6, 0x20000, v9
	ds_load_b32 v6, v6
	s_waitcnt lgkmcnt(0)
	s_barrier
	buffer_gl0_inv
	v_cmp_gt_i32_e64 s31, s33, v5
	s_delay_alu instid0(VALU_DEP_1) | instskip(NEXT) | instid1(SALU_CYCLE_1)
	s_bcnt1_i32_b32 s75, s31
	v_dual_mov_b32 v8, s75 :: v_dual_and_b32 v7, s31, v1
	s_delay_alu instid0(VALU_DEP_1)
	v_bcnt_u32_b32 v7, v7, 0
	ds_store_b32 v2, v8
	s_waitcnt lgkmcnt(0)
	s_barrier
	buffer_gl0_inv
	s_and_saveexec_b32 s75, s0
	s_cbranch_execnz .LBB192_66
; %bb.34:                               ;   in Loop: Header=BB192_33 Depth=1
	s_or_b32 exec_lo, exec_lo, s75
	s_and_saveexec_b32 s75, s1
	s_cbranch_execnz .LBB192_67
.LBB192_35:                             ;   in Loop: Header=BB192_33 Depth=1
	s_or_b32 exec_lo, exec_lo, s75
	s_and_saveexec_b32 s75, s2
	s_cbranch_execnz .LBB192_68
.LBB192_36:                             ;   in Loop: Header=BB192_33 Depth=1
	s_or_b32 exec_lo, exec_lo, s75
	s_and_saveexec_b32 s75, s3
	s_cbranch_execnz .LBB192_69
.LBB192_37:                             ;   in Loop: Header=BB192_33 Depth=1
	s_or_b32 exec_lo, exec_lo, s75
	s_and_saveexec_b32 s75, s4
	s_cbranch_execnz .LBB192_70
.LBB192_38:                             ;   in Loop: Header=BB192_33 Depth=1
	s_or_b32 exec_lo, exec_lo, s75
	s_and_saveexec_b32 s75, s5
	s_cbranch_execnz .LBB192_71
.LBB192_39:                             ;   in Loop: Header=BB192_33 Depth=1
	s_or_b32 exec_lo, exec_lo, s75
	s_and_saveexec_b32 s75, s6
	s_cbranch_execnz .LBB192_72
.LBB192_40:                             ;   in Loop: Header=BB192_33 Depth=1
	s_or_b32 exec_lo, exec_lo, s75
	s_and_saveexec_b32 s75, s7
	s_cbranch_execnz .LBB192_73
.LBB192_41:                             ;   in Loop: Header=BB192_33 Depth=1
	s_or_b32 exec_lo, exec_lo, s75
	s_and_saveexec_b32 s75, s8
	s_cbranch_execnz .LBB192_74
.LBB192_42:                             ;   in Loop: Header=BB192_33 Depth=1
	s_or_b32 exec_lo, exec_lo, s75
	s_and_saveexec_b32 s75, s9
	s_cbranch_execnz .LBB192_75
.LBB192_43:                             ;   in Loop: Header=BB192_33 Depth=1
	s_or_b32 exec_lo, exec_lo, s75
	s_and_saveexec_b32 s75, s10
	s_cbranch_execnz .LBB192_76
.LBB192_44:                             ;   in Loop: Header=BB192_33 Depth=1
	s_or_b32 exec_lo, exec_lo, s75
	s_and_saveexec_b32 s75, s11
	s_cbranch_execnz .LBB192_77
.LBB192_45:                             ;   in Loop: Header=BB192_33 Depth=1
	s_or_b32 exec_lo, exec_lo, s75
	s_and_saveexec_b32 s75, s12
	s_cbranch_execnz .LBB192_78
.LBB192_46:                             ;   in Loop: Header=BB192_33 Depth=1
	s_or_b32 exec_lo, exec_lo, s75
	s_and_saveexec_b32 s75, s13
	s_cbranch_execnz .LBB192_79
.LBB192_47:                             ;   in Loop: Header=BB192_33 Depth=1
	s_or_b32 exec_lo, exec_lo, s75
	s_and_saveexec_b32 s75, s14
	s_cbranch_execnz .LBB192_80
.LBB192_48:                             ;   in Loop: Header=BB192_33 Depth=1
	s_or_b32 exec_lo, exec_lo, s75
	s_and_saveexec_b32 s75, s15
	s_cbranch_execnz .LBB192_81
.LBB192_49:                             ;   in Loop: Header=BB192_33 Depth=1
	s_or_b32 exec_lo, exec_lo, s75
	s_and_saveexec_b32 s75, s16
	s_cbranch_execnz .LBB192_82
.LBB192_50:                             ;   in Loop: Header=BB192_33 Depth=1
	s_or_b32 exec_lo, exec_lo, s75
	s_and_saveexec_b32 s75, s17
	s_cbranch_execnz .LBB192_83
.LBB192_51:                             ;   in Loop: Header=BB192_33 Depth=1
	s_or_b32 exec_lo, exec_lo, s75
	s_and_saveexec_b32 s75, s18
	s_cbranch_execnz .LBB192_84
.LBB192_52:                             ;   in Loop: Header=BB192_33 Depth=1
	s_or_b32 exec_lo, exec_lo, s75
	s_and_saveexec_b32 s75, s19
	s_cbranch_execnz .LBB192_85
.LBB192_53:                             ;   in Loop: Header=BB192_33 Depth=1
	s_or_b32 exec_lo, exec_lo, s75
	s_and_saveexec_b32 s75, s20
	s_cbranch_execnz .LBB192_86
.LBB192_54:                             ;   in Loop: Header=BB192_33 Depth=1
	s_or_b32 exec_lo, exec_lo, s75
	s_and_saveexec_b32 s75, s21
	s_cbranch_execnz .LBB192_87
.LBB192_55:                             ;   in Loop: Header=BB192_33 Depth=1
	s_or_b32 exec_lo, exec_lo, s75
	s_and_saveexec_b32 s75, s22
	s_cbranch_execnz .LBB192_88
.LBB192_56:                             ;   in Loop: Header=BB192_33 Depth=1
	s_or_b32 exec_lo, exec_lo, s75
	s_and_saveexec_b32 s75, s23
	s_cbranch_execnz .LBB192_89
.LBB192_57:                             ;   in Loop: Header=BB192_33 Depth=1
	s_or_b32 exec_lo, exec_lo, s75
	s_and_saveexec_b32 s75, s24
	s_cbranch_execnz .LBB192_90
.LBB192_58:                             ;   in Loop: Header=BB192_33 Depth=1
	s_or_b32 exec_lo, exec_lo, s75
	s_and_saveexec_b32 s75, s25
	s_cbranch_execnz .LBB192_91
.LBB192_59:                             ;   in Loop: Header=BB192_33 Depth=1
	s_or_b32 exec_lo, exec_lo, s75
	s_and_saveexec_b32 s75, s26
	s_cbranch_execnz .LBB192_92
.LBB192_60:                             ;   in Loop: Header=BB192_33 Depth=1
	s_or_b32 exec_lo, exec_lo, s75
	s_and_saveexec_b32 s75, s27
	s_cbranch_execnz .LBB192_93
.LBB192_61:                             ;   in Loop: Header=BB192_33 Depth=1
	s_or_b32 exec_lo, exec_lo, s75
	s_and_saveexec_b32 s75, s28
	s_cbranch_execnz .LBB192_94
.LBB192_62:                             ;   in Loop: Header=BB192_33 Depth=1
	s_or_b32 exec_lo, exec_lo, s75
	s_and_saveexec_b32 s75, s29
	s_cbranch_execnz .LBB192_95
.LBB192_63:                             ;   in Loop: Header=BB192_33 Depth=1
	s_or_b32 exec_lo, exec_lo, s75
	s_and_saveexec_b32 s75, s30
	s_cbranch_execnz .LBB192_96
.LBB192_64:                             ;   in Loop: Header=BB192_33 Depth=1
	s_or_b32 exec_lo, exec_lo, s75
	s_and_saveexec_b32 s75, s31
	s_cbranch_execnz .LBB192_97
.LBB192_65:                             ;   in Loop: Header=BB192_33 Depth=1
	s_or_b32 exec_lo, exec_lo, s75
	s_and_saveexec_b32 s31, vcc_lo
	s_cbranch_execz .LBB192_32
	s_branch .LBB192_98
.LBB192_66:                             ;   in Loop: Header=BB192_33 Depth=1
	v_mov_b32_e32 v8, s36
	ds_load_b32 v8, v8
	s_waitcnt lgkmcnt(0)
	v_add_nc_u32_e32 v7, v8, v7
	s_or_b32 exec_lo, exec_lo, s75
	s_and_saveexec_b32 s75, s1
	s_cbranch_execz .LBB192_35
.LBB192_67:                             ;   in Loop: Header=BB192_33 Depth=1
	v_mov_b32_e32 v8, s37
	ds_load_b32 v8, v8
	s_waitcnt lgkmcnt(0)
	v_add_nc_u32_e32 v7, v8, v7
	s_or_b32 exec_lo, exec_lo, s75
	s_and_saveexec_b32 s75, s2
	s_cbranch_execz .LBB192_36
.LBB192_68:                             ;   in Loop: Header=BB192_33 Depth=1
	v_mov_b32_e32 v8, s38
	ds_load_b32 v8, v8
	s_waitcnt lgkmcnt(0)
	v_add_nc_u32_e32 v7, v8, v7
	s_or_b32 exec_lo, exec_lo, s75
	s_and_saveexec_b32 s75, s3
	s_cbranch_execz .LBB192_37
.LBB192_69:                             ;   in Loop: Header=BB192_33 Depth=1
	v_mov_b32_e32 v8, s39
	ds_load_b32 v8, v8
	s_waitcnt lgkmcnt(0)
	v_add_nc_u32_e32 v7, v8, v7
	s_or_b32 exec_lo, exec_lo, s75
	s_and_saveexec_b32 s75, s4
	s_cbranch_execz .LBB192_38
.LBB192_70:                             ;   in Loop: Header=BB192_33 Depth=1
	v_mov_b32_e32 v8, s40
	ds_load_b32 v8, v8
	s_waitcnt lgkmcnt(0)
	v_add_nc_u32_e32 v7, v8, v7
	s_or_b32 exec_lo, exec_lo, s75
	s_and_saveexec_b32 s75, s5
	s_cbranch_execz .LBB192_39
.LBB192_71:                             ;   in Loop: Header=BB192_33 Depth=1
	v_mov_b32_e32 v8, s41
	ds_load_b32 v8, v8
	s_waitcnt lgkmcnt(0)
	v_add_nc_u32_e32 v7, v8, v7
	s_or_b32 exec_lo, exec_lo, s75
	s_and_saveexec_b32 s75, s6
	s_cbranch_execz .LBB192_40
.LBB192_72:                             ;   in Loop: Header=BB192_33 Depth=1
	v_mov_b32_e32 v8, s44
	ds_load_b32 v8, v8
	s_waitcnt lgkmcnt(0)
	v_add_nc_u32_e32 v7, v8, v7
	s_or_b32 exec_lo, exec_lo, s75
	s_and_saveexec_b32 s75, s7
	s_cbranch_execz .LBB192_41
.LBB192_73:                             ;   in Loop: Header=BB192_33 Depth=1
	v_mov_b32_e32 v8, s45
	ds_load_b32 v8, v8
	s_waitcnt lgkmcnt(0)
	v_add_nc_u32_e32 v7, v8, v7
	s_or_b32 exec_lo, exec_lo, s75
	s_and_saveexec_b32 s75, s8
	s_cbranch_execz .LBB192_42
.LBB192_74:                             ;   in Loop: Header=BB192_33 Depth=1
	v_mov_b32_e32 v8, s47
	ds_load_b32 v8, v8
	s_waitcnt lgkmcnt(0)
	v_add_nc_u32_e32 v7, v8, v7
	s_or_b32 exec_lo, exec_lo, s75
	s_and_saveexec_b32 s75, s9
	s_cbranch_execz .LBB192_43
.LBB192_75:                             ;   in Loop: Header=BB192_33 Depth=1
	v_mov_b32_e32 v8, s52
	ds_load_b32 v8, v8
	s_waitcnt lgkmcnt(0)
	v_add_nc_u32_e32 v7, v8, v7
	s_or_b32 exec_lo, exec_lo, s75
	s_and_saveexec_b32 s75, s10
	s_cbranch_execz .LBB192_44
.LBB192_76:                             ;   in Loop: Header=BB192_33 Depth=1
	v_mov_b32_e32 v8, s53
	ds_load_b32 v8, v8
	s_waitcnt lgkmcnt(0)
	v_add_nc_u32_e32 v7, v8, v7
	s_or_b32 exec_lo, exec_lo, s75
	s_and_saveexec_b32 s75, s11
	s_cbranch_execz .LBB192_45
.LBB192_77:                             ;   in Loop: Header=BB192_33 Depth=1
	v_mov_b32_e32 v8, s54
	ds_load_b32 v8, v8
	s_waitcnt lgkmcnt(0)
	v_add_nc_u32_e32 v7, v8, v7
	s_or_b32 exec_lo, exec_lo, s75
	s_and_saveexec_b32 s75, s12
	s_cbranch_execz .LBB192_46
.LBB192_78:                             ;   in Loop: Header=BB192_33 Depth=1
	v_mov_b32_e32 v8, s55
	ds_load_b32 v8, v8
	s_waitcnt lgkmcnt(0)
	v_add_nc_u32_e32 v7, v8, v7
	s_or_b32 exec_lo, exec_lo, s75
	s_and_saveexec_b32 s75, s13
	s_cbranch_execz .LBB192_47
.LBB192_79:                             ;   in Loop: Header=BB192_33 Depth=1
	v_mov_b32_e32 v8, s56
	ds_load_b32 v8, v8
	s_waitcnt lgkmcnt(0)
	v_add_nc_u32_e32 v7, v8, v7
	s_or_b32 exec_lo, exec_lo, s75
	s_and_saveexec_b32 s75, s14
	s_cbranch_execz .LBB192_48
.LBB192_80:                             ;   in Loop: Header=BB192_33 Depth=1
	v_mov_b32_e32 v8, s57
	ds_load_b32 v8, v8
	s_waitcnt lgkmcnt(0)
	v_add_nc_u32_e32 v7, v8, v7
	s_or_b32 exec_lo, exec_lo, s75
	s_and_saveexec_b32 s75, s15
	s_cbranch_execz .LBB192_49
.LBB192_81:                             ;   in Loop: Header=BB192_33 Depth=1
	v_mov_b32_e32 v8, s58
	ds_load_b32 v8, v8
	s_waitcnt lgkmcnt(0)
	v_add_nc_u32_e32 v7, v8, v7
	s_or_b32 exec_lo, exec_lo, s75
	s_and_saveexec_b32 s75, s16
	s_cbranch_execz .LBB192_50
.LBB192_82:                             ;   in Loop: Header=BB192_33 Depth=1
	v_mov_b32_e32 v8, s59
	ds_load_b32 v8, v8
	s_waitcnt lgkmcnt(0)
	v_add_nc_u32_e32 v7, v8, v7
	s_or_b32 exec_lo, exec_lo, s75
	s_and_saveexec_b32 s75, s17
	s_cbranch_execz .LBB192_51
.LBB192_83:                             ;   in Loop: Header=BB192_33 Depth=1
	v_mov_b32_e32 v8, s60
	ds_load_b32 v8, v8
	s_waitcnt lgkmcnt(0)
	v_add_nc_u32_e32 v7, v8, v7
	s_or_b32 exec_lo, exec_lo, s75
	s_and_saveexec_b32 s75, s18
	s_cbranch_execz .LBB192_52
.LBB192_84:                             ;   in Loop: Header=BB192_33 Depth=1
	v_mov_b32_e32 v8, s61
	ds_load_b32 v8, v8
	s_waitcnt lgkmcnt(0)
	v_add_nc_u32_e32 v7, v8, v7
	s_or_b32 exec_lo, exec_lo, s75
	s_and_saveexec_b32 s75, s19
	s_cbranch_execz .LBB192_53
.LBB192_85:                             ;   in Loop: Header=BB192_33 Depth=1
	v_mov_b32_e32 v8, s62
	ds_load_b32 v8, v8
	s_waitcnt lgkmcnt(0)
	v_add_nc_u32_e32 v7, v8, v7
	s_or_b32 exec_lo, exec_lo, s75
	s_and_saveexec_b32 s75, s20
	s_cbranch_execz .LBB192_54
.LBB192_86:                             ;   in Loop: Header=BB192_33 Depth=1
	v_mov_b32_e32 v8, s63
	ds_load_b32 v8, v8
	s_waitcnt lgkmcnt(0)
	v_add_nc_u32_e32 v7, v8, v7
	s_or_b32 exec_lo, exec_lo, s75
	s_and_saveexec_b32 s75, s21
	s_cbranch_execz .LBB192_55
.LBB192_87:                             ;   in Loop: Header=BB192_33 Depth=1
	v_mov_b32_e32 v8, s64
	ds_load_b32 v8, v8
	s_waitcnt lgkmcnt(0)
	v_add_nc_u32_e32 v7, v8, v7
	s_or_b32 exec_lo, exec_lo, s75
	s_and_saveexec_b32 s75, s22
	s_cbranch_execz .LBB192_56
.LBB192_88:                             ;   in Loop: Header=BB192_33 Depth=1
	v_mov_b32_e32 v8, s65
	ds_load_b32 v8, v8
	s_waitcnt lgkmcnt(0)
	v_add_nc_u32_e32 v7, v8, v7
	s_or_b32 exec_lo, exec_lo, s75
	s_and_saveexec_b32 s75, s23
	s_cbranch_execz .LBB192_57
.LBB192_89:                             ;   in Loop: Header=BB192_33 Depth=1
	v_mov_b32_e32 v8, s66
	ds_load_b32 v8, v8
	s_waitcnt lgkmcnt(0)
	v_add_nc_u32_e32 v7, v8, v7
	s_or_b32 exec_lo, exec_lo, s75
	s_and_saveexec_b32 s75, s24
	s_cbranch_execz .LBB192_58
.LBB192_90:                             ;   in Loop: Header=BB192_33 Depth=1
	v_mov_b32_e32 v8, s67
	ds_load_b32 v8, v8
	s_waitcnt lgkmcnt(0)
	v_add_nc_u32_e32 v7, v8, v7
	s_or_b32 exec_lo, exec_lo, s75
	s_and_saveexec_b32 s75, s25
	s_cbranch_execz .LBB192_59
.LBB192_91:                             ;   in Loop: Header=BB192_33 Depth=1
	v_mov_b32_e32 v8, s68
	ds_load_b32 v8, v8
	s_waitcnt lgkmcnt(0)
	v_add_nc_u32_e32 v7, v8, v7
	s_or_b32 exec_lo, exec_lo, s75
	s_and_saveexec_b32 s75, s26
	s_cbranch_execz .LBB192_60
.LBB192_92:                             ;   in Loop: Header=BB192_33 Depth=1
	v_mov_b32_e32 v8, s69
	ds_load_b32 v8, v8
	s_waitcnt lgkmcnt(0)
	v_add_nc_u32_e32 v7, v8, v7
	s_or_b32 exec_lo, exec_lo, s75
	s_and_saveexec_b32 s75, s27
	s_cbranch_execz .LBB192_61
.LBB192_93:                             ;   in Loop: Header=BB192_33 Depth=1
	v_mov_b32_e32 v8, s71
	ds_load_b32 v8, v8
	s_waitcnt lgkmcnt(0)
	v_add_nc_u32_e32 v7, v8, v7
	s_or_b32 exec_lo, exec_lo, s75
	s_and_saveexec_b32 s75, s28
	s_cbranch_execz .LBB192_62
.LBB192_94:                             ;   in Loop: Header=BB192_33 Depth=1
	v_mov_b32_e32 v8, s72
	ds_load_b32 v8, v8
	s_waitcnt lgkmcnt(0)
	v_add_nc_u32_e32 v7, v8, v7
	s_or_b32 exec_lo, exec_lo, s75
	s_and_saveexec_b32 s75, s29
	s_cbranch_execz .LBB192_63
.LBB192_95:                             ;   in Loop: Header=BB192_33 Depth=1
	v_mov_b32_e32 v8, s73
	ds_load_b32 v8, v8
	s_waitcnt lgkmcnt(0)
	v_add_nc_u32_e32 v7, v8, v7
	s_or_b32 exec_lo, exec_lo, s75
	s_and_saveexec_b32 s75, s30
	s_cbranch_execz .LBB192_64
.LBB192_96:                             ;   in Loop: Header=BB192_33 Depth=1
	v_mov_b32_e32 v8, s74
	ds_load_b32 v8, v8
	s_waitcnt lgkmcnt(0)
	v_add_nc_u32_e32 v7, v8, v7
	s_or_b32 exec_lo, exec_lo, s75
	s_and_saveexec_b32 s75, s31
	s_cbranch_execz .LBB192_65
.LBB192_97:                             ;   in Loop: Header=BB192_33 Depth=1
	s_delay_alu instid0(VALU_DEP_1) | instskip(NEXT) | instid1(VALU_DEP_1)
	v_add3_u32 v8, v3, -1, v7
	v_lshl_add_u32 v8, v8, 2, 0
	s_delay_alu instid0(VALU_DEP_1)
	v_add_nc_u32_e32 v11, 0x20000, v8
	ds_store_b32 v8, v5
	ds_store_b32 v11, v6
	s_or_b32 exec_lo, exec_lo, s75
	s_and_saveexec_b32 s31, vcc_lo
	s_cbranch_execz .LBB192_32
.LBB192_98:                             ;   in Loop: Header=BB192_33 Depth=1
	v_mov_b32_e32 v5, s70
	ds_store_b32 v5, v7
	s_branch .LBB192_32
.LBB192_99:                             ;   in Loop: Header=BB192_100 Depth=1
	s_or_b32 exec_lo, exec_lo, s4
	v_add_co_u32 v1, vcc_lo, 0x400, v1
	v_add_co_ci_u32_e32 v2, vcc_lo, 0, v2, vcc_lo
	s_delay_alu instid0(VALU_DEP_1) | instskip(SKIP_1) | instid1(SALU_CYCLE_1)
	v_cmp_le_i64_e32 vcc_lo, s[0:1], v[1:2]
	s_or_b32 s3, vcc_lo, s3
	s_and_not1_b32 exec_lo, exec_lo, s3
	s_cbranch_execz .LBB192_30
.LBB192_100:                            ; =>This Loop Header: Depth=1
                                        ;     Child Loop BB192_102 Depth 2
	v_lshlrev_b64 v[3:4], 2, v[1:2]
	s_mov_b32 s4, 0
	s_delay_alu instid0(VALU_DEP_1) | instskip(NEXT) | instid1(VALU_DEP_2)
	v_add_co_u32 v5, vcc_lo, s38, v3
	v_add_co_ci_u32_e32 v6, vcc_lo, s39, v4, vcc_lo
	v_add_co_u32 v3, vcc_lo, s40, v3
	v_add_co_ci_u32_e32 v4, vcc_lo, s41, v4, vcc_lo
	global_load_b32 v5, v[5:6], off
	global_load_b32 v4, v[3:4], off
	s_waitcnt vmcnt(1)
	v_subrev_nc_u32_e32 v3, s47, v5
	s_delay_alu instid0(VALU_DEP_1) | instskip(SKIP_1) | instid1(VALU_DEP_1)
	v_mul_lo_u32 v5, 0x89, v3
	s_waitcnt vmcnt(0)
	v_dual_mul_f32 v4, v11, v4 :: v_dual_and_b32 v5, 0x7fff, v5
	s_branch .LBB192_102
.LBB192_101:                            ;   in Loop: Header=BB192_102 Depth=2
	s_or_b32 exec_lo, exec_lo, s5
	s_xor_b32 s5, s6, -1
	s_delay_alu instid0(SALU_CYCLE_1) | instskip(NEXT) | instid1(SALU_CYCLE_1)
	s_and_b32 s5, exec_lo, s5
	s_or_b32 s4, s5, s4
	s_delay_alu instid0(SALU_CYCLE_1)
	s_and_not1_b32 exec_lo, exec_lo, s4
	s_cbranch_execz .LBB192_99
.LBB192_102:                            ;   Parent Loop BB192_100 Depth=1
                                        ; =>  This Inner Loop Header: Depth=2
	s_delay_alu instid0(VALU_DEP_1)
	v_lshl_add_u32 v6, v5, 2, 0
	s_mov_b32 s5, exec_lo
                                        ; implicit-def: $sgpr6
	ds_load_b32 v7, v6
	s_waitcnt lgkmcnt(0)
	v_cmpx_ne_u32_e64 v7, v3
	s_xor_b32 s5, exec_lo, s5
	s_cbranch_execz .LBB192_110
; %bb.103:                              ;   in Loop: Header=BB192_102 Depth=2
	s_mov_b32 s7, exec_lo
                                        ; implicit-def: $sgpr6
	v_cmpx_ne_u32_e64 s33, v7
	s_xor_b32 s7, exec_lo, s7
; %bb.104:                              ;   in Loop: Header=BB192_102 Depth=2
	v_add_nc_u32_e32 v5, 1, v5
	s_mov_b32 s6, -1
                                        ; implicit-def: $vgpr6
	s_delay_alu instid0(VALU_DEP_1)
	v_and_b32_e32 v5, 0x7fff, v5
; %bb.105:                              ;   in Loop: Header=BB192_102 Depth=2
	s_and_not1_saveexec_b32 s7, s7
	s_cbranch_execz .LBB192_109
; %bb.106:                              ;   in Loop: Header=BB192_102 Depth=2
	v_mov_b32_e32 v7, s33
	s_mov_b32 s8, -1
	s_mov_b32 s9, exec_lo
	ds_cmpstore_rtn_b32 v6, v6, v3, v7
	s_waitcnt lgkmcnt(0)
	v_cmpx_eq_u32_e64 s33, v6
	s_cbranch_execz .LBB192_108
; %bb.107:                              ;   in Loop: Header=BB192_102 Depth=2
	v_lshlrev_b32_e32 v6, 2, v5
	s_xor_b32 s8, exec_lo, -1
	s_delay_alu instid0(VALU_DEP_1)
	v_add3_u32 v6, 0, v6, 0x20000
	ds_add_f32 v6, v4
.LBB192_108:                            ;   in Loop: Header=BB192_102 Depth=2
	s_or_b32 exec_lo, exec_lo, s9
	s_delay_alu instid0(SALU_CYCLE_1) | instskip(SKIP_1) | instid1(SALU_CYCLE_1)
	s_and_not1_b32 s6, s6, exec_lo
	s_and_b32 s8, s8, exec_lo
	s_or_b32 s6, s6, s8
.LBB192_109:                            ;   in Loop: Header=BB192_102 Depth=2
	s_or_b32 exec_lo, exec_lo, s7
	s_delay_alu instid0(SALU_CYCLE_1)
	s_and_b32 s6, s6, exec_lo
.LBB192_110:                            ;   in Loop: Header=BB192_102 Depth=2
	s_and_not1_saveexec_b32 s5, s5
	s_cbranch_execz .LBB192_101
; %bb.111:                              ;   in Loop: Header=BB192_102 Depth=2
	v_lshlrev_b32_e32 v6, 2, v5
	s_and_not1_b32 s6, s6, exec_lo
	s_delay_alu instid0(VALU_DEP_1)
	v_add3_u32 v6, 0, v6, 0x20000
	ds_add_f32 v6, v4
	s_branch .LBB192_101
.LBB192_112:
	s_or_b32 exec_lo, exec_lo, s35
	s_ashr_i32 s35, s34, 31
	s_mov_b32 s4, exec_lo
	s_lshl_b64 s[0:1], s[34:35], 3
	s_delay_alu instid0(SALU_CYCLE_1) | instskip(SKIP_4) | instid1(SALU_CYCLE_1)
	s_add_u32 s0, s42, s0
	s_addc_u32 s1, s43, s1
	s_load_b128 s[0:3], s[0:1], 0x0
	s_waitcnt lgkmcnt(0)
	s_sub_i32 s3, s2, s0
	v_cmpx_gt_i32_e64 s3, v0
	s_cbranch_execz .LBB192_122
; %bb.113:
	s_sub_u32 s4, s0, s46
	s_subb_u32 s5, s1, 0
	s_sub_i32 s0, s0, s2
	s_and_b32 s1, s3, 7
	s_cmp_lt_u32 s0, -7
	s_mov_b32 s8, 0
	s_cselect_b32 s2, -1, 0
	s_and_b32 s6, s3, -8
	s_cmp_lg_u32 s1, 0
	s_cselect_b32 s7, -1, 0
	s_branch .LBB192_115
.LBB192_114:                            ;   in Loop: Header=BB192_115 Depth=1
	s_delay_alu instid0(VALU_DEP_1) | instskip(SKIP_3) | instid1(VALU_DEP_3)
	v_lshlrev_b64 v[1:2], 2, v[1:2]
	v_add_nc_u32_e32 v0, 0x400, v0
	s_waitcnt lgkmcnt(1)
	v_add_nc_u32_e32 v6, s46, v4
	v_add_co_u32 v4, vcc_lo, s48, v1
	s_delay_alu instid0(VALU_DEP_4) | instskip(SKIP_2) | instid1(VALU_DEP_1)
	v_add_co_ci_u32_e32 v5, vcc_lo, s49, v2, vcc_lo
	v_cmp_le_i32_e32 vcc_lo, s3, v0
	v_add_co_u32 v1, s0, s50, v1
	v_add_co_ci_u32_e64 v2, s0, s51, v2, s0
	s_or_b32 s8, vcc_lo, s8
	global_store_b32 v[4:5], v6, off
	s_waitcnt lgkmcnt(0)
	global_store_b32 v[1:2], v3, off
	s_and_not1_b32 exec_lo, exec_lo, s8
	s_cbranch_execz .LBB192_122
.LBB192_115:                            ; =>This Loop Header: Depth=1
                                        ;     Child Loop BB192_117 Depth 2
                                        ;     Child Loop BB192_121 Depth 2
	v_lshl_add_u32 v1, v0, 2, 0
	s_and_not1_b32 vcc_lo, exec_lo, s2
	s_mov_b32 s0, 0
	s_delay_alu instid0(VALU_DEP_1)
	v_add_nc_u32_e32 v2, 0x20000, v1
	ds_load_b32 v4, v1
	ds_load_b32 v3, v2
	v_dual_mov_b32 v1, s4 :: v_dual_mov_b32 v2, s5
	s_cbranch_vccnz .LBB192_119
; %bb.116:                              ;   in Loop: Header=BB192_115 Depth=1
	v_dual_mov_b32 v1, s4 :: v_dual_mov_b32 v2, s5
	s_mov_b32 s9, 0
	s_mov_b32 s10, 0
.LBB192_117:                            ;   Parent Loop BB192_115 Depth=1
                                        ; =>  This Inner Loop Header: Depth=2
	s_delay_alu instid0(SALU_CYCLE_1)
	v_mov_b32_e32 v11, s10
	s_add_i32 s9, s9, 8
	s_add_i32 s10, s10, 32
	s_cmp_eq_u32 s6, s9
	ds_load_2addr_b32 v[5:6], v11 offset1:1
	ds_load_2addr_b32 v[7:8], v11 offset0:2 offset1:3
	ds_load_2addr_b32 v[9:10], v11 offset0:4 offset1:5
	;; [unrolled: 1-line block ×3, first 2 shown]
	s_waitcnt lgkmcnt(3)
	v_cmp_gt_i32_e32 vcc_lo, v4, v5
	v_cndmask_b32_e64 v5, 0, 1, vcc_lo
	v_cmp_gt_i32_e32 vcc_lo, v4, v6
	v_cndmask_b32_e64 v6, 0, 1, vcc_lo
	s_waitcnt lgkmcnt(2)
	v_cmp_gt_i32_e32 vcc_lo, v4, v7
	v_cndmask_b32_e64 v7, 0, 1, vcc_lo
	v_cmp_gt_i32_e32 vcc_lo, v4, v8
	v_cndmask_b32_e64 v8, 0, 1, vcc_lo
	s_waitcnt lgkmcnt(1)
	v_cmp_gt_i32_e32 vcc_lo, v4, v9
	v_cndmask_b32_e64 v9, 0, 1, vcc_lo
	v_add_co_u32 v1, vcc_lo, v1, v5
	v_add_co_ci_u32_e32 v2, vcc_lo, 0, v2, vcc_lo
	v_cmp_gt_i32_e32 vcc_lo, v4, v10
	s_delay_alu instid0(VALU_DEP_3) | instskip(NEXT) | instid1(VALU_DEP_1)
	v_add_co_u32 v1, s0, v1, v6
	v_add_co_ci_u32_e64 v2, s0, 0, v2, s0
	v_cndmask_b32_e64 v5, 0, 1, vcc_lo
	s_delay_alu instid0(VALU_DEP_3) | instskip(NEXT) | instid1(VALU_DEP_3)
	v_add_co_u32 v1, vcc_lo, v1, v7
	v_add_co_ci_u32_e32 v2, vcc_lo, 0, v2, vcc_lo
	s_waitcnt lgkmcnt(0)
	v_cmp_gt_i32_e32 vcc_lo, v4, v11
	s_delay_alu instid0(VALU_DEP_3) | instskip(NEXT) | instid1(VALU_DEP_1)
	v_add_co_u32 v1, s0, v1, v8
	v_add_co_ci_u32_e64 v2, s0, 0, v2, s0
	v_cndmask_b32_e64 v6, 0, 1, vcc_lo
	s_delay_alu instid0(VALU_DEP_3) | instskip(NEXT) | instid1(VALU_DEP_3)
	v_add_co_u32 v1, vcc_lo, v1, v9
	v_add_co_ci_u32_e32 v2, vcc_lo, 0, v2, vcc_lo
	v_cmp_gt_i32_e32 vcc_lo, v4, v12
	s_delay_alu instid0(VALU_DEP_3) | instskip(NEXT) | instid1(VALU_DEP_1)
	v_add_co_u32 v1, s0, v1, v5
	v_add_co_ci_u32_e64 v2, s0, 0, v2, s0
	v_cndmask_b32_e64 v5, 0, 1, vcc_lo
	s_delay_alu instid0(VALU_DEP_3) | instskip(NEXT) | instid1(VALU_DEP_3)
	v_add_co_u32 v1, vcc_lo, v1, v6
	v_add_co_ci_u32_e32 v2, vcc_lo, 0, v2, vcc_lo
	s_delay_alu instid0(VALU_DEP_2) | instskip(NEXT) | instid1(VALU_DEP_2)
	v_add_co_u32 v1, vcc_lo, v1, v5
	v_add_co_ci_u32_e32 v2, vcc_lo, 0, v2, vcc_lo
	s_cbranch_scc0 .LBB192_117
; %bb.118:                              ;   in Loop: Header=BB192_115 Depth=1
	s_mov_b32 s0, s6
.LBB192_119:                            ;   in Loop: Header=BB192_115 Depth=1
	s_and_not1_b32 vcc_lo, exec_lo, s7
	s_cbranch_vccnz .LBB192_114
; %bb.120:                              ;   in Loop: Header=BB192_115 Depth=1
	s_lshl_b32 s0, s0, 2
	s_mov_b32 s9, s1
	s_add_i32 s0, s0, 0
.LBB192_121:                            ;   Parent Loop BB192_115 Depth=1
                                        ; =>  This Inner Loop Header: Depth=2
	s_delay_alu instid0(SALU_CYCLE_1)
	v_mov_b32_e32 v5, s0
	s_add_i32 s9, s9, -1
	s_add_i32 s0, s0, 4
	s_cmp_lg_u32 s9, 0
	ds_load_b32 v5, v5
	s_waitcnt lgkmcnt(0)
	v_cmp_gt_i32_e32 vcc_lo, v4, v5
	v_cndmask_b32_e64 v5, 0, 1, vcc_lo
	s_delay_alu instid0(VALU_DEP_1)
	v_add_co_u32 v1, vcc_lo, v1, v5
	v_add_co_ci_u32_e32 v2, vcc_lo, 0, v2, vcc_lo
	s_cbranch_scc1 .LBB192_121
	s_branch .LBB192_114
.LBB192_122:
	s_nop 0
	s_sendmsg sendmsg(MSG_DEALLOC_VGPRS)
	s_endpgm
	.section	.rodata,"a",@progbits
	.p2align	6, 0x0
	.amdhsa_kernel _ZN9rocsparseL26csrgemm_fill_block_per_rowILj1024ELj64ELj32768ELj137ELj32ElifEEvT5_PKS1_S3_NS_24const_host_device_scalarIT6_EEPKT4_S3_PKS5_S9_S3_SB_S6_S9_S3_SB_S9_PS1_PS5_21rocsparse_index_base_SE_SE_SE_bbb
		.amdhsa_group_segment_fixed_size 0
		.amdhsa_private_segment_fixed_size 0
		.amdhsa_kernarg_size 156
		.amdhsa_user_sgpr_count 15
		.amdhsa_user_sgpr_dispatch_ptr 0
		.amdhsa_user_sgpr_queue_ptr 0
		.amdhsa_user_sgpr_kernarg_segment_ptr 1
		.amdhsa_user_sgpr_dispatch_id 0
		.amdhsa_user_sgpr_private_segment_size 0
		.amdhsa_wavefront_size32 1
		.amdhsa_uses_dynamic_stack 0
		.amdhsa_enable_private_segment 0
		.amdhsa_system_sgpr_workgroup_id_x 1
		.amdhsa_system_sgpr_workgroup_id_y 0
		.amdhsa_system_sgpr_workgroup_id_z 0
		.amdhsa_system_sgpr_workgroup_info 0
		.amdhsa_system_vgpr_workitem_id 0
		.amdhsa_next_free_vgpr 19
		.amdhsa_next_free_sgpr 76
		.amdhsa_reserve_vcc 1
		.amdhsa_float_round_mode_32 0
		.amdhsa_float_round_mode_16_64 0
		.amdhsa_float_denorm_mode_32 3
		.amdhsa_float_denorm_mode_16_64 3
		.amdhsa_dx10_clamp 1
		.amdhsa_ieee_mode 1
		.amdhsa_fp16_overflow 0
		.amdhsa_workgroup_processor_mode 1
		.amdhsa_memory_ordered 1
		.amdhsa_forward_progress 0
		.amdhsa_shared_vgpr_count 0
		.amdhsa_exception_fp_ieee_invalid_op 0
		.amdhsa_exception_fp_denorm_src 0
		.amdhsa_exception_fp_ieee_div_zero 0
		.amdhsa_exception_fp_ieee_overflow 0
		.amdhsa_exception_fp_ieee_underflow 0
		.amdhsa_exception_fp_ieee_inexact 0
		.amdhsa_exception_int_div_zero 0
	.end_amdhsa_kernel
	.section	.text._ZN9rocsparseL26csrgemm_fill_block_per_rowILj1024ELj64ELj32768ELj137ELj32ElifEEvT5_PKS1_S3_NS_24const_host_device_scalarIT6_EEPKT4_S3_PKS5_S9_S3_SB_S6_S9_S3_SB_S9_PS1_PS5_21rocsparse_index_base_SE_SE_SE_bbb,"axG",@progbits,_ZN9rocsparseL26csrgemm_fill_block_per_rowILj1024ELj64ELj32768ELj137ELj32ElifEEvT5_PKS1_S3_NS_24const_host_device_scalarIT6_EEPKT4_S3_PKS5_S9_S3_SB_S6_S9_S3_SB_S9_PS1_PS5_21rocsparse_index_base_SE_SE_SE_bbb,comdat
.Lfunc_end192:
	.size	_ZN9rocsparseL26csrgemm_fill_block_per_rowILj1024ELj64ELj32768ELj137ELj32ElifEEvT5_PKS1_S3_NS_24const_host_device_scalarIT6_EEPKT4_S3_PKS5_S9_S3_SB_S6_S9_S3_SB_S9_PS1_PS5_21rocsparse_index_base_SE_SE_SE_bbb, .Lfunc_end192-_ZN9rocsparseL26csrgemm_fill_block_per_rowILj1024ELj64ELj32768ELj137ELj32ElifEEvT5_PKS1_S3_NS_24const_host_device_scalarIT6_EEPKT4_S3_PKS5_S9_S3_SB_S6_S9_S3_SB_S9_PS1_PS5_21rocsparse_index_base_SE_SE_SE_bbb
                                        ; -- End function
	.section	.AMDGPU.csdata,"",@progbits
; Kernel info:
; codeLenInByte = 4676
; NumSgprs: 78
; NumVgprs: 19
; ScratchSize: 0
; MemoryBound: 0
; FloatMode: 240
; IeeeMode: 1
; LDSByteSize: 0 bytes/workgroup (compile time only)
; SGPRBlocks: 9
; VGPRBlocks: 2
; NumSGPRsForWavesPerEU: 78
; NumVGPRsForWavesPerEU: 19
; Occupancy: 16
; WaveLimiterHint : 1
; COMPUTE_PGM_RSRC2:SCRATCH_EN: 0
; COMPUTE_PGM_RSRC2:USER_SGPR: 15
; COMPUTE_PGM_RSRC2:TRAP_HANDLER: 0
; COMPUTE_PGM_RSRC2:TGID_X_EN: 1
; COMPUTE_PGM_RSRC2:TGID_Y_EN: 0
; COMPUTE_PGM_RSRC2:TGID_Z_EN: 0
; COMPUTE_PGM_RSRC2:TIDIG_COMP_CNT: 0
	.section	.text._ZN9rocsparseL26csrgemm_fill_block_per_rowILj1024ELj64ELj32768ELj137ELj64ElifEEvT5_PKS1_S3_NS_24const_host_device_scalarIT6_EEPKT4_S3_PKS5_S9_S3_SB_S6_S9_S3_SB_S9_PS1_PS5_21rocsparse_index_base_SE_SE_SE_bbb,"axG",@progbits,_ZN9rocsparseL26csrgemm_fill_block_per_rowILj1024ELj64ELj32768ELj137ELj64ElifEEvT5_PKS1_S3_NS_24const_host_device_scalarIT6_EEPKT4_S3_PKS5_S9_S3_SB_S6_S9_S3_SB_S9_PS1_PS5_21rocsparse_index_base_SE_SE_SE_bbb,comdat
	.globl	_ZN9rocsparseL26csrgemm_fill_block_per_rowILj1024ELj64ELj32768ELj137ELj64ElifEEvT5_PKS1_S3_NS_24const_host_device_scalarIT6_EEPKT4_S3_PKS5_S9_S3_SB_S6_S9_S3_SB_S9_PS1_PS5_21rocsparse_index_base_SE_SE_SE_bbb ; -- Begin function _ZN9rocsparseL26csrgemm_fill_block_per_rowILj1024ELj64ELj32768ELj137ELj64ElifEEvT5_PKS1_S3_NS_24const_host_device_scalarIT6_EEPKT4_S3_PKS5_S9_S3_SB_S6_S9_S3_SB_S9_PS1_PS5_21rocsparse_index_base_SE_SE_SE_bbb
	.p2align	8
	.type	_ZN9rocsparseL26csrgemm_fill_block_per_rowILj1024ELj64ELj32768ELj137ELj64ElifEEvT5_PKS1_S3_NS_24const_host_device_scalarIT6_EEPKT4_S3_PKS5_S9_S3_SB_S6_S9_S3_SB_S9_PS1_PS5_21rocsparse_index_base_SE_SE_SE_bbb,@function
_ZN9rocsparseL26csrgemm_fill_block_per_rowILj1024ELj64ELj32768ELj137ELj64ElifEEvT5_PKS1_S3_NS_24const_host_device_scalarIT6_EEPKT4_S3_PKS5_S9_S3_SB_S6_S9_S3_SB_S9_PS1_PS5_21rocsparse_index_base_SE_SE_SE_bbb: ; @_ZN9rocsparseL26csrgemm_fill_block_per_rowILj1024ELj64ELj32768ELj137ELj64ElifEEvT5_PKS1_S3_NS_24const_host_device_scalarIT6_EEPKT4_S3_PKS5_S9_S3_SB_S6_S9_S3_SB_S9_PS1_PS5_21rocsparse_index_base_SE_SE_SE_bbb
; %bb.0:
	s_clause 0x3
	s_load_b32 s12, s[0:1], 0x98
	s_load_b128 s[24:27], s[0:1], 0x88
	s_load_b64 s[4:5], s[0:1], 0x18
	s_load_b64 s[2:3], s[0:1], 0x50
	s_waitcnt lgkmcnt(0)
	s_bitcmp1_b32 s12, 0
	s_cselect_b32 s13, -1, 0
	s_bitcmp1_b32 s12, 16
	s_cselect_b32 s14, -1, 0
	s_xor_b32 s6, s13, -1
	s_delay_alu instid0(SALU_CYCLE_1) | instskip(NEXT) | instid1(SALU_CYCLE_1)
	s_or_b32 s6, s6, s14
	s_and_b32 vcc_lo, exec_lo, s6
	s_cbranch_vccnz .LBB193_2
; %bb.1:
	s_load_b32 s4, s[4:5], 0x0
	s_waitcnt lgkmcnt(0)
	v_mov_b32_e32 v13, s4
	s_branch .LBB193_3
.LBB193_2:
	v_cndmask_b32_e64 v13, 0, s4, s13
.LBB193_3:
	s_clause 0x4
	s_load_b128 s[28:31], s[0:1], 0x78
	s_load_b256 s[16:23], s[0:1], 0x58
	s_load_b128 s[36:39], s[0:1], 0x40
	s_load_b128 s[40:43], s[0:1], 0x8
	s_load_b256 s[4:11], s[0:1], 0x20
	s_bitcmp1_b32 s12, 8
	s_cselect_b32 s12, -1, 0
	s_delay_alu instid0(SALU_CYCLE_1) | instskip(NEXT) | instid1(SALU_CYCLE_1)
	s_xor_b32 s33, s12, -1
	s_or_b32 s14, s33, s14
	s_delay_alu instid0(SALU_CYCLE_1)
	s_and_b32 vcc_lo, exec_lo, s14
	s_cbranch_vccnz .LBB193_5
; %bb.4:
	s_load_b32 s2, s[2:3], 0x0
	s_waitcnt lgkmcnt(0)
	v_mov_b32_e32 v11, s2
	s_branch .LBB193_6
.LBB193_5:
	v_cndmask_b32_e64 v11, 0, s2, s12
.LBB193_6:
	s_load_b32 s33, s[0:1], 0x0
	v_lshl_add_u32 v9, v0, 2, 0
	v_or_b32_e32 v10, 0xfffffc00, v0
	v_mov_b32_e32 v1, 0
	s_mov_b32 s0, 0
	s_delay_alu instid0(VALU_DEP_3)
	v_mov_b32_e32 v2, v9
	s_waitcnt lgkmcnt(0)
	v_dual_mov_b32 v4, v10 :: v_dual_mov_b32 v3, s33
.LBB193_7:                              ; =>This Inner Loop Header: Depth=1
	s_delay_alu instid0(VALU_DEP_1) | instskip(NEXT) | instid1(VALU_DEP_3)
	v_add_nc_u32_e32 v4, 0x400, v4
	v_add_nc_u32_e32 v5, 0x20000, v2
	ds_store_b32 v2, v3
	v_add_nc_u32_e32 v2, 0x1000, v2
	v_cmp_lt_u32_e32 vcc_lo, 0x7bff, v4
	ds_store_b32 v5, v1
	s_or_b32 s0, vcc_lo, s0
	s_delay_alu instid0(SALU_CYCLE_1)
	s_and_not1_b32 exec_lo, exec_lo, s0
	s_cbranch_execnz .LBB193_7
; %bb.8:
	s_or_b32 exec_lo, exec_lo, s0
	s_waitcnt lgkmcnt(0)
	s_barrier
	buffer_gl0_inv
	s_load_b32 s0, s[40:41], 0x0
	s_mov_b32 s1, 0
	v_lshrrev_b32_e32 v12, 6, v0
	s_waitcnt lgkmcnt(0)
	s_add_i32 s0, s0, s15
	s_delay_alu instid0(SALU_CYCLE_1) | instskip(NEXT) | instid1(SALU_CYCLE_1)
	s_lshl_b64 s[0:1], s[0:1], 2
	s_add_u32 s0, s42, s0
	s_addc_u32 s1, s43, s1
	s_and_b32 vcc_lo, exec_lo, s13
	s_load_b32 s34, s[0:1], 0x0
	s_cbranch_vccz .LBB193_28
; %bb.9:
	s_waitcnt lgkmcnt(0)
	s_ashr_i32 s35, s34, 31
	s_delay_alu instid0(SALU_CYCLE_1) | instskip(NEXT) | instid1(SALU_CYCLE_1)
	s_lshl_b64 s[0:1], s[34:35], 3
	s_add_u32 s0, s4, s0
	s_addc_u32 s1, s5, s1
	v_sub_co_u32 v1, s4, v12, s24
	s_load_b128 s[0:3], s[0:1], 0x0
	v_sub_co_ci_u32_e64 v2, null, 0, 0, s4
	s_waitcnt lgkmcnt(0)
	s_delay_alu instid0(VALU_DEP_2) | instskip(NEXT) | instid1(VALU_DEP_2)
	v_add_co_u32 v1, vcc_lo, s0, v1
	v_add_co_ci_u32_e32 v2, vcc_lo, s1, v2, vcc_lo
	s_sub_u32 s0, s2, s24
	s_subb_u32 s1, s3, 0
	s_mov_b32 s2, exec_lo
	s_delay_alu instid0(VALU_DEP_1)
	v_cmpx_gt_i64_e64 s[0:1], v[1:2]
	s_cbranch_execz .LBB193_27
; %bb.10:
	v_and_b32_e32 v3, 63, v0
	s_mov_b32 s4, s25
	s_delay_alu instid0(VALU_DEP_1) | instskip(NEXT) | instid1(VALU_DEP_1)
	v_sub_co_u32 v14, s3, v3, s25
	v_sub_co_ci_u32_e64 v15, null, 0, 0, s3
	s_mov_b32 s3, 0
	s_branch .LBB193_12
.LBB193_11:                             ;   in Loop: Header=BB193_12 Depth=1
	s_or_b32 exec_lo, exec_lo, s5
	v_add_co_u32 v1, vcc_lo, v1, 16
	v_add_co_ci_u32_e32 v2, vcc_lo, 0, v2, vcc_lo
	s_delay_alu instid0(VALU_DEP_1) | instskip(SKIP_1) | instid1(SALU_CYCLE_1)
	v_cmp_le_i64_e32 vcc_lo, s[0:1], v[1:2]
	s_or_b32 s3, vcc_lo, s3
	s_and_not1_b32 exec_lo, exec_lo, s3
	s_cbranch_execz .LBB193_27
.LBB193_12:                             ; =>This Loop Header: Depth=1
                                        ;     Child Loop BB193_15 Depth 2
                                        ;       Child Loop BB193_17 Depth 3
	v_lshlrev_b64 v[7:8], 2, v[1:2]
	s_mov_b32 s5, exec_lo
	s_delay_alu instid0(VALU_DEP_1) | instskip(NEXT) | instid1(VALU_DEP_2)
	v_add_co_u32 v3, vcc_lo, s6, v7
	v_add_co_ci_u32_e32 v4, vcc_lo, s7, v8, vcc_lo
	global_load_b32 v3, v[3:4], off
	s_waitcnt vmcnt(0)
	v_subrev_nc_u32_e32 v3, s24, v3
	s_delay_alu instid0(VALU_DEP_1) | instskip(NEXT) | instid1(VALU_DEP_1)
	v_ashrrev_i32_e32 v4, 31, v3
	v_lshlrev_b64 v[3:4], 3, v[3:4]
	s_delay_alu instid0(VALU_DEP_1) | instskip(NEXT) | instid1(VALU_DEP_2)
	v_add_co_u32 v3, vcc_lo, s10, v3
	v_add_co_ci_u32_e32 v4, vcc_lo, s11, v4, vcc_lo
	global_load_b128 v[16:19], v[3:4], off
	s_waitcnt vmcnt(0)
	v_sub_co_u32 v3, vcc_lo, v18, s4
	v_subrev_co_ci_u32_e32 v4, vcc_lo, 0, v19, vcc_lo
	v_add_co_u32 v5, vcc_lo, v16, v14
	v_add_co_ci_u32_e32 v6, vcc_lo, v17, v15, vcc_lo
	s_delay_alu instid0(VALU_DEP_1)
	v_cmpx_lt_i64_e64 v[5:6], v[3:4]
	s_cbranch_execz .LBB193_11
; %bb.13:                               ;   in Loop: Header=BB193_12 Depth=1
	v_add_co_u32 v7, vcc_lo, s8, v7
	v_add_co_ci_u32_e32 v8, vcc_lo, s9, v8, vcc_lo
	s_mov_b32 s13, 0
	global_load_b32 v7, v[7:8], off
	s_waitcnt vmcnt(0)
	v_mul_f32_e32 v7, v13, v7
	s_branch .LBB193_15
.LBB193_14:                             ;   in Loop: Header=BB193_15 Depth=2
	s_or_b32 exec_lo, exec_lo, s14
	v_add_co_u32 v5, vcc_lo, v5, 64
	v_add_co_ci_u32_e32 v6, vcc_lo, 0, v6, vcc_lo
	s_delay_alu instid0(VALU_DEP_1) | instskip(SKIP_1) | instid1(SALU_CYCLE_1)
	v_cmp_ge_i64_e32 vcc_lo, v[5:6], v[3:4]
	s_or_b32 s13, vcc_lo, s13
	s_and_not1_b32 exec_lo, exec_lo, s13
	s_cbranch_execz .LBB193_11
.LBB193_15:                             ;   Parent Loop BB193_12 Depth=1
                                        ; =>  This Loop Header: Depth=2
                                        ;       Child Loop BB193_17 Depth 3
	v_lshlrev_b64 v[16:17], 2, v[5:6]
	s_mov_b32 s14, 0
	s_delay_alu instid0(VALU_DEP_1) | instskip(NEXT) | instid1(VALU_DEP_2)
	v_add_co_u32 v18, vcc_lo, s36, v16
	v_add_co_ci_u32_e32 v19, vcc_lo, s37, v17, vcc_lo
	v_add_co_u32 v16, vcc_lo, s38, v16
	v_add_co_ci_u32_e32 v17, vcc_lo, s39, v17, vcc_lo
	global_load_b32 v8, v[18:19], off
	global_load_b32 v16, v[16:17], off
	s_waitcnt vmcnt(1)
	v_subrev_nc_u32_e32 v8, s25, v8
	s_delay_alu instid0(VALU_DEP_1) | instskip(SKIP_1) | instid1(VALU_DEP_1)
	v_mul_lo_u32 v17, 0x89, v8
	s_waitcnt vmcnt(0)
	v_dual_mul_f32 v16, v7, v16 :: v_dual_and_b32 v17, 0x7fff, v17
	s_branch .LBB193_17
.LBB193_16:                             ;   in Loop: Header=BB193_17 Depth=3
	s_or_b32 exec_lo, exec_lo, s15
	s_xor_b32 s15, s35, -1
	s_delay_alu instid0(SALU_CYCLE_1) | instskip(NEXT) | instid1(SALU_CYCLE_1)
	s_and_b32 s15, exec_lo, s15
	s_or_b32 s14, s15, s14
	s_delay_alu instid0(SALU_CYCLE_1)
	s_and_not1_b32 exec_lo, exec_lo, s14
	s_cbranch_execz .LBB193_14
.LBB193_17:                             ;   Parent Loop BB193_12 Depth=1
                                        ;     Parent Loop BB193_15 Depth=2
                                        ; =>    This Inner Loop Header: Depth=3
	s_delay_alu instid0(VALU_DEP_1)
	v_lshl_add_u32 v18, v17, 2, 0
	s_mov_b32 s15, exec_lo
                                        ; implicit-def: $sgpr35
	ds_load_b32 v19, v18
	s_waitcnt lgkmcnt(0)
	v_cmpx_ne_u32_e64 v19, v8
	s_xor_b32 s15, exec_lo, s15
	s_cbranch_execz .LBB193_25
; %bb.18:                               ;   in Loop: Header=BB193_17 Depth=3
	s_mov_b32 s40, exec_lo
                                        ; implicit-def: $sgpr35
	v_cmpx_ne_u32_e64 s33, v19
	s_xor_b32 s40, exec_lo, s40
; %bb.19:                               ;   in Loop: Header=BB193_17 Depth=3
	v_add_nc_u32_e32 v17, 1, v17
	s_mov_b32 s35, -1
                                        ; implicit-def: $vgpr18
	s_delay_alu instid0(VALU_DEP_1)
	v_and_b32_e32 v17, 0x7fff, v17
; %bb.20:                               ;   in Loop: Header=BB193_17 Depth=3
	s_and_not1_saveexec_b32 s40, s40
	s_cbranch_execz .LBB193_24
; %bb.21:                               ;   in Loop: Header=BB193_17 Depth=3
	v_mov_b32_e32 v19, s33
	s_mov_b32 s41, -1
	s_mov_b32 s42, exec_lo
	ds_cmpstore_rtn_b32 v18, v18, v8, v19
	s_waitcnt lgkmcnt(0)
	v_cmpx_eq_u32_e64 s33, v18
	s_cbranch_execz .LBB193_23
; %bb.22:                               ;   in Loop: Header=BB193_17 Depth=3
	v_lshlrev_b32_e32 v18, 2, v17
	s_xor_b32 s41, exec_lo, -1
	s_delay_alu instid0(VALU_DEP_1)
	v_add3_u32 v18, 0, v18, 0x20000
	ds_add_f32 v18, v16
.LBB193_23:                             ;   in Loop: Header=BB193_17 Depth=3
	s_or_b32 exec_lo, exec_lo, s42
	s_delay_alu instid0(SALU_CYCLE_1) | instskip(SKIP_1) | instid1(SALU_CYCLE_1)
	s_and_not1_b32 s35, s35, exec_lo
	s_and_b32 s41, s41, exec_lo
	s_or_b32 s35, s35, s41
.LBB193_24:                             ;   in Loop: Header=BB193_17 Depth=3
	s_or_b32 exec_lo, exec_lo, s40
	s_delay_alu instid0(SALU_CYCLE_1)
	s_and_b32 s35, s35, exec_lo
.LBB193_25:                             ;   in Loop: Header=BB193_17 Depth=3
	s_and_not1_saveexec_b32 s15, s15
	s_cbranch_execz .LBB193_16
; %bb.26:                               ;   in Loop: Header=BB193_17 Depth=3
	v_lshlrev_b32_e32 v18, 2, v17
	s_and_not1_b32 s35, s35, exec_lo
	s_delay_alu instid0(VALU_DEP_1)
	v_add3_u32 v18, 0, v18, 0x20000
	ds_add_f32 v18, v16
	s_branch .LBB193_16
.LBB193_27:
	s_or_b32 exec_lo, exec_lo, s2
.LBB193_28:
	s_delay_alu instid0(SALU_CYCLE_1)
	s_and_not1_b32 vcc_lo, exec_lo, s12
	s_cbranch_vccnz .LBB193_31
; %bb.29:
	s_waitcnt lgkmcnt(0)
	s_ashr_i32 s35, s34, 31
	v_sub_co_u32 v1, s4, v0, s27
	s_lshl_b64 s[0:1], s[34:35], 3
	v_sub_co_ci_u32_e64 v2, null, 0, 0, s4
	s_add_u32 s0, s16, s0
	s_addc_u32 s1, s17, s1
	s_load_b128 s[0:3], s[0:1], 0x0
	s_waitcnt lgkmcnt(0)
	v_add_co_u32 v1, vcc_lo, s0, v1
	v_add_co_ci_u32_e32 v2, vcc_lo, s1, v2, vcc_lo
	s_sub_u32 s0, s2, s27
	s_subb_u32 s1, s3, 0
	s_mov_b32 s3, 0
	s_mov_b32 s2, exec_lo
	v_cmpx_gt_i64_e64 s[0:1], v[1:2]
	s_cbranch_execnz .LBB193_68
.LBB193_30:
	s_or_b32 exec_lo, exec_lo, s2
.LBB193_31:
	v_mbcnt_lo_u32_b32 v1, -1, 0
	v_lshlrev_b32_e32 v2, 2, v12
	s_add_i32 s38, 0, 0x4003c
	v_cmp_eq_u32_e32 vcc_lo, 0x3ff, v0
	v_cmp_lt_u32_e64 s0, 63, v0
	v_xor_b32_e32 v1, 63, v1
	v_add3_u32 v3, 0, 0x40000, v2
	v_cmp_lt_u32_e64 s1, 0x7f, v0
	v_cmp_lt_u32_e64 s2, 0xbf, v0
	v_cmp_lt_u32_e64 s3, 0xff, v0
	v_lshrrev_b64 v[1:2], v1, -1
	v_cmp_lt_u32_e64 s4, 0x13f, v0
	v_cmp_lt_u32_e64 s5, 0x17f, v0
	;; [unrolled: 1-line block ×11, first 2 shown]
	v_mov_b32_e32 v2, 0
	v_mov_b32_e32 v4, s38
	s_mov_b32 s16, 0
	s_add_i32 s17, 0, 0x40000
	s_add_i32 s18, 0, 0x40004
	s_add_i32 s19, 0, 0x40008
	s_add_i32 s20, 0, 0x4000c
	s_add_i32 s21, 0, 0x40010
	s_add_i32 s24, 0, 0x40014
	s_add_i32 s25, 0, 0x40018
	s_add_i32 s27, 0, 0x4001c
	s_add_i32 s35, 0, 0x40020
	s_add_i32 s36, 0, 0x40024
	s_add_i32 s37, 0, 0x40028
	s_add_i32 s39, 0, 0x4002c
	s_add_i32 s40, 0, 0x40030
	s_add_i32 s41, 0, 0x40034
	s_add_i32 s42, 0, 0x40038
	s_waitcnt lgkmcnt(0)
	s_barrier
	buffer_gl0_inv
	s_branch .LBB193_33
.LBB193_32:                             ;   in Loop: Header=BB193_33 Depth=1
	s_or_b32 exec_lo, exec_lo, s15
	s_waitcnt lgkmcnt(0)
	s_barrier
	buffer_gl0_inv
	ds_load_b32 v5, v4
	v_add_nc_u32_e32 v10, 0x400, v10
	v_add_nc_u32_e32 v9, 0x1000, v9
	s_delay_alu instid0(VALU_DEP_2) | instskip(NEXT) | instid1(VALU_DEP_1)
	v_cmp_lt_u32_e64 s15, 0x7bff, v10
	s_or_b32 s16, s15, s16
	s_waitcnt lgkmcnt(0)
	v_add_nc_u32_e32 v2, v5, v2
	s_and_not1_b32 exec_lo, exec_lo, s16
	s_cbranch_execz .LBB193_80
.LBB193_33:                             ; =>This Inner Loop Header: Depth=1
	ds_load_b32 v5, v9
	v_add_nc_u32_e32 v6, 0x20000, v9
	ds_load_b32 v6, v6
	s_waitcnt lgkmcnt(0)
	s_barrier
	buffer_gl0_inv
	v_cmp_gt_i32_e64 s15, s33, v5
	s_delay_alu instid0(VALU_DEP_1) | instskip(NEXT) | instid1(SALU_CYCLE_1)
	s_bcnt1_i32_b32 s43, s15
	v_dual_mov_b32 v8, s43 :: v_dual_and_b32 v7, s15, v1
	s_delay_alu instid0(VALU_DEP_1)
	v_bcnt_u32_b32 v7, v7, 0
	ds_store_b32 v3, v8
	s_waitcnt lgkmcnt(0)
	s_barrier
	buffer_gl0_inv
	s_and_saveexec_b32 s43, s0
	s_cbranch_execnz .LBB193_50
; %bb.34:                               ;   in Loop: Header=BB193_33 Depth=1
	s_or_b32 exec_lo, exec_lo, s43
	s_and_saveexec_b32 s43, s1
	s_cbranch_execnz .LBB193_51
.LBB193_35:                             ;   in Loop: Header=BB193_33 Depth=1
	s_or_b32 exec_lo, exec_lo, s43
	s_and_saveexec_b32 s43, s2
	s_cbranch_execnz .LBB193_52
.LBB193_36:                             ;   in Loop: Header=BB193_33 Depth=1
	s_or_b32 exec_lo, exec_lo, s43
	s_and_saveexec_b32 s43, s3
	s_cbranch_execnz .LBB193_53
.LBB193_37:                             ;   in Loop: Header=BB193_33 Depth=1
	s_or_b32 exec_lo, exec_lo, s43
	s_and_saveexec_b32 s43, s4
	s_cbranch_execnz .LBB193_54
.LBB193_38:                             ;   in Loop: Header=BB193_33 Depth=1
	s_or_b32 exec_lo, exec_lo, s43
	s_and_saveexec_b32 s43, s5
	s_cbranch_execnz .LBB193_55
.LBB193_39:                             ;   in Loop: Header=BB193_33 Depth=1
	s_or_b32 exec_lo, exec_lo, s43
	s_and_saveexec_b32 s43, s6
	s_cbranch_execnz .LBB193_56
.LBB193_40:                             ;   in Loop: Header=BB193_33 Depth=1
	s_or_b32 exec_lo, exec_lo, s43
	s_and_saveexec_b32 s43, s7
	s_cbranch_execnz .LBB193_57
.LBB193_41:                             ;   in Loop: Header=BB193_33 Depth=1
	s_or_b32 exec_lo, exec_lo, s43
	s_and_saveexec_b32 s43, s8
	s_cbranch_execnz .LBB193_58
.LBB193_42:                             ;   in Loop: Header=BB193_33 Depth=1
	s_or_b32 exec_lo, exec_lo, s43
	s_and_saveexec_b32 s43, s9
	s_cbranch_execnz .LBB193_59
.LBB193_43:                             ;   in Loop: Header=BB193_33 Depth=1
	s_or_b32 exec_lo, exec_lo, s43
	s_and_saveexec_b32 s43, s10
	s_cbranch_execnz .LBB193_60
.LBB193_44:                             ;   in Loop: Header=BB193_33 Depth=1
	s_or_b32 exec_lo, exec_lo, s43
	s_and_saveexec_b32 s43, s11
	s_cbranch_execnz .LBB193_61
.LBB193_45:                             ;   in Loop: Header=BB193_33 Depth=1
	s_or_b32 exec_lo, exec_lo, s43
	s_and_saveexec_b32 s43, s12
	s_cbranch_execnz .LBB193_62
.LBB193_46:                             ;   in Loop: Header=BB193_33 Depth=1
	s_or_b32 exec_lo, exec_lo, s43
	s_and_saveexec_b32 s43, s13
	s_cbranch_execnz .LBB193_63
.LBB193_47:                             ;   in Loop: Header=BB193_33 Depth=1
	s_or_b32 exec_lo, exec_lo, s43
	s_and_saveexec_b32 s43, s14
	s_cbranch_execnz .LBB193_64
.LBB193_48:                             ;   in Loop: Header=BB193_33 Depth=1
	s_or_b32 exec_lo, exec_lo, s43
	s_and_saveexec_b32 s43, s15
	s_cbranch_execnz .LBB193_65
.LBB193_49:                             ;   in Loop: Header=BB193_33 Depth=1
	s_or_b32 exec_lo, exec_lo, s43
	s_and_saveexec_b32 s15, vcc_lo
	s_cbranch_execz .LBB193_32
	s_branch .LBB193_66
.LBB193_50:                             ;   in Loop: Header=BB193_33 Depth=1
	v_mov_b32_e32 v8, s17
	ds_load_b32 v8, v8
	s_waitcnt lgkmcnt(0)
	v_add_nc_u32_e32 v7, v8, v7
	s_or_b32 exec_lo, exec_lo, s43
	s_and_saveexec_b32 s43, s1
	s_cbranch_execz .LBB193_35
.LBB193_51:                             ;   in Loop: Header=BB193_33 Depth=1
	v_mov_b32_e32 v8, s18
	ds_load_b32 v8, v8
	s_waitcnt lgkmcnt(0)
	v_add_nc_u32_e32 v7, v8, v7
	s_or_b32 exec_lo, exec_lo, s43
	s_and_saveexec_b32 s43, s2
	s_cbranch_execz .LBB193_36
.LBB193_52:                             ;   in Loop: Header=BB193_33 Depth=1
	v_mov_b32_e32 v8, s19
	ds_load_b32 v8, v8
	s_waitcnt lgkmcnt(0)
	v_add_nc_u32_e32 v7, v8, v7
	s_or_b32 exec_lo, exec_lo, s43
	s_and_saveexec_b32 s43, s3
	s_cbranch_execz .LBB193_37
.LBB193_53:                             ;   in Loop: Header=BB193_33 Depth=1
	v_mov_b32_e32 v8, s20
	ds_load_b32 v8, v8
	s_waitcnt lgkmcnt(0)
	v_add_nc_u32_e32 v7, v8, v7
	s_or_b32 exec_lo, exec_lo, s43
	s_and_saveexec_b32 s43, s4
	s_cbranch_execz .LBB193_38
.LBB193_54:                             ;   in Loop: Header=BB193_33 Depth=1
	v_mov_b32_e32 v8, s21
	ds_load_b32 v8, v8
	s_waitcnt lgkmcnt(0)
	v_add_nc_u32_e32 v7, v8, v7
	s_or_b32 exec_lo, exec_lo, s43
	s_and_saveexec_b32 s43, s5
	s_cbranch_execz .LBB193_39
.LBB193_55:                             ;   in Loop: Header=BB193_33 Depth=1
	v_mov_b32_e32 v8, s24
	ds_load_b32 v8, v8
	s_waitcnt lgkmcnt(0)
	v_add_nc_u32_e32 v7, v8, v7
	s_or_b32 exec_lo, exec_lo, s43
	s_and_saveexec_b32 s43, s6
	s_cbranch_execz .LBB193_40
.LBB193_56:                             ;   in Loop: Header=BB193_33 Depth=1
	v_mov_b32_e32 v8, s25
	ds_load_b32 v8, v8
	s_waitcnt lgkmcnt(0)
	v_add_nc_u32_e32 v7, v8, v7
	s_or_b32 exec_lo, exec_lo, s43
	s_and_saveexec_b32 s43, s7
	s_cbranch_execz .LBB193_41
.LBB193_57:                             ;   in Loop: Header=BB193_33 Depth=1
	v_mov_b32_e32 v8, s27
	ds_load_b32 v8, v8
	s_waitcnt lgkmcnt(0)
	v_add_nc_u32_e32 v7, v8, v7
	s_or_b32 exec_lo, exec_lo, s43
	s_and_saveexec_b32 s43, s8
	s_cbranch_execz .LBB193_42
.LBB193_58:                             ;   in Loop: Header=BB193_33 Depth=1
	v_mov_b32_e32 v8, s35
	ds_load_b32 v8, v8
	s_waitcnt lgkmcnt(0)
	v_add_nc_u32_e32 v7, v8, v7
	s_or_b32 exec_lo, exec_lo, s43
	s_and_saveexec_b32 s43, s9
	s_cbranch_execz .LBB193_43
.LBB193_59:                             ;   in Loop: Header=BB193_33 Depth=1
	v_mov_b32_e32 v8, s36
	ds_load_b32 v8, v8
	s_waitcnt lgkmcnt(0)
	v_add_nc_u32_e32 v7, v8, v7
	s_or_b32 exec_lo, exec_lo, s43
	s_and_saveexec_b32 s43, s10
	s_cbranch_execz .LBB193_44
.LBB193_60:                             ;   in Loop: Header=BB193_33 Depth=1
	v_mov_b32_e32 v8, s37
	ds_load_b32 v8, v8
	s_waitcnt lgkmcnt(0)
	v_add_nc_u32_e32 v7, v8, v7
	s_or_b32 exec_lo, exec_lo, s43
	s_and_saveexec_b32 s43, s11
	s_cbranch_execz .LBB193_45
.LBB193_61:                             ;   in Loop: Header=BB193_33 Depth=1
	v_mov_b32_e32 v8, s39
	ds_load_b32 v8, v8
	s_waitcnt lgkmcnt(0)
	v_add_nc_u32_e32 v7, v8, v7
	s_or_b32 exec_lo, exec_lo, s43
	s_and_saveexec_b32 s43, s12
	s_cbranch_execz .LBB193_46
.LBB193_62:                             ;   in Loop: Header=BB193_33 Depth=1
	v_mov_b32_e32 v8, s40
	ds_load_b32 v8, v8
	s_waitcnt lgkmcnt(0)
	v_add_nc_u32_e32 v7, v8, v7
	s_or_b32 exec_lo, exec_lo, s43
	s_and_saveexec_b32 s43, s13
	s_cbranch_execz .LBB193_47
.LBB193_63:                             ;   in Loop: Header=BB193_33 Depth=1
	v_mov_b32_e32 v8, s41
	ds_load_b32 v8, v8
	s_waitcnt lgkmcnt(0)
	v_add_nc_u32_e32 v7, v8, v7
	s_or_b32 exec_lo, exec_lo, s43
	s_and_saveexec_b32 s43, s14
	s_cbranch_execz .LBB193_48
.LBB193_64:                             ;   in Loop: Header=BB193_33 Depth=1
	v_mov_b32_e32 v8, s42
	ds_load_b32 v8, v8
	s_waitcnt lgkmcnt(0)
	v_add_nc_u32_e32 v7, v8, v7
	s_or_b32 exec_lo, exec_lo, s43
	s_and_saveexec_b32 s43, s15
	s_cbranch_execz .LBB193_49
.LBB193_65:                             ;   in Loop: Header=BB193_33 Depth=1
	s_delay_alu instid0(VALU_DEP_1) | instskip(NEXT) | instid1(VALU_DEP_1)
	v_add3_u32 v8, v2, -1, v7
	v_lshl_add_u32 v8, v8, 2, 0
	s_delay_alu instid0(VALU_DEP_1)
	v_add_nc_u32_e32 v11, 0x20000, v8
	ds_store_b32 v8, v5
	ds_store_b32 v11, v6
	s_or_b32 exec_lo, exec_lo, s43
	s_and_saveexec_b32 s15, vcc_lo
	s_cbranch_execz .LBB193_32
.LBB193_66:                             ;   in Loop: Header=BB193_33 Depth=1
	v_mov_b32_e32 v5, s38
	ds_store_b32 v5, v7
	s_branch .LBB193_32
.LBB193_67:                             ;   in Loop: Header=BB193_68 Depth=1
	s_or_b32 exec_lo, exec_lo, s4
	v_add_co_u32 v1, vcc_lo, 0x400, v1
	v_add_co_ci_u32_e32 v2, vcc_lo, 0, v2, vcc_lo
	s_delay_alu instid0(VALU_DEP_1) | instskip(SKIP_1) | instid1(SALU_CYCLE_1)
	v_cmp_le_i64_e32 vcc_lo, s[0:1], v[1:2]
	s_or_b32 s3, vcc_lo, s3
	s_and_not1_b32 exec_lo, exec_lo, s3
	s_cbranch_execz .LBB193_30
.LBB193_68:                             ; =>This Loop Header: Depth=1
                                        ;     Child Loop BB193_70 Depth 2
	v_lshlrev_b64 v[3:4], 2, v[1:2]
	s_mov_b32 s4, 0
	s_delay_alu instid0(VALU_DEP_1) | instskip(NEXT) | instid1(VALU_DEP_2)
	v_add_co_u32 v5, vcc_lo, s18, v3
	v_add_co_ci_u32_e32 v6, vcc_lo, s19, v4, vcc_lo
	v_add_co_u32 v3, vcc_lo, s20, v3
	v_add_co_ci_u32_e32 v4, vcc_lo, s21, v4, vcc_lo
	global_load_b32 v5, v[5:6], off
	global_load_b32 v4, v[3:4], off
	s_waitcnt vmcnt(1)
	v_subrev_nc_u32_e32 v3, s27, v5
	s_delay_alu instid0(VALU_DEP_1) | instskip(SKIP_1) | instid1(VALU_DEP_1)
	v_mul_lo_u32 v5, 0x89, v3
	s_waitcnt vmcnt(0)
	v_dual_mul_f32 v4, v11, v4 :: v_dual_and_b32 v5, 0x7fff, v5
	s_branch .LBB193_70
.LBB193_69:                             ;   in Loop: Header=BB193_70 Depth=2
	s_or_b32 exec_lo, exec_lo, s5
	s_xor_b32 s5, s6, -1
	s_delay_alu instid0(SALU_CYCLE_1) | instskip(NEXT) | instid1(SALU_CYCLE_1)
	s_and_b32 s5, exec_lo, s5
	s_or_b32 s4, s5, s4
	s_delay_alu instid0(SALU_CYCLE_1)
	s_and_not1_b32 exec_lo, exec_lo, s4
	s_cbranch_execz .LBB193_67
.LBB193_70:                             ;   Parent Loop BB193_68 Depth=1
                                        ; =>  This Inner Loop Header: Depth=2
	s_delay_alu instid0(VALU_DEP_1)
	v_lshl_add_u32 v6, v5, 2, 0
	s_mov_b32 s5, exec_lo
                                        ; implicit-def: $sgpr6
	ds_load_b32 v7, v6
	s_waitcnt lgkmcnt(0)
	v_cmpx_ne_u32_e64 v7, v3
	s_xor_b32 s5, exec_lo, s5
	s_cbranch_execz .LBB193_78
; %bb.71:                               ;   in Loop: Header=BB193_70 Depth=2
	s_mov_b32 s7, exec_lo
                                        ; implicit-def: $sgpr6
	v_cmpx_ne_u32_e64 s33, v7
	s_xor_b32 s7, exec_lo, s7
; %bb.72:                               ;   in Loop: Header=BB193_70 Depth=2
	v_add_nc_u32_e32 v5, 1, v5
	s_mov_b32 s6, -1
                                        ; implicit-def: $vgpr6
	s_delay_alu instid0(VALU_DEP_1)
	v_and_b32_e32 v5, 0x7fff, v5
; %bb.73:                               ;   in Loop: Header=BB193_70 Depth=2
	s_and_not1_saveexec_b32 s7, s7
	s_cbranch_execz .LBB193_77
; %bb.74:                               ;   in Loop: Header=BB193_70 Depth=2
	v_mov_b32_e32 v7, s33
	s_mov_b32 s8, -1
	s_mov_b32 s9, exec_lo
	ds_cmpstore_rtn_b32 v6, v6, v3, v7
	s_waitcnt lgkmcnt(0)
	v_cmpx_eq_u32_e64 s33, v6
	s_cbranch_execz .LBB193_76
; %bb.75:                               ;   in Loop: Header=BB193_70 Depth=2
	v_lshlrev_b32_e32 v6, 2, v5
	s_xor_b32 s8, exec_lo, -1
	s_delay_alu instid0(VALU_DEP_1)
	v_add3_u32 v6, 0, v6, 0x20000
	ds_add_f32 v6, v4
.LBB193_76:                             ;   in Loop: Header=BB193_70 Depth=2
	s_or_b32 exec_lo, exec_lo, s9
	s_delay_alu instid0(SALU_CYCLE_1) | instskip(SKIP_1) | instid1(SALU_CYCLE_1)
	s_and_not1_b32 s6, s6, exec_lo
	s_and_b32 s8, s8, exec_lo
	s_or_b32 s6, s6, s8
.LBB193_77:                             ;   in Loop: Header=BB193_70 Depth=2
	s_or_b32 exec_lo, exec_lo, s7
	s_delay_alu instid0(SALU_CYCLE_1)
	s_and_b32 s6, s6, exec_lo
.LBB193_78:                             ;   in Loop: Header=BB193_70 Depth=2
	s_and_not1_saveexec_b32 s5, s5
	s_cbranch_execz .LBB193_69
; %bb.79:                               ;   in Loop: Header=BB193_70 Depth=2
	v_lshlrev_b32_e32 v6, 2, v5
	s_and_not1_b32 s6, s6, exec_lo
	s_delay_alu instid0(VALU_DEP_1)
	v_add3_u32 v6, 0, v6, 0x20000
	ds_add_f32 v6, v4
	s_branch .LBB193_69
.LBB193_80:
	s_or_b32 exec_lo, exec_lo, s16
	s_ashr_i32 s35, s34, 31
	s_mov_b32 s4, exec_lo
	s_lshl_b64 s[0:1], s[34:35], 3
	s_delay_alu instid0(SALU_CYCLE_1) | instskip(SKIP_4) | instid1(SALU_CYCLE_1)
	s_add_u32 s0, s22, s0
	s_addc_u32 s1, s23, s1
	s_load_b128 s[0:3], s[0:1], 0x0
	s_waitcnt lgkmcnt(0)
	s_sub_i32 s3, s2, s0
	v_cmpx_gt_i32_e64 s3, v0
	s_cbranch_execz .LBB193_90
; %bb.81:
	s_sub_u32 s4, s0, s26
	s_subb_u32 s5, s1, 0
	s_sub_i32 s0, s0, s2
	s_and_b32 s1, s3, 7
	s_cmp_lt_u32 s0, -7
	s_mov_b32 s8, 0
	s_cselect_b32 s2, -1, 0
	s_and_b32 s6, s3, -8
	s_cmp_lg_u32 s1, 0
	s_cselect_b32 s7, -1, 0
	s_branch .LBB193_83
.LBB193_82:                             ;   in Loop: Header=BB193_83 Depth=1
	s_delay_alu instid0(VALU_DEP_1) | instskip(SKIP_3) | instid1(VALU_DEP_3)
	v_lshlrev_b64 v[1:2], 2, v[1:2]
	v_add_nc_u32_e32 v0, 0x400, v0
	s_waitcnt lgkmcnt(1)
	v_add_nc_u32_e32 v6, s26, v4
	v_add_co_u32 v4, vcc_lo, s28, v1
	s_delay_alu instid0(VALU_DEP_4) | instskip(SKIP_2) | instid1(VALU_DEP_1)
	v_add_co_ci_u32_e32 v5, vcc_lo, s29, v2, vcc_lo
	v_cmp_le_i32_e32 vcc_lo, s3, v0
	v_add_co_u32 v1, s0, s30, v1
	v_add_co_ci_u32_e64 v2, s0, s31, v2, s0
	s_or_b32 s8, vcc_lo, s8
	global_store_b32 v[4:5], v6, off
	s_waitcnt lgkmcnt(0)
	global_store_b32 v[1:2], v3, off
	s_and_not1_b32 exec_lo, exec_lo, s8
	s_cbranch_execz .LBB193_90
.LBB193_83:                             ; =>This Loop Header: Depth=1
                                        ;     Child Loop BB193_85 Depth 2
                                        ;     Child Loop BB193_89 Depth 2
	v_lshl_add_u32 v1, v0, 2, 0
	s_and_not1_b32 vcc_lo, exec_lo, s2
	s_mov_b32 s0, 0
	s_delay_alu instid0(VALU_DEP_1)
	v_add_nc_u32_e32 v2, 0x20000, v1
	ds_load_b32 v4, v1
	ds_load_b32 v3, v2
	v_dual_mov_b32 v1, s4 :: v_dual_mov_b32 v2, s5
	s_cbranch_vccnz .LBB193_87
; %bb.84:                               ;   in Loop: Header=BB193_83 Depth=1
	v_dual_mov_b32 v1, s4 :: v_dual_mov_b32 v2, s5
	s_mov_b32 s9, 0
	s_mov_b32 s10, 0
.LBB193_85:                             ;   Parent Loop BB193_83 Depth=1
                                        ; =>  This Inner Loop Header: Depth=2
	s_delay_alu instid0(SALU_CYCLE_1)
	v_mov_b32_e32 v11, s10
	s_add_i32 s9, s9, 8
	s_add_i32 s10, s10, 32
	s_cmp_eq_u32 s6, s9
	ds_load_2addr_b32 v[5:6], v11 offset1:1
	ds_load_2addr_b32 v[7:8], v11 offset0:2 offset1:3
	ds_load_2addr_b32 v[9:10], v11 offset0:4 offset1:5
	;; [unrolled: 1-line block ×3, first 2 shown]
	s_waitcnt lgkmcnt(3)
	v_cmp_gt_i32_e32 vcc_lo, v4, v5
	v_cndmask_b32_e64 v5, 0, 1, vcc_lo
	v_cmp_gt_i32_e32 vcc_lo, v4, v6
	v_cndmask_b32_e64 v6, 0, 1, vcc_lo
	s_waitcnt lgkmcnt(2)
	v_cmp_gt_i32_e32 vcc_lo, v4, v7
	v_cndmask_b32_e64 v7, 0, 1, vcc_lo
	v_cmp_gt_i32_e32 vcc_lo, v4, v8
	v_cndmask_b32_e64 v8, 0, 1, vcc_lo
	s_waitcnt lgkmcnt(1)
	v_cmp_gt_i32_e32 vcc_lo, v4, v9
	v_cndmask_b32_e64 v9, 0, 1, vcc_lo
	v_add_co_u32 v1, vcc_lo, v1, v5
	v_add_co_ci_u32_e32 v2, vcc_lo, 0, v2, vcc_lo
	v_cmp_gt_i32_e32 vcc_lo, v4, v10
	s_delay_alu instid0(VALU_DEP_3) | instskip(NEXT) | instid1(VALU_DEP_1)
	v_add_co_u32 v1, s0, v1, v6
	v_add_co_ci_u32_e64 v2, s0, 0, v2, s0
	v_cndmask_b32_e64 v5, 0, 1, vcc_lo
	s_delay_alu instid0(VALU_DEP_3) | instskip(NEXT) | instid1(VALU_DEP_3)
	v_add_co_u32 v1, vcc_lo, v1, v7
	v_add_co_ci_u32_e32 v2, vcc_lo, 0, v2, vcc_lo
	s_waitcnt lgkmcnt(0)
	v_cmp_gt_i32_e32 vcc_lo, v4, v11
	s_delay_alu instid0(VALU_DEP_3) | instskip(NEXT) | instid1(VALU_DEP_1)
	v_add_co_u32 v1, s0, v1, v8
	v_add_co_ci_u32_e64 v2, s0, 0, v2, s0
	v_cndmask_b32_e64 v6, 0, 1, vcc_lo
	s_delay_alu instid0(VALU_DEP_3) | instskip(NEXT) | instid1(VALU_DEP_3)
	v_add_co_u32 v1, vcc_lo, v1, v9
	v_add_co_ci_u32_e32 v2, vcc_lo, 0, v2, vcc_lo
	v_cmp_gt_i32_e32 vcc_lo, v4, v12
	s_delay_alu instid0(VALU_DEP_3) | instskip(NEXT) | instid1(VALU_DEP_1)
	v_add_co_u32 v1, s0, v1, v5
	v_add_co_ci_u32_e64 v2, s0, 0, v2, s0
	v_cndmask_b32_e64 v5, 0, 1, vcc_lo
	s_delay_alu instid0(VALU_DEP_3) | instskip(NEXT) | instid1(VALU_DEP_3)
	v_add_co_u32 v1, vcc_lo, v1, v6
	v_add_co_ci_u32_e32 v2, vcc_lo, 0, v2, vcc_lo
	s_delay_alu instid0(VALU_DEP_2) | instskip(NEXT) | instid1(VALU_DEP_2)
	v_add_co_u32 v1, vcc_lo, v1, v5
	v_add_co_ci_u32_e32 v2, vcc_lo, 0, v2, vcc_lo
	s_cbranch_scc0 .LBB193_85
; %bb.86:                               ;   in Loop: Header=BB193_83 Depth=1
	s_mov_b32 s0, s6
.LBB193_87:                             ;   in Loop: Header=BB193_83 Depth=1
	s_and_not1_b32 vcc_lo, exec_lo, s7
	s_cbranch_vccnz .LBB193_82
; %bb.88:                               ;   in Loop: Header=BB193_83 Depth=1
	s_lshl_b32 s0, s0, 2
	s_mov_b32 s9, s1
	s_add_i32 s0, s0, 0
.LBB193_89:                             ;   Parent Loop BB193_83 Depth=1
                                        ; =>  This Inner Loop Header: Depth=2
	s_delay_alu instid0(SALU_CYCLE_1)
	v_mov_b32_e32 v5, s0
	s_add_i32 s9, s9, -1
	s_add_i32 s0, s0, 4
	s_cmp_lg_u32 s9, 0
	ds_load_b32 v5, v5
	s_waitcnt lgkmcnt(0)
	v_cmp_gt_i32_e32 vcc_lo, v4, v5
	v_cndmask_b32_e64 v5, 0, 1, vcc_lo
	s_delay_alu instid0(VALU_DEP_1)
	v_add_co_u32 v1, vcc_lo, v1, v5
	v_add_co_ci_u32_e32 v2, vcc_lo, 0, v2, vcc_lo
	s_cbranch_scc1 .LBB193_89
	s_branch .LBB193_82
.LBB193_90:
	s_nop 0
	s_sendmsg sendmsg(MSG_DEALLOC_VGPRS)
	s_endpgm
	.section	.rodata,"a",@progbits
	.p2align	6, 0x0
	.amdhsa_kernel _ZN9rocsparseL26csrgemm_fill_block_per_rowILj1024ELj64ELj32768ELj137ELj64ElifEEvT5_PKS1_S3_NS_24const_host_device_scalarIT6_EEPKT4_S3_PKS5_S9_S3_SB_S6_S9_S3_SB_S9_PS1_PS5_21rocsparse_index_base_SE_SE_SE_bbb
		.amdhsa_group_segment_fixed_size 0
		.amdhsa_private_segment_fixed_size 0
		.amdhsa_kernarg_size 156
		.amdhsa_user_sgpr_count 15
		.amdhsa_user_sgpr_dispatch_ptr 0
		.amdhsa_user_sgpr_queue_ptr 0
		.amdhsa_user_sgpr_kernarg_segment_ptr 1
		.amdhsa_user_sgpr_dispatch_id 0
		.amdhsa_user_sgpr_private_segment_size 0
		.amdhsa_wavefront_size32 1
		.amdhsa_uses_dynamic_stack 0
		.amdhsa_enable_private_segment 0
		.amdhsa_system_sgpr_workgroup_id_x 1
		.amdhsa_system_sgpr_workgroup_id_y 0
		.amdhsa_system_sgpr_workgroup_id_z 0
		.amdhsa_system_sgpr_workgroup_info 0
		.amdhsa_system_vgpr_workitem_id 0
		.amdhsa_next_free_vgpr 20
		.amdhsa_next_free_sgpr 44
		.amdhsa_reserve_vcc 1
		.amdhsa_float_round_mode_32 0
		.amdhsa_float_round_mode_16_64 0
		.amdhsa_float_denorm_mode_32 3
		.amdhsa_float_denorm_mode_16_64 3
		.amdhsa_dx10_clamp 1
		.amdhsa_ieee_mode 1
		.amdhsa_fp16_overflow 0
		.amdhsa_workgroup_processor_mode 1
		.amdhsa_memory_ordered 1
		.amdhsa_forward_progress 0
		.amdhsa_shared_vgpr_count 0
		.amdhsa_exception_fp_ieee_invalid_op 0
		.amdhsa_exception_fp_denorm_src 0
		.amdhsa_exception_fp_ieee_div_zero 0
		.amdhsa_exception_fp_ieee_overflow 0
		.amdhsa_exception_fp_ieee_underflow 0
		.amdhsa_exception_fp_ieee_inexact 0
		.amdhsa_exception_int_div_zero 0
	.end_amdhsa_kernel
	.section	.text._ZN9rocsparseL26csrgemm_fill_block_per_rowILj1024ELj64ELj32768ELj137ELj64ElifEEvT5_PKS1_S3_NS_24const_host_device_scalarIT6_EEPKT4_S3_PKS5_S9_S3_SB_S6_S9_S3_SB_S9_PS1_PS5_21rocsparse_index_base_SE_SE_SE_bbb,"axG",@progbits,_ZN9rocsparseL26csrgemm_fill_block_per_rowILj1024ELj64ELj32768ELj137ELj64ElifEEvT5_PKS1_S3_NS_24const_host_device_scalarIT6_EEPKT4_S3_PKS5_S9_S3_SB_S6_S9_S3_SB_S9_PS1_PS5_21rocsparse_index_base_SE_SE_SE_bbb,comdat
.Lfunc_end193:
	.size	_ZN9rocsparseL26csrgemm_fill_block_per_rowILj1024ELj64ELj32768ELj137ELj64ElifEEvT5_PKS1_S3_NS_24const_host_device_scalarIT6_EEPKT4_S3_PKS5_S9_S3_SB_S6_S9_S3_SB_S9_PS1_PS5_21rocsparse_index_base_SE_SE_SE_bbb, .Lfunc_end193-_ZN9rocsparseL26csrgemm_fill_block_per_rowILj1024ELj64ELj32768ELj137ELj64ElifEEvT5_PKS1_S3_NS_24const_host_device_scalarIT6_EEPKT4_S3_PKS5_S9_S3_SB_S6_S9_S3_SB_S9_PS1_PS5_21rocsparse_index_base_SE_SE_SE_bbb
                                        ; -- End function
	.section	.AMDGPU.csdata,"",@progbits
; Kernel info:
; codeLenInByte = 3644
; NumSgprs: 46
; NumVgprs: 20
; ScratchSize: 0
; MemoryBound: 0
; FloatMode: 240
; IeeeMode: 1
; LDSByteSize: 0 bytes/workgroup (compile time only)
; SGPRBlocks: 5
; VGPRBlocks: 2
; NumSGPRsForWavesPerEU: 46
; NumVGPRsForWavesPerEU: 20
; Occupancy: 16
; WaveLimiterHint : 1
; COMPUTE_PGM_RSRC2:SCRATCH_EN: 0
; COMPUTE_PGM_RSRC2:USER_SGPR: 15
; COMPUTE_PGM_RSRC2:TRAP_HANDLER: 0
; COMPUTE_PGM_RSRC2:TGID_X_EN: 1
; COMPUTE_PGM_RSRC2:TGID_Y_EN: 0
; COMPUTE_PGM_RSRC2:TGID_Z_EN: 0
; COMPUTE_PGM_RSRC2:TIDIG_COMP_CNT: 0
	.section	.text._ZN9rocsparseL36csrgemm_fill_block_per_row_multipassILj512ELj16ELj2048ELj32ElifEEvT4_PKS1_S3_NS_24const_host_device_scalarIT5_EEPKT3_S3_PKS5_S9_S3_SB_S6_S9_S3_SB_S9_PS1_PS5_PS7_21rocsparse_index_base_SF_SF_SF_bbb,"axG",@progbits,_ZN9rocsparseL36csrgemm_fill_block_per_row_multipassILj512ELj16ELj2048ELj32ElifEEvT4_PKS1_S3_NS_24const_host_device_scalarIT5_EEPKT3_S3_PKS5_S9_S3_SB_S6_S9_S3_SB_S9_PS1_PS5_PS7_21rocsparse_index_base_SF_SF_SF_bbb,comdat
	.globl	_ZN9rocsparseL36csrgemm_fill_block_per_row_multipassILj512ELj16ELj2048ELj32ElifEEvT4_PKS1_S3_NS_24const_host_device_scalarIT5_EEPKT3_S3_PKS5_S9_S3_SB_S6_S9_S3_SB_S9_PS1_PS5_PS7_21rocsparse_index_base_SF_SF_SF_bbb ; -- Begin function _ZN9rocsparseL36csrgemm_fill_block_per_row_multipassILj512ELj16ELj2048ELj32ElifEEvT4_PKS1_S3_NS_24const_host_device_scalarIT5_EEPKT3_S3_PKS5_S9_S3_SB_S6_S9_S3_SB_S9_PS1_PS5_PS7_21rocsparse_index_base_SF_SF_SF_bbb
	.p2align	8
	.type	_ZN9rocsparseL36csrgemm_fill_block_per_row_multipassILj512ELj16ELj2048ELj32ElifEEvT4_PKS1_S3_NS_24const_host_device_scalarIT5_EEPKT3_S3_PKS5_S9_S3_SB_S6_S9_S3_SB_S9_PS1_PS5_PS7_21rocsparse_index_base_SF_SF_SF_bbb,@function
_ZN9rocsparseL36csrgemm_fill_block_per_row_multipassILj512ELj16ELj2048ELj32ElifEEvT4_PKS1_S3_NS_24const_host_device_scalarIT5_EEPKT3_S3_PKS5_S9_S3_SB_S6_S9_S3_SB_S9_PS1_PS5_PS7_21rocsparse_index_base_SF_SF_SF_bbb: ; @_ZN9rocsparseL36csrgemm_fill_block_per_row_multipassILj512ELj16ELj2048ELj32ElifEEvT4_PKS1_S3_NS_24const_host_device_scalarIT5_EEPKT3_S3_PKS5_S9_S3_SB_S6_S9_S3_SB_S9_PS1_PS5_PS7_21rocsparse_index_base_SF_SF_SF_bbb
; %bb.0:
	s_clause 0x4
	s_load_b32 s11, s[0:1], 0xa0
	s_load_b128 s[4:7], s[0:1], 0x8
	s_load_b64 s[8:9], s[0:1], 0x18
	s_load_b128 s[28:31], s[0:1], 0x90
	s_load_b64 s[2:3], s[0:1], 0x50
	s_waitcnt lgkmcnt(0)
	s_bitcmp1_b32 s11, 0
	s_cselect_b32 s10, -1, 0
	s_bitcmp1_b32 s11, 16
	s_cselect_b32 s12, -1, 0
	s_xor_b32 s13, s10, -1
	s_delay_alu instid0(SALU_CYCLE_1) | instskip(NEXT) | instid1(SALU_CYCLE_1)
	s_or_b32 s13, s13, s12
	s_and_b32 vcc_lo, exec_lo, s13
	s_cbranch_vccnz .LBB194_2
; %bb.1:
	s_load_b32 s8, s[8:9], 0x0
	s_waitcnt lgkmcnt(0)
	v_mov_b32_e32 v24, s8
	s_branch .LBB194_3
.LBB194_2:
	v_cndmask_b32_e64 v24, 0, s8, s10
.LBB194_3:
	s_load_b64 s[8:9], s[0:1], 0x20
	s_bitcmp1_b32 s11, 8
	s_cselect_b32 s33, -1, 0
	s_delay_alu instid0(SALU_CYCLE_1) | instskip(NEXT) | instid1(SALU_CYCLE_1)
	s_xor_b32 s11, s33, -1
	s_or_b32 s11, s11, s12
	s_delay_alu instid0(SALU_CYCLE_1)
	s_and_b32 vcc_lo, exec_lo, s11
	s_cbranch_vccnz .LBB194_5
; %bb.4:
	s_load_b32 s2, s[2:3], 0x0
	s_waitcnt lgkmcnt(0)
	v_mov_b32_e32 v25, s2
	s_branch .LBB194_6
.LBB194_5:
	v_cndmask_b32_e64 v25, 0, s2, s33
.LBB194_6:
	s_load_b32 s2, s[4:5], 0x0
	s_mov_b32 s3, 0
	s_mov_b64 s[34:35], 0
	s_waitcnt lgkmcnt(0)
	s_add_i32 s2, s2, s15
	s_delay_alu instid0(SALU_CYCLE_1) | instskip(NEXT) | instid1(SALU_CYCLE_1)
	s_lshl_b64 s[2:3], s[2:3], 2
	s_add_u32 s2, s6, s2
	s_addc_u32 s3, s7, s3
	s_and_not1_b32 vcc_lo, exec_lo, s10
	s_load_b32 s4, s[2:3], 0x0
	s_mov_b64 s[2:3], 0
	s_cbranch_vccz .LBB194_9
; %bb.7:
	s_and_not1_b32 vcc_lo, exec_lo, s10
	s_cbranch_vccz .LBB194_10
.LBB194_8:
	s_load_b32 s52, s[0:1], 0x0
	s_waitcnt lgkmcnt(0)
	s_cmp_lt_i32 s52, 1
	s_cbranch_scc0 .LBB194_11
	s_branch .LBB194_64
.LBB194_9:
	s_waitcnt lgkmcnt(0)
	s_ashr_i32 s5, s4, 31
	s_delay_alu instid0(SALU_CYCLE_1) | instskip(NEXT) | instid1(SALU_CYCLE_1)
	s_lshl_b64 s[2:3], s[4:5], 3
	s_add_u32 s2, s8, s2
	s_addc_u32 s3, s9, s3
	s_load_b64 s[2:3], s[2:3], 0x0
	s_waitcnt lgkmcnt(0)
	s_sub_u32 s2, s2, s28
	s_subb_u32 s3, s3, 0
	s_and_not1_b32 vcc_lo, exec_lo, s10
	s_cbranch_vccnz .LBB194_8
.LBB194_10:
	s_waitcnt lgkmcnt(0)
	s_ashr_i32 s5, s4, 31
	s_delay_alu instid0(SALU_CYCLE_1) | instskip(NEXT) | instid1(SALU_CYCLE_1)
	s_lshl_b64 s[6:7], s[4:5], 3
	s_add_u32 s6, s8, s6
	s_addc_u32 s7, s9, s7
	s_load_b64 s[6:7], s[6:7], 0x8
	s_waitcnt lgkmcnt(0)
	s_sub_u32 s34, s6, s28
	s_subb_u32 s35, s7, 0
	s_load_b32 s52, s[0:1], 0x0
	s_waitcnt lgkmcnt(0)
	s_cmp_lt_i32 s52, 1
	s_cbranch_scc1 .LBB194_64
.LBB194_11:
	s_clause 0x4
	s_load_b256 s[20:27], s[0:1], 0x58
	s_load_b64 s[48:49], s[0:1], 0x88
	s_load_b128 s[44:47], s[0:1], 0x78
	s_load_b64 s[50:51], s[0:1], 0x48
	s_load_b256 s[36:43], s[0:1], 0x28
	v_mbcnt_lo_u32_b32 v3, -1, 0
	s_ashr_i32 s5, s4, 31
	v_lshrrev_b32_e32 v1, 4, v0
	s_lshl_b64 s[4:5], s[4:5], 3
	v_sub_co_u32 v28, s1, v0, s31
	v_xor_b32_e32 v4, 8, v3
	v_sub_co_ci_u32_e64 v29, null, 0, 0, s1
	v_add_co_u32 v1, s1, s2, v1
	v_xor_b32_e32 v6, 4, v3
	s_delay_alu instid0(VALU_DEP_4)
	v_cmp_gt_i32_e64 s2, 32, v4
	v_xor_b32_e32 v7, 2, v3
	v_xor_b32_e32 v8, 1, v3
	s_waitcnt lgkmcnt(0)
	s_add_u32 s6, s26, s4
	s_addc_u32 s7, s27, s5
	v_cndmask_b32_e64 v4, v3, v4, s2
	s_load_b64 s[6:7], s[6:7], 0x0
	v_cmp_gt_i32_e64 s2, 32, v6
	v_add_co_ci_u32_e64 v2, null, s3, 0, s1
	v_xor_b32_e32 v9, 63, v3
	v_lshrrev_b32_e32 v5, 3, v0
	s_delay_alu instid0(VALU_DEP_4) | instskip(SKIP_4) | instid1(VALU_DEP_4)
	v_cndmask_b32_e64 v6, v3, v6, s2
	v_cmp_gt_i32_e64 s2, 32, v7
	v_cmp_gt_i64_e32 vcc_lo, s[34:35], v[1:2]
	v_dual_mov_b32 v27, 0 :: v_dual_and_b32 v26, 15, v0
	v_dual_mov_b32 v39, 0x800 :: v_dual_lshlrev_b32 v30, 2, v4
	v_cndmask_b32_e64 v7, v3, v7, s2
	v_cmp_gt_i32_e64 s2, 32, v8
	v_dual_mov_b32 v37, 1 :: v_dual_and_b32 v34, 60, v5
	v_cmp_eq_u32_e64 s0, 0, v0
	v_cmp_eq_u32_e64 s1, 15, v26
	s_delay_alu instid0(VALU_DEP_4)
	v_cndmask_b32_e64 v3, v3, v8, s2
	s_waitcnt lgkmcnt(0)
	s_sub_u32 s18, s6, s30
	s_subb_u32 s19, s7, 0
	s_add_u32 s26, s20, s4
	s_addc_u32 s27, s21, s5
	s_and_b32 s55, s10, vcc_lo
	v_dual_mov_b32 v38, 0 :: v_dual_lshlrev_b32 v33, 2, v3
	v_lshrrev_b64 v[3:4], v9, -1
	s_add_u32 s56, s40, 8
	v_dual_mov_b32 v4, s18 :: v_dual_lshlrev_b32 v31, 2, v6
	s_addc_u32 s57, s41, 0
	v_dual_mov_b32 v5, s19 :: v_dual_lshlrev_b32 v32, 2, v7
	v_cmp_eq_u32_e64 s2, 0x1ff, v0
	v_cmp_gt_u32_e64 s3, 32, v0
	v_cmp_gt_u32_e64 s4, 64, v0
	v_cmp_gt_u32_e64 s5, 0x60, v0
	v_cmp_gt_u32_e64 s6, 0x80, v0
	v_cmp_gt_u32_e64 s7, 0xa0, v0
	v_cmp_gt_u32_e64 s8, 0xc0, v0
	v_cmp_gt_u32_e64 s9, 0xe0, v0
	v_cmp_gt_u32_e64 s10, 0x100, v0
	v_cmp_gt_u32_e64 s11, 0x120, v0
	v_cmp_gt_u32_e64 s12, 0x140, v0
	v_cmp_gt_u32_e64 s13, 0x160, v0
	v_cmp_gt_u32_e64 s14, 0x180, v0
	v_cmp_gt_u32_e64 s15, 0x1a0, v0
	v_cmp_gt_u32_e64 s16, 0x1c0, v0
	v_cmp_gt_u32_e64 s17, 0x1e0, v0
	s_add_u32 s44, s44, -4
	v_or_b32_e32 v35, 0xfffffe00, v0
	v_lshlrev_b32_e32 v36, 2, v0
	s_addc_u32 s45, s45, -1
	s_add_u32 s46, s46, -4
	s_mov_b32 s53, s29
	s_mov_b32 s54, s31
	s_addc_u32 s47, s47, -1
	s_branch .LBB194_13
.LBB194_12:                             ;   in Loop: Header=BB194_13 Depth=1
	s_or_b32 exec_lo, exec_lo, s19
	ds_load_b32 v38, v27 offset:10240
	s_waitcnt lgkmcnt(0)
	s_barrier
	buffer_gl0_inv
	v_cmp_le_i32_e32 vcc_lo, s52, v38
	v_add_nc_u32_e32 v39, 0x800, v38
	s_cbranch_vccnz .LBB194_64
.LBB194_13:                             ; =>This Loop Header: Depth=1
                                        ;     Child Loop BB194_14 Depth 2
                                        ;     Child Loop BB194_20 Depth 2
                                        ;       Child Loop BB194_26 Depth 3
                                        ;     Child Loop BB194_43 Depth 2
                                        ;     Child Loop BB194_55 Depth 2
	;; [unrolled: 1-line block ×3, first 2 shown]
	v_dual_mov_b32 v6, v36 :: v_dual_mov_b32 v7, v35
	s_mov_b32 s18, 0
.LBB194_14:                             ;   Parent Loop BB194_13 Depth=1
                                        ; =>  This Inner Loop Header: Depth=2
	ds_store_b8 v7, v27 offset:8704
	v_add_nc_u32_e32 v7, 0x200, v7
	ds_store_b32 v6, v27
	v_add_nc_u32_e32 v6, 0x800, v6
	v_cmp_lt_u32_e32 vcc_lo, 0x5ff, v7
	s_or_b32 s18, vcc_lo, s18
	s_delay_alu instid0(SALU_CYCLE_1)
	s_and_not1_b32 exec_lo, exec_lo, s18
	s_cbranch_execnz .LBB194_14
; %bb.15:                               ;   in Loop: Header=BB194_13 Depth=1
	s_or_b32 exec_lo, exec_lo, s18
	s_and_saveexec_b32 s18, s0
	s_cbranch_execz .LBB194_17
; %bb.16:                               ;   in Loop: Header=BB194_13 Depth=1
	v_mov_b32_e32 v6, s52
	ds_store_b32 v27, v6 offset:10240
.LBB194_17:                             ;   in Loop: Header=BB194_13 Depth=1
	s_or_b32 exec_lo, exec_lo, s18
	v_mov_b32_e32 v40, s52
	s_waitcnt lgkmcnt(0)
	s_barrier
	buffer_gl0_inv
	s_and_saveexec_b32 s21, s55
	s_cbranch_execz .LBB194_39
; %bb.18:                               ;   in Loop: Header=BB194_13 Depth=1
	v_dual_mov_b32 v40, s52 :: v_dual_mov_b32 v7, v2
	v_cmp_ne_u32_e64 s18, 0, v38
	v_mov_b32_e32 v6, v1
	s_mov_b32 s58, 0
	s_branch .LBB194_20
.LBB194_19:                             ;   in Loop: Header=BB194_20 Depth=2
	s_or_b32 exec_lo, exec_lo, s20
	v_add_co_u32 v6, vcc_lo, v6, 32
	v_add_co_ci_u32_e32 v7, vcc_lo, 0, v7, vcc_lo
	s_delay_alu instid0(VALU_DEP_1) | instskip(SKIP_1) | instid1(SALU_CYCLE_1)
	v_cmp_le_i64_e32 vcc_lo, s[34:35], v[6:7]
	s_or_b32 s58, vcc_lo, s58
	s_and_not1_b32 exec_lo, exec_lo, s58
	s_cbranch_execz .LBB194_38
.LBB194_20:                             ;   Parent Loop BB194_13 Depth=1
                                        ; =>  This Loop Header: Depth=2
                                        ;       Child Loop BB194_26 Depth 3
	s_delay_alu instid0(VALU_DEP_1) | instskip(NEXT) | instid1(VALU_DEP_1)
	v_lshlrev_b64 v[8:9], 2, v[6:7]
	v_add_co_u32 v10, vcc_lo, s36, v8
	s_delay_alu instid0(VALU_DEP_2)
	v_add_co_ci_u32_e32 v11, vcc_lo, s37, v9, vcc_lo
	v_add_co_u32 v8, vcc_lo, s38, v8
	v_add_co_ci_u32_e32 v9, vcc_lo, s39, v9, vcc_lo
	global_load_b32 v10, v[10:11], off
	s_and_b32 vcc_lo, exec_lo, s18
	global_load_b32 v16, v[8:9], off
	v_lshlrev_b64 v[8:9], 3, v[6:7]
	s_waitcnt vmcnt(1)
	v_subrev_nc_u32_e32 v10, s28, v10
	s_delay_alu instid0(VALU_DEP_1)
	v_ashrrev_i32_e32 v11, 31, v10
	s_cbranch_vccz .LBB194_37
; %bb.21:                               ;   in Loop: Header=BB194_20 Depth=2
	s_waitcnt lgkmcnt(0)
	v_add_co_u32 v12, vcc_lo, s48, v8
	v_add_co_ci_u32_e32 v13, vcc_lo, s49, v9, vcc_lo
	global_load_b64 v[14:15], v[12:13], off
	s_cbranch_execnz .LBB194_23
.LBB194_22:                             ;   in Loop: Header=BB194_20 Depth=2
	s_waitcnt lgkmcnt(0)
	s_delay_alu instid0(VALU_DEP_1) | instskip(NEXT) | instid1(VALU_DEP_1)
	v_lshlrev_b64 v[12:13], 3, v[10:11]
	v_add_co_u32 v12, vcc_lo, s40, v12
	s_delay_alu instid0(VALU_DEP_2)
	v_add_co_ci_u32_e32 v13, vcc_lo, s41, v13, vcc_lo
	global_load_b64 v[12:13], v[12:13], off
	s_waitcnt vmcnt(0)
	v_sub_co_u32 v14, vcc_lo, v12, s53
	v_subrev_co_ci_u32_e32 v15, vcc_lo, 0, v13, vcc_lo
.LBB194_23:                             ;   in Loop: Header=BB194_20 Depth=2
	v_lshlrev_b64 v[10:11], 3, v[10:11]
	s_mov_b32 s59, exec_lo
	s_delay_alu instid0(VALU_DEP_1) | instskip(NEXT) | instid1(VALU_DEP_2)
	v_add_co_u32 v10, vcc_lo, s56, v10
	v_add_co_ci_u32_e32 v11, vcc_lo, s57, v11, vcc_lo
	global_load_b64 v[10:11], v[10:11], off
	s_waitcnt vmcnt(0) lgkmcnt(0)
	v_sub_co_u32 v12, vcc_lo, v10, s53
	v_subrev_co_ci_u32_e32 v13, vcc_lo, 0, v11, vcc_lo
	v_add_co_u32 v10, vcc_lo, v14, v26
	v_add_co_ci_u32_e32 v11, vcc_lo, 0, v15, vcc_lo
	s_delay_alu instid0(VALU_DEP_1)
	v_cmpx_lt_i64_e64 v[10:11], v[12:13]
	s_cbranch_execz .LBB194_35
; %bb.24:                               ;   in Loop: Header=BB194_20 Depth=2
	v_lshlrev_b64 v[17:18], 2, v[10:11]
	v_mul_f32_e32 v41, v24, v16
	s_mov_b32 s61, 0
                                        ; implicit-def: $sgpr60
                                        ; implicit-def: $sgpr62
	s_delay_alu instid0(VALU_DEP_2) | instskip(NEXT) | instid1(VALU_DEP_3)
	v_add_co_u32 v14, vcc_lo, s42, v17
	v_add_co_ci_u32_e32 v15, vcc_lo, s43, v18, vcc_lo
	v_add_co_u32 v16, vcc_lo, s50, v17
	v_add_co_ci_u32_e32 v17, vcc_lo, s51, v18, vcc_lo
	v_dual_mov_b32 v19, v11 :: v_dual_mov_b32 v18, v10
	s_branch .LBB194_26
.LBB194_25:                             ;   in Loop: Header=BB194_26 Depth=3
	s_or_b32 exec_lo, exec_lo, s20
	s_delay_alu instid0(SALU_CYCLE_1) | instskip(SKIP_4) | instid1(SALU_CYCLE_1)
	s_and_b32 s19, exec_lo, s63
	v_dual_mov_b32 v18, v20 :: v_dual_mov_b32 v19, v21
	s_or_b32 s61, s19, s61
	s_and_not1_b32 s19, s60, exec_lo
	s_and_b32 s20, s62, exec_lo
	s_or_b32 s60, s19, s20
	s_and_not1_b32 exec_lo, exec_lo, s61
	s_cbranch_execz .LBB194_32
.LBB194_26:                             ;   Parent Loop BB194_13 Depth=1
                                        ;     Parent Loop BB194_20 Depth=2
                                        ; =>    This Inner Loop Header: Depth=3
	global_load_b32 v20, v[14:15], off
	s_waitcnt vmcnt(0)
	v_subrev_nc_u32_e32 v42, s29, v20
	s_delay_alu instid0(VALU_DEP_1) | instskip(SKIP_2) | instid1(VALU_DEP_2)
	v_cmp_lt_i32_e64 s19, v42, v38
	v_cmp_ge_i32_e64 s20, v42, v39
	v_cmp_lt_i32_e32 vcc_lo, v42, v39
	s_or_b32 s63, s19, s20
	s_mov_b32 s19, 0
                                        ; implicit-def: $sgpr20
	s_and_saveexec_b32 s64, s63
	s_delay_alu instid0(SALU_CYCLE_1)
	s_xor_b32 s63, exec_lo, s64
; %bb.27:                               ;   in Loop: Header=BB194_26 Depth=3
	s_mov_b32 s20, -1
	s_and_b32 s19, vcc_lo, exec_lo
; %bb.28:                               ;   in Loop: Header=BB194_26 Depth=3
	s_and_not1_saveexec_b32 s63, s63
	s_cbranch_execz .LBB194_30
; %bb.29:                               ;   in Loop: Header=BB194_26 Depth=3
	global_load_b32 v20, v[16:17], off
	v_sub_nc_u32_e32 v21, v42, v38
	s_or_b32 s19, s19, exec_lo
	s_delay_alu instid0(VALU_DEP_1)
	v_lshlrev_b32_e32 v22, 2, v21
	ds_store_b8 v21, v37 offset:8192
	s_waitcnt vmcnt(0)
	v_mul_f32_e32 v20, v41, v20
	ds_add_f32 v22, v20
.LBB194_30:                             ;   in Loop: Header=BB194_26 Depth=3
	s_or_b32 exec_lo, exec_lo, s63
	v_dual_mov_b32 v23, v19 :: v_dual_mov_b32 v22, v18
	s_and_not1_b32 s62, s62, exec_lo
	s_and_b32 s20, s20, exec_lo
	s_mov_b32 s63, -1
	s_or_b32 s62, s62, s20
                                        ; implicit-def: $vgpr20_vgpr21
	s_and_saveexec_b32 s20, s19
	s_cbranch_execz .LBB194_25
; %bb.31:                               ;   in Loop: Header=BB194_26 Depth=3
	v_add_co_u32 v20, vcc_lo, v18, 16
	v_add_co_ci_u32_e32 v21, vcc_lo, 0, v19, vcc_lo
	v_add_co_u32 v14, vcc_lo, v14, 64
	v_add_co_ci_u32_e32 v15, vcc_lo, 0, v15, vcc_lo
	s_delay_alu instid0(VALU_DEP_3) | instskip(SKIP_1) | instid1(VALU_DEP_1)
	v_cmp_ge_i64_e32 vcc_lo, v[20:21], v[12:13]
	v_add_co_u32 v16, s19, v16, 64
	v_add_co_ci_u32_e64 v17, s19, 0, v17, s19
	v_dual_mov_b32 v23, v19 :: v_dual_mov_b32 v22, v18
	s_and_not1_b32 s62, s62, exec_lo
	s_or_not1_b32 s63, vcc_lo, exec_lo
	s_branch .LBB194_25
.LBB194_32:                             ;   in Loop: Header=BB194_20 Depth=2
	s_or_b32 exec_lo, exec_lo, s61
	s_and_saveexec_b32 s19, s60
	s_delay_alu instid0(SALU_CYCLE_1)
	s_xor_b32 s19, exec_lo, s19
; %bb.33:                               ;   in Loop: Header=BB194_20 Depth=2
	v_min_i32_e32 v40, v42, v40
	v_dual_mov_b32 v10, v22 :: v_dual_mov_b32 v11, v23
; %bb.34:                               ;   in Loop: Header=BB194_20 Depth=2
	s_or_b32 exec_lo, exec_lo, s19
.LBB194_35:                             ;   in Loop: Header=BB194_20 Depth=2
	s_delay_alu instid0(SALU_CYCLE_1)
	s_or_b32 exec_lo, exec_lo, s59
	ds_bpermute_b32 v12, v30, v10
	ds_bpermute_b32 v13, v30, v11
	s_waitcnt lgkmcnt(0)
	v_cmp_lt_i64_e32 vcc_lo, v[12:13], v[10:11]
	v_dual_cndmask_b32 v11, v11, v13 :: v_dual_cndmask_b32 v10, v10, v12
	ds_bpermute_b32 v13, v31, v11
	ds_bpermute_b32 v12, v31, v10
	s_waitcnt lgkmcnt(0)
	v_cmp_lt_i64_e32 vcc_lo, v[12:13], v[10:11]
	v_dual_cndmask_b32 v11, v11, v13 :: v_dual_cndmask_b32 v10, v10, v12
	;; [unrolled: 5-line block ×3, first 2 shown]
	ds_bpermute_b32 v13, v33, v11
	ds_bpermute_b32 v12, v33, v10
	s_and_saveexec_b32 s20, s1
	s_cbranch_execz .LBB194_19
; %bb.36:                               ;   in Loop: Header=BB194_20 Depth=2
	s_waitcnt lgkmcnt(0)
	v_cmp_lt_i64_e32 vcc_lo, v[12:13], v[10:11]
	v_add_co_u32 v8, s19, s48, v8
	s_delay_alu instid0(VALU_DEP_1)
	v_add_co_ci_u32_e64 v9, s19, s49, v9, s19
	v_dual_cndmask_b32 v11, v11, v13 :: v_dual_cndmask_b32 v10, v10, v12
	global_store_b64 v[8:9], v[10:11], off
	s_branch .LBB194_19
.LBB194_37:                             ;   in Loop: Header=BB194_20 Depth=2
                                        ; implicit-def: $vgpr14_vgpr15
	s_branch .LBB194_22
.LBB194_38:                             ;   in Loop: Header=BB194_13 Depth=1
	s_or_b32 exec_lo, exec_lo, s58
.LBB194_39:                             ;   in Loop: Header=BB194_13 Depth=1
	s_delay_alu instid0(SALU_CYCLE_1) | instskip(NEXT) | instid1(SALU_CYCLE_1)
	s_or_b32 exec_lo, exec_lo, s21
	s_and_not1_b32 vcc_lo, exec_lo, s33
	s_cbranch_vccnz .LBB194_53
; %bb.40:                               ;   in Loop: Header=BB194_13 Depth=1
	s_load_b128 s[60:63], s[26:27], 0x0
	s_mov_b32 s58, exec_lo
	s_waitcnt lgkmcnt(0)
	v_add_co_u32 v6, vcc_lo, s60, v28
	v_add_co_ci_u32_e32 v7, vcc_lo, s61, v29, vcc_lo
	s_sub_u32 s20, s62, s54
	s_subb_u32 s21, s63, 0
	s_delay_alu instid0(VALU_DEP_1) | instid1(SALU_CYCLE_1)
	v_cmpx_gt_i64_e64 s[20:21], v[6:7]
	s_cbranch_execz .LBB194_52
; %bb.41:                               ;   in Loop: Header=BB194_13 Depth=1
	v_lshlrev_b64 v[10:11], 2, v[6:7]
	s_mov_b32 s59, 0
                                        ; implicit-def: $sgpr60
                                        ; implicit-def: $sgpr61
	s_delay_alu instid0(VALU_DEP_1) | instskip(NEXT) | instid1(VALU_DEP_2)
	v_add_co_u32 v8, vcc_lo, s22, v10
	v_add_co_ci_u32_e32 v9, vcc_lo, s23, v11, vcc_lo
	v_add_co_u32 v10, vcc_lo, s24, v10
	v_add_co_ci_u32_e32 v11, vcc_lo, s25, v11, vcc_lo
	s_branch .LBB194_43
.LBB194_42:                             ;   in Loop: Header=BB194_43 Depth=2
	s_or_b32 exec_lo, exec_lo, s19
	s_delay_alu instid0(SALU_CYCLE_1) | instskip(NEXT) | instid1(SALU_CYCLE_1)
	s_and_b32 s18, exec_lo, s62
	s_or_b32 s59, s18, s59
	s_and_not1_b32 s18, s60, exec_lo
	s_and_b32 s19, s61, exec_lo
	s_delay_alu instid0(SALU_CYCLE_1)
	s_or_b32 s60, s18, s19
	s_and_not1_b32 exec_lo, exec_lo, s59
	s_cbranch_execz .LBB194_49
.LBB194_43:                             ;   Parent Loop BB194_13 Depth=1
                                        ; =>  This Inner Loop Header: Depth=2
	global_load_b32 v12, v[8:9], off
	s_waitcnt vmcnt(0)
	v_subrev_nc_u32_e32 v12, s31, v12
	s_delay_alu instid0(VALU_DEP_1) | instskip(SKIP_2) | instid1(VALU_DEP_2)
	v_cmp_lt_i32_e64 s18, v12, v38
	v_cmp_ge_i32_e64 s19, v12, v39
	v_cmp_lt_i32_e32 vcc_lo, v12, v39
	s_or_b32 s62, s18, s19
	s_mov_b32 s18, 0
                                        ; implicit-def: $sgpr19
	s_and_saveexec_b32 s63, s62
	s_delay_alu instid0(SALU_CYCLE_1)
	s_xor_b32 s62, exec_lo, s63
; %bb.44:                               ;   in Loop: Header=BB194_43 Depth=2
	s_mov_b32 s19, -1
	s_and_b32 s18, vcc_lo, exec_lo
; %bb.45:                               ;   in Loop: Header=BB194_43 Depth=2
	s_and_not1_saveexec_b32 s62, s62
	s_cbranch_execz .LBB194_47
; %bb.46:                               ;   in Loop: Header=BB194_43 Depth=2
	global_load_b32 v13, v[10:11], off
	v_sub_nc_u32_e32 v14, v12, v38
	s_or_b32 s18, s18, exec_lo
	s_delay_alu instid0(VALU_DEP_1)
	v_lshlrev_b32_e32 v15, 2, v14
	ds_store_b8 v14, v37 offset:8192
	s_waitcnt vmcnt(0)
	v_mul_f32_e32 v13, v25, v13
	ds_add_f32 v15, v13
.LBB194_47:                             ;   in Loop: Header=BB194_43 Depth=2
	s_or_b32 exec_lo, exec_lo, s62
	s_delay_alu instid0(SALU_CYCLE_1)
	s_and_not1_b32 s61, s61, exec_lo
	s_and_b32 s19, s19, exec_lo
	s_mov_b32 s62, -1
	s_or_b32 s61, s61, s19
	s_and_saveexec_b32 s19, s18
	s_cbranch_execz .LBB194_42
; %bb.48:                               ;   in Loop: Header=BB194_43 Depth=2
	v_add_co_u32 v6, vcc_lo, 0x200, v6
	v_add_co_ci_u32_e32 v7, vcc_lo, 0, v7, vcc_lo
	v_add_co_u32 v8, vcc_lo, 0x800, v8
	v_add_co_ci_u32_e32 v9, vcc_lo, 0, v9, vcc_lo
	s_delay_alu instid0(VALU_DEP_3) | instskip(SKIP_1) | instid1(VALU_DEP_1)
	v_cmp_le_i64_e32 vcc_lo, s[20:21], v[6:7]
	v_add_co_u32 v10, s18, 0x800, v10
	v_add_co_ci_u32_e64 v11, s18, 0, v11, s18
	s_and_not1_b32 s61, s61, exec_lo
	s_or_not1_b32 s62, vcc_lo, exec_lo
	s_branch .LBB194_42
.LBB194_49:                             ;   in Loop: Header=BB194_13 Depth=1
	s_or_b32 exec_lo, exec_lo, s59
	s_and_saveexec_b32 s18, s60
	s_delay_alu instid0(SALU_CYCLE_1)
	s_xor_b32 s18, exec_lo, s18
; %bb.50:                               ;   in Loop: Header=BB194_13 Depth=1
	v_min_i32_e32 v40, v12, v40
; %bb.51:                               ;   in Loop: Header=BB194_13 Depth=1
	s_or_b32 exec_lo, exec_lo, s18
.LBB194_52:                             ;   in Loop: Header=BB194_13 Depth=1
	s_delay_alu instid0(SALU_CYCLE_1)
	s_or_b32 exec_lo, exec_lo, s58
.LBB194_53:                             ;   in Loop: Header=BB194_13 Depth=1
	ds_bpermute_b32 v6, v30, v40
	s_waitcnt lgkmcnt(0)
	v_min_i32_e32 v6, v6, v40
	ds_bpermute_b32 v7, v31, v6
	s_waitcnt lgkmcnt(0)
	v_min_i32_e32 v6, v7, v6
	ds_bpermute_b32 v7, v32, v6
	s_waitcnt lgkmcnt(0)
	v_min_i32_e32 v6, v7, v6
	ds_bpermute_b32 v7, v33, v6
	s_and_saveexec_b32 s18, s1
	s_cbranch_execz .LBB194_58
; %bb.54:                               ;   in Loop: Header=BB194_13 Depth=1
	s_waitcnt lgkmcnt(0)
	v_min_i32_e32 v6, v7, v6
	s_mov_b32 s20, exec_lo
	s_brev_b32 s19, -2
.LBB194_55:                             ;   Parent Loop BB194_13 Depth=1
                                        ; =>  This Inner Loop Header: Depth=2
	s_ctz_i32_b32 s21, s20
	s_delay_alu instid0(VALU_DEP_1) | instid1(SALU_CYCLE_1)
	v_readlane_b32 s58, v6, s21
	s_lshl_b32 s21, 1, s21
	s_delay_alu instid0(SALU_CYCLE_1) | instskip(NEXT) | instid1(VALU_DEP_1)
	s_and_not1_b32 s20, s20, s21
	s_min_i32 s19, s19, s58
	s_cmp_lg_u32 s20, 0
	s_cbranch_scc1 .LBB194_55
; %bb.56:                               ;   in Loop: Header=BB194_13 Depth=1
	v_mbcnt_lo_u32_b32 v6, exec_lo, 0
	s_mov_b32 s20, exec_lo
	s_delay_alu instid0(VALU_DEP_1)
	v_cmpx_eq_u32_e32 0, v6
	s_xor_b32 s20, exec_lo, s20
	s_cbranch_execz .LBB194_58
; %bb.57:                               ;   in Loop: Header=BB194_13 Depth=1
	v_mov_b32_e32 v6, s19
	ds_min_i32 v27, v6 offset:10240
.LBB194_58:                             ;   in Loop: Header=BB194_13 Depth=1
	s_or_b32 exec_lo, exec_lo, s18
	s_waitcnt lgkmcnt(0)
	v_dual_mov_b32 v7, v36 :: v_dual_add_nc_u32 v6, s30, v38
	v_mov_b32_e32 v8, v0
	s_mov_b32 s19, 0
	s_waitcnt_vscnt null, 0x0
	s_barrier
	buffer_gl0_inv
	s_branch .LBB194_60
.LBB194_59:                             ;   in Loop: Header=BB194_60 Depth=2
	s_or_b32 exec_lo, exec_lo, s18
	s_waitcnt lgkmcnt(0)
	s_waitcnt_vscnt null, 0x0
	s_barrier
	buffer_gl0_inv
	ds_load_b32 v9, v27 offset:60
	v_add_nc_u32_e32 v10, 0x200, v8
	v_cmp_lt_u32_e32 vcc_lo, 0x5ff, v8
	s_delay_alu instid0(VALU_DEP_2) | instskip(SKIP_4) | instid1(VALU_DEP_1)
	v_dual_mov_b32 v8, v10 :: v_dual_add_nc_u32 v7, 0x800, v7
	s_or_b32 s19, vcc_lo, s19
	s_waitcnt lgkmcnt(0)
	v_ashrrev_i32_e32 v11, 31, v9
	v_add_co_u32 v4, s18, v4, v9
	v_add_co_ci_u32_e64 v5, s18, v5, v11, s18
	s_and_not1_b32 exec_lo, exec_lo, s19
	s_cbranch_execz .LBB194_12
.LBB194_60:                             ;   Parent Loop BB194_13 Depth=1
                                        ; =>  This Inner Loop Header: Depth=2
	ds_load_u8 v22, v8 offset:8192
	ds_load_b32 v9, v7
	s_waitcnt lgkmcnt(0)
	s_barrier
	buffer_gl0_inv
	v_cmp_ne_u16_e32 vcc_lo, 0, v22
	s_bcnt1_i32_b32 s18, vcc_lo
	s_delay_alu instid0(SALU_CYCLE_1)
	v_dual_mov_b32 v10, s18 :: v_dual_and_b32 v23, vcc_lo, v3
	s_mov_b32 s18, exec_lo
	ds_store_b32 v34, v10
	s_waitcnt lgkmcnt(0)
	s_barrier
	buffer_gl0_inv
	ds_load_b128 v[10:13], v27
	ds_load_b128 v[14:17], v27 offset:16
	ds_load_b128 v[18:21], v27 offset:32
	s_waitcnt lgkmcnt(2)
	v_cndmask_b32_e64 v10, v10, 0, s3
	v_cndmask_b32_e64 v38, v11, 0, s4
	v_cndmask_b32_e64 v39, v12, 0, s5
	v_cndmask_b32_e64 v13, v13, 0, s6
	s_waitcnt lgkmcnt(1)
	v_cndmask_b32_e64 v14, v14, 0, s7
	v_bcnt_u32_b32 v23, v23, v10
	ds_load_b96 v[10:12], v27 offset:48
	v_cndmask_b32_e64 v15, v15, 0, s8
	v_cndmask_b32_e64 v16, v16, 0, s9
	v_add3_u32 v23, v23, v38, v39
	s_delay_alu instid0(VALU_DEP_1) | instskip(SKIP_3) | instid1(VALU_DEP_3)
	v_add3_u32 v13, v23, v13, v14
	v_cndmask_b32_e64 v14, v17, 0, s10
	s_waitcnt lgkmcnt(1)
	v_cndmask_b32_e64 v17, v18, 0, s11
	v_add3_u32 v13, v13, v15, v16
	v_cndmask_b32_e64 v15, v19, 0, s12
	v_cndmask_b32_e64 v16, v20, 0, s13
	s_delay_alu instid0(VALU_DEP_3)
	v_add3_u32 v13, v13, v14, v17
	v_cndmask_b32_e64 v14, v21, 0, s14
	s_waitcnt lgkmcnt(0)
	v_cndmask_b32_e64 v10, v10, 0, s15
	v_cndmask_b32_e64 v11, v11, 0, s16
	;; [unrolled: 1-line block ×3, first 2 shown]
	v_add3_u32 v13, v13, v15, v16
	s_delay_alu instid0(VALU_DEP_1) | instskip(SKIP_1) | instid1(VALU_DEP_2)
	v_add3_u32 v10, v13, v14, v10
	v_and_b32_e32 v13, 1, v22
	v_add3_u32 v10, v10, v11, v12
	s_delay_alu instid0(VALU_DEP_2)
	v_cmpx_eq_u32_e32 1, v13
	s_cbranch_execz .LBB194_62
; %bb.61:                               ;   in Loop: Header=BB194_60 Depth=2
	s_delay_alu instid0(VALU_DEP_2) | instskip(SKIP_2) | instid1(VALU_DEP_3)
	v_ashrrev_i32_e32 v12, 31, v10
	v_add_co_u32 v11, vcc_lo, v4, v10
	v_add_nc_u32_e32 v15, v6, v8
	v_add_co_ci_u32_e32 v12, vcc_lo, v5, v12, vcc_lo
	s_delay_alu instid0(VALU_DEP_1) | instskip(NEXT) | instid1(VALU_DEP_1)
	v_lshlrev_b64 v[11:12], 2, v[11:12]
	v_add_co_u32 v13, vcc_lo, s44, v11
	s_delay_alu instid0(VALU_DEP_2)
	v_add_co_ci_u32_e32 v14, vcc_lo, s45, v12, vcc_lo
	v_add_co_u32 v11, vcc_lo, s46, v11
	v_add_co_ci_u32_e32 v12, vcc_lo, s47, v12, vcc_lo
	global_store_b32 v[13:14], v15, off
	global_store_b32 v[11:12], v9, off
.LBB194_62:                             ;   in Loop: Header=BB194_60 Depth=2
	s_or_b32 exec_lo, exec_lo, s18
	s_and_saveexec_b32 s18, s2
	s_cbranch_execz .LBB194_59
; %bb.63:                               ;   in Loop: Header=BB194_60 Depth=2
	ds_store_b32 v27, v10 offset:60
	s_branch .LBB194_59
.LBB194_64:
	s_endpgm
	.section	.rodata,"a",@progbits
	.p2align	6, 0x0
	.amdhsa_kernel _ZN9rocsparseL36csrgemm_fill_block_per_row_multipassILj512ELj16ELj2048ELj32ElifEEvT4_PKS1_S3_NS_24const_host_device_scalarIT5_EEPKT3_S3_PKS5_S9_S3_SB_S6_S9_S3_SB_S9_PS1_PS5_PS7_21rocsparse_index_base_SF_SF_SF_bbb
		.amdhsa_group_segment_fixed_size 10244
		.amdhsa_private_segment_fixed_size 0
		.amdhsa_kernarg_size 164
		.amdhsa_user_sgpr_count 15
		.amdhsa_user_sgpr_dispatch_ptr 0
		.amdhsa_user_sgpr_queue_ptr 0
		.amdhsa_user_sgpr_kernarg_segment_ptr 1
		.amdhsa_user_sgpr_dispatch_id 0
		.amdhsa_user_sgpr_private_segment_size 0
		.amdhsa_wavefront_size32 1
		.amdhsa_uses_dynamic_stack 0
		.amdhsa_enable_private_segment 0
		.amdhsa_system_sgpr_workgroup_id_x 1
		.amdhsa_system_sgpr_workgroup_id_y 0
		.amdhsa_system_sgpr_workgroup_id_z 0
		.amdhsa_system_sgpr_workgroup_info 0
		.amdhsa_system_vgpr_workitem_id 0
		.amdhsa_next_free_vgpr 43
		.amdhsa_next_free_sgpr 65
		.amdhsa_reserve_vcc 1
		.amdhsa_float_round_mode_32 0
		.amdhsa_float_round_mode_16_64 0
		.amdhsa_float_denorm_mode_32 3
		.amdhsa_float_denorm_mode_16_64 3
		.amdhsa_dx10_clamp 1
		.amdhsa_ieee_mode 1
		.amdhsa_fp16_overflow 0
		.amdhsa_workgroup_processor_mode 1
		.amdhsa_memory_ordered 1
		.amdhsa_forward_progress 0
		.amdhsa_shared_vgpr_count 0
		.amdhsa_exception_fp_ieee_invalid_op 0
		.amdhsa_exception_fp_denorm_src 0
		.amdhsa_exception_fp_ieee_div_zero 0
		.amdhsa_exception_fp_ieee_overflow 0
		.amdhsa_exception_fp_ieee_underflow 0
		.amdhsa_exception_fp_ieee_inexact 0
		.amdhsa_exception_int_div_zero 0
	.end_amdhsa_kernel
	.section	.text._ZN9rocsparseL36csrgemm_fill_block_per_row_multipassILj512ELj16ELj2048ELj32ElifEEvT4_PKS1_S3_NS_24const_host_device_scalarIT5_EEPKT3_S3_PKS5_S9_S3_SB_S6_S9_S3_SB_S9_PS1_PS5_PS7_21rocsparse_index_base_SF_SF_SF_bbb,"axG",@progbits,_ZN9rocsparseL36csrgemm_fill_block_per_row_multipassILj512ELj16ELj2048ELj32ElifEEvT4_PKS1_S3_NS_24const_host_device_scalarIT5_EEPKT3_S3_PKS5_S9_S3_SB_S6_S9_S3_SB_S9_PS1_PS5_PS7_21rocsparse_index_base_SF_SF_SF_bbb,comdat
.Lfunc_end194:
	.size	_ZN9rocsparseL36csrgemm_fill_block_per_row_multipassILj512ELj16ELj2048ELj32ElifEEvT4_PKS1_S3_NS_24const_host_device_scalarIT5_EEPKT3_S3_PKS5_S9_S3_SB_S6_S9_S3_SB_S9_PS1_PS5_PS7_21rocsparse_index_base_SF_SF_SF_bbb, .Lfunc_end194-_ZN9rocsparseL36csrgemm_fill_block_per_row_multipassILj512ELj16ELj2048ELj32ElifEEvT4_PKS1_S3_NS_24const_host_device_scalarIT5_EEPKT3_S3_PKS5_S9_S3_SB_S6_S9_S3_SB_S9_PS1_PS5_PS7_21rocsparse_index_base_SF_SF_SF_bbb
                                        ; -- End function
	.section	.AMDGPU.csdata,"",@progbits
; Kernel info:
; codeLenInByte = 3132
; NumSgprs: 67
; NumVgprs: 43
; ScratchSize: 0
; MemoryBound: 0
; FloatMode: 240
; IeeeMode: 1
; LDSByteSize: 10244 bytes/workgroup (compile time only)
; SGPRBlocks: 8
; VGPRBlocks: 5
; NumSGPRsForWavesPerEU: 67
; NumVGPRsForWavesPerEU: 43
; Occupancy: 16
; WaveLimiterHint : 1
; COMPUTE_PGM_RSRC2:SCRATCH_EN: 0
; COMPUTE_PGM_RSRC2:USER_SGPR: 15
; COMPUTE_PGM_RSRC2:TRAP_HANDLER: 0
; COMPUTE_PGM_RSRC2:TGID_X_EN: 1
; COMPUTE_PGM_RSRC2:TGID_Y_EN: 0
; COMPUTE_PGM_RSRC2:TGID_Z_EN: 0
; COMPUTE_PGM_RSRC2:TIDIG_COMP_CNT: 0
	.section	.text._ZN9rocsparseL36csrgemm_fill_block_per_row_multipassILj512ELj16ELj2048ELj64ElifEEvT4_PKS1_S3_NS_24const_host_device_scalarIT5_EEPKT3_S3_PKS5_S9_S3_SB_S6_S9_S3_SB_S9_PS1_PS5_PS7_21rocsparse_index_base_SF_SF_SF_bbb,"axG",@progbits,_ZN9rocsparseL36csrgemm_fill_block_per_row_multipassILj512ELj16ELj2048ELj64ElifEEvT4_PKS1_S3_NS_24const_host_device_scalarIT5_EEPKT3_S3_PKS5_S9_S3_SB_S6_S9_S3_SB_S9_PS1_PS5_PS7_21rocsparse_index_base_SF_SF_SF_bbb,comdat
	.globl	_ZN9rocsparseL36csrgemm_fill_block_per_row_multipassILj512ELj16ELj2048ELj64ElifEEvT4_PKS1_S3_NS_24const_host_device_scalarIT5_EEPKT3_S3_PKS5_S9_S3_SB_S6_S9_S3_SB_S9_PS1_PS5_PS7_21rocsparse_index_base_SF_SF_SF_bbb ; -- Begin function _ZN9rocsparseL36csrgemm_fill_block_per_row_multipassILj512ELj16ELj2048ELj64ElifEEvT4_PKS1_S3_NS_24const_host_device_scalarIT5_EEPKT3_S3_PKS5_S9_S3_SB_S6_S9_S3_SB_S9_PS1_PS5_PS7_21rocsparse_index_base_SF_SF_SF_bbb
	.p2align	8
	.type	_ZN9rocsparseL36csrgemm_fill_block_per_row_multipassILj512ELj16ELj2048ELj64ElifEEvT4_PKS1_S3_NS_24const_host_device_scalarIT5_EEPKT3_S3_PKS5_S9_S3_SB_S6_S9_S3_SB_S9_PS1_PS5_PS7_21rocsparse_index_base_SF_SF_SF_bbb,@function
_ZN9rocsparseL36csrgemm_fill_block_per_row_multipassILj512ELj16ELj2048ELj64ElifEEvT4_PKS1_S3_NS_24const_host_device_scalarIT5_EEPKT3_S3_PKS5_S9_S3_SB_S6_S9_S3_SB_S9_PS1_PS5_PS7_21rocsparse_index_base_SF_SF_SF_bbb: ; @_ZN9rocsparseL36csrgemm_fill_block_per_row_multipassILj512ELj16ELj2048ELj64ElifEEvT4_PKS1_S3_NS_24const_host_device_scalarIT5_EEPKT3_S3_PKS5_S9_S3_SB_S6_S9_S3_SB_S9_PS1_PS5_PS7_21rocsparse_index_base_SF_SF_SF_bbb
; %bb.0:
	s_clause 0x4
	s_load_b32 s11, s[0:1], 0xa0
	s_load_b128 s[4:7], s[0:1], 0x8
	s_load_b64 s[8:9], s[0:1], 0x18
	s_load_b128 s[28:31], s[0:1], 0x90
	s_load_b64 s[2:3], s[0:1], 0x50
	s_waitcnt lgkmcnt(0)
	s_bitcmp1_b32 s11, 0
	s_cselect_b32 s10, -1, 0
	s_bitcmp1_b32 s11, 16
	s_cselect_b32 s12, -1, 0
	s_xor_b32 s13, s10, -1
	s_delay_alu instid0(SALU_CYCLE_1) | instskip(NEXT) | instid1(SALU_CYCLE_1)
	s_or_b32 s13, s13, s12
	s_and_b32 vcc_lo, exec_lo, s13
	s_cbranch_vccnz .LBB195_2
; %bb.1:
	s_load_b32 s8, s[8:9], 0x0
	s_waitcnt lgkmcnt(0)
	v_mov_b32_e32 v24, s8
	s_branch .LBB195_3
.LBB195_2:
	v_cndmask_b32_e64 v24, 0, s8, s10
.LBB195_3:
	s_load_b64 s[8:9], s[0:1], 0x20
	s_bitcmp1_b32 s11, 8
	s_cselect_b32 s33, -1, 0
	s_delay_alu instid0(SALU_CYCLE_1) | instskip(NEXT) | instid1(SALU_CYCLE_1)
	s_xor_b32 s11, s33, -1
	s_or_b32 s11, s11, s12
	s_delay_alu instid0(SALU_CYCLE_1)
	s_and_b32 vcc_lo, exec_lo, s11
	s_cbranch_vccnz .LBB195_5
; %bb.4:
	s_load_b32 s2, s[2:3], 0x0
	s_waitcnt lgkmcnt(0)
	v_mov_b32_e32 v25, s2
	s_branch .LBB195_6
.LBB195_5:
	v_cndmask_b32_e64 v25, 0, s2, s33
.LBB195_6:
	s_load_b32 s2, s[4:5], 0x0
	s_mov_b32 s3, 0
	s_mov_b64 s[34:35], 0
	s_mov_b64 s[4:5], 0
	s_waitcnt lgkmcnt(0)
	s_add_i32 s2, s2, s15
	s_delay_alu instid0(SALU_CYCLE_1) | instskip(NEXT) | instid1(SALU_CYCLE_1)
	s_lshl_b64 s[2:3], s[2:3], 2
	s_add_u32 s2, s6, s2
	s_addc_u32 s3, s7, s3
	s_and_not1_b32 vcc_lo, exec_lo, s10
	s_load_b32 s2, s[2:3], 0x0
	s_cbranch_vccz .LBB195_9
; %bb.7:
	s_and_not1_b32 vcc_lo, exec_lo, s10
	s_cbranch_vccz .LBB195_10
.LBB195_8:
	s_load_b32 s44, s[0:1], 0x0
	s_waitcnt lgkmcnt(0)
	s_cmp_lt_i32 s44, 1
	s_cbranch_scc0 .LBB195_11
	s_branch .LBB195_64
.LBB195_9:
	s_waitcnt lgkmcnt(0)
	s_ashr_i32 s3, s2, 31
	s_delay_alu instid0(SALU_CYCLE_1) | instskip(NEXT) | instid1(SALU_CYCLE_1)
	s_lshl_b64 s[4:5], s[2:3], 3
	s_add_u32 s4, s8, s4
	s_addc_u32 s5, s9, s5
	s_load_b64 s[4:5], s[4:5], 0x0
	s_waitcnt lgkmcnt(0)
	s_sub_u32 s4, s4, s28
	s_subb_u32 s5, s5, 0
	s_and_not1_b32 vcc_lo, exec_lo, s10
	s_cbranch_vccnz .LBB195_8
.LBB195_10:
	s_waitcnt lgkmcnt(0)
	s_ashr_i32 s3, s2, 31
	s_delay_alu instid0(SALU_CYCLE_1) | instskip(NEXT) | instid1(SALU_CYCLE_1)
	s_lshl_b64 s[6:7], s[2:3], 3
	s_add_u32 s6, s8, s6
	s_addc_u32 s7, s9, s7
	s_load_b64 s[6:7], s[6:7], 0x8
	s_waitcnt lgkmcnt(0)
	s_sub_u32 s34, s6, s28
	s_subb_u32 s35, s7, 0
	s_load_b32 s44, s[0:1], 0x0
	s_waitcnt lgkmcnt(0)
	s_cmp_lt_i32 s44, 1
	s_cbranch_scc1 .LBB195_64
.LBB195_11:
	s_clause 0x4
	s_load_b256 s[12:19], s[0:1], 0x58
	s_load_b64 s[40:41], s[0:1], 0x88
	s_load_b128 s[36:39], s[0:1], 0x78
	s_load_b64 s[42:43], s[0:1], 0x48
	s_load_b256 s[20:27], s[0:1], 0x28
	v_mbcnt_lo_u32_b32 v3, -1, 0
	s_ashr_i32 s3, s2, 31
	v_lshrrev_b32_e32 v5, 4, v0
	s_lshl_b64 s[6:7], s[2:3], 3
	v_sub_co_u32 v28, s1, v0, s31
	v_xor_b32_e32 v4, 8, v3
	v_xor_b32_e32 v6, 4, v3
	;; [unrolled: 1-line block ×4, first 2 shown]
	v_sub_co_ci_u32_e64 v29, null, 0, 0, s1
	v_add_co_u32 v1, s1, s4, v5
	s_delay_alu instid0(VALU_DEP_1)
	v_add_co_ci_u32_e64 v2, null, s5, 0, s1
	s_waitcnt lgkmcnt(0)
	s_add_u32 s2, s18, s6
	s_addc_u32 s3, s19, s7
	v_xor_b32_e32 v9, 63, v3
	s_load_b64 s[8:9], s[2:3], 0x0
	v_cmp_gt_i32_e64 s2, 32, v4
	v_cmp_gt_i64_e32 vcc_lo, s[34:35], v[1:2]
	v_dual_mov_b32 v27, 0 :: v_dual_and_b32 v26, 15, v0
	v_dual_mov_b32 v37, 1 :: v_dual_and_b32 v34, 28, v5
	s_delay_alu instid0(VALU_DEP_4)
	v_cndmask_b32_e64 v4, v3, v4, s2
	v_cmp_gt_i32_e64 s2, 32, v6
	v_cmp_eq_u32_e64 s0, 0, v0
	v_cmp_eq_u32_e64 s1, 15, v26
	v_cmp_gt_u32_e64 s3, 64, v0
	v_dual_mov_b32 v39, 0x800 :: v_dual_lshlrev_b32 v30, 2, v4
	v_cndmask_b32_e64 v6, v3, v6, s2
	v_cmp_gt_i32_e64 s2, 32, v7
	v_cmp_gt_u32_e64 s4, 0x80, v0
	v_cmp_gt_u32_e64 s5, 0xc0, v0
	v_or_b32_e32 v35, 0xfffffe00, v0
	v_lshlrev_b32_e32 v36, 2, v0
	v_cndmask_b32_e64 v7, v3, v7, s2
	v_cmp_gt_i32_e64 s2, 32, v8
	s_waitcnt lgkmcnt(0)
	s_sub_u32 s50, s8, s30
	s_subb_u32 s51, s9, 0
	s_add_u32 s18, s12, s6
	s_addc_u32 s19, s13, s7
	v_cndmask_b32_e64 v3, v3, v8, s2
	s_and_b32 s47, s10, vcc_lo
	s_add_u32 s48, s24, 8
	v_lshlrev_b32_e32 v31, 2, v6
	s_addc_u32 s49, s25, 0
	v_dual_mov_b32 v38, 0 :: v_dual_lshlrev_b32 v33, 2, v3
	v_lshrrev_b64 v[3:4], v9, -1
	v_mov_b32_e32 v4, s50
	v_dual_mov_b32 v5, s51 :: v_dual_lshlrev_b32 v32, 2, v7
	v_cmp_eq_u32_e64 s2, 0x1ff, v0
	v_cmp_gt_u32_e64 s6, 0x100, v0
	v_cmp_gt_u32_e64 s7, 0x140, v0
	;; [unrolled: 1-line block ×4, first 2 shown]
	s_add_u32 s36, s36, -4
	s_addc_u32 s37, s37, -1
	s_add_u32 s38, s38, -4
	s_mov_b32 s45, s29
	s_mov_b32 s46, s31
	s_addc_u32 s39, s39, -1
	s_branch .LBB195_13
.LBB195_12:                             ;   in Loop: Header=BB195_13 Depth=1
	s_or_b32 exec_lo, exec_lo, s11
	ds_load_b32 v38, v27 offset:10240
	s_waitcnt lgkmcnt(0)
	s_barrier
	buffer_gl0_inv
	v_cmp_le_i32_e32 vcc_lo, s44, v38
	v_add_nc_u32_e32 v39, 0x800, v38
	s_cbranch_vccnz .LBB195_64
.LBB195_13:                             ; =>This Loop Header: Depth=1
                                        ;     Child Loop BB195_14 Depth 2
                                        ;     Child Loop BB195_20 Depth 2
                                        ;       Child Loop BB195_26 Depth 3
                                        ;     Child Loop BB195_43 Depth 2
                                        ;     Child Loop BB195_55 Depth 2
	;; [unrolled: 1-line block ×3, first 2 shown]
	v_dual_mov_b32 v6, v36 :: v_dual_mov_b32 v7, v35
	s_mov_b32 s10, 0
.LBB195_14:                             ;   Parent Loop BB195_13 Depth=1
                                        ; =>  This Inner Loop Header: Depth=2
	ds_store_b8 v7, v27 offset:8704
	v_add_nc_u32_e32 v7, 0x200, v7
	ds_store_b32 v6, v27
	v_add_nc_u32_e32 v6, 0x800, v6
	v_cmp_lt_u32_e32 vcc_lo, 0x5ff, v7
	s_or_b32 s10, vcc_lo, s10
	s_delay_alu instid0(SALU_CYCLE_1)
	s_and_not1_b32 exec_lo, exec_lo, s10
	s_cbranch_execnz .LBB195_14
; %bb.15:                               ;   in Loop: Header=BB195_13 Depth=1
	s_or_b32 exec_lo, exec_lo, s10
	s_and_saveexec_b32 s10, s0
	s_cbranch_execz .LBB195_17
; %bb.16:                               ;   in Loop: Header=BB195_13 Depth=1
	v_mov_b32_e32 v6, s44
	ds_store_b32 v27, v6 offset:10240
.LBB195_17:                             ;   in Loop: Header=BB195_13 Depth=1
	s_or_b32 exec_lo, exec_lo, s10
	v_mov_b32_e32 v40, s44
	s_waitcnt lgkmcnt(0)
	s_barrier
	buffer_gl0_inv
	s_and_saveexec_b32 s13, s47
	s_cbranch_execz .LBB195_39
; %bb.18:                               ;   in Loop: Header=BB195_13 Depth=1
	v_dual_mov_b32 v40, s44 :: v_dual_mov_b32 v7, v2
	v_cmp_ne_u32_e64 s10, 0, v38
	v_mov_b32_e32 v6, v1
	s_mov_b32 s50, 0
	s_branch .LBB195_20
.LBB195_19:                             ;   in Loop: Header=BB195_20 Depth=2
	s_or_b32 exec_lo, exec_lo, s12
	v_add_co_u32 v6, vcc_lo, v6, 32
	v_add_co_ci_u32_e32 v7, vcc_lo, 0, v7, vcc_lo
	s_delay_alu instid0(VALU_DEP_1) | instskip(SKIP_1) | instid1(SALU_CYCLE_1)
	v_cmp_le_i64_e32 vcc_lo, s[34:35], v[6:7]
	s_or_b32 s50, vcc_lo, s50
	s_and_not1_b32 exec_lo, exec_lo, s50
	s_cbranch_execz .LBB195_38
.LBB195_20:                             ;   Parent Loop BB195_13 Depth=1
                                        ; =>  This Loop Header: Depth=2
                                        ;       Child Loop BB195_26 Depth 3
	s_delay_alu instid0(VALU_DEP_1) | instskip(NEXT) | instid1(VALU_DEP_1)
	v_lshlrev_b64 v[8:9], 2, v[6:7]
	v_add_co_u32 v10, vcc_lo, s20, v8
	s_delay_alu instid0(VALU_DEP_2)
	v_add_co_ci_u32_e32 v11, vcc_lo, s21, v9, vcc_lo
	v_add_co_u32 v8, vcc_lo, s22, v8
	v_add_co_ci_u32_e32 v9, vcc_lo, s23, v9, vcc_lo
	global_load_b32 v10, v[10:11], off
	s_and_b32 vcc_lo, exec_lo, s10
	global_load_b32 v16, v[8:9], off
	v_lshlrev_b64 v[8:9], 3, v[6:7]
	s_waitcnt vmcnt(1)
	v_subrev_nc_u32_e32 v10, s28, v10
	s_delay_alu instid0(VALU_DEP_1)
	v_ashrrev_i32_e32 v11, 31, v10
	s_cbranch_vccz .LBB195_37
; %bb.21:                               ;   in Loop: Header=BB195_20 Depth=2
	s_waitcnt lgkmcnt(0)
	v_add_co_u32 v12, vcc_lo, s40, v8
	v_add_co_ci_u32_e32 v13, vcc_lo, s41, v9, vcc_lo
	global_load_b64 v[14:15], v[12:13], off
	s_cbranch_execnz .LBB195_23
.LBB195_22:                             ;   in Loop: Header=BB195_20 Depth=2
	s_waitcnt lgkmcnt(0)
	s_delay_alu instid0(VALU_DEP_1) | instskip(NEXT) | instid1(VALU_DEP_1)
	v_lshlrev_b64 v[12:13], 3, v[10:11]
	v_add_co_u32 v12, vcc_lo, s24, v12
	s_delay_alu instid0(VALU_DEP_2)
	v_add_co_ci_u32_e32 v13, vcc_lo, s25, v13, vcc_lo
	global_load_b64 v[12:13], v[12:13], off
	s_waitcnt vmcnt(0)
	v_sub_co_u32 v14, vcc_lo, v12, s45
	v_subrev_co_ci_u32_e32 v15, vcc_lo, 0, v13, vcc_lo
.LBB195_23:                             ;   in Loop: Header=BB195_20 Depth=2
	v_lshlrev_b64 v[10:11], 3, v[10:11]
	s_mov_b32 s51, exec_lo
	s_delay_alu instid0(VALU_DEP_1) | instskip(NEXT) | instid1(VALU_DEP_2)
	v_add_co_u32 v10, vcc_lo, s48, v10
	v_add_co_ci_u32_e32 v11, vcc_lo, s49, v11, vcc_lo
	global_load_b64 v[10:11], v[10:11], off
	s_waitcnt vmcnt(0) lgkmcnt(0)
	v_sub_co_u32 v12, vcc_lo, v10, s45
	v_subrev_co_ci_u32_e32 v13, vcc_lo, 0, v11, vcc_lo
	v_add_co_u32 v10, vcc_lo, v14, v26
	v_add_co_ci_u32_e32 v11, vcc_lo, 0, v15, vcc_lo
	s_delay_alu instid0(VALU_DEP_1)
	v_cmpx_lt_i64_e64 v[10:11], v[12:13]
	s_cbranch_execz .LBB195_35
; %bb.24:                               ;   in Loop: Header=BB195_20 Depth=2
	v_lshlrev_b64 v[17:18], 2, v[10:11]
	v_mul_f32_e32 v41, v24, v16
	s_mov_b32 s53, 0
                                        ; implicit-def: $sgpr52
                                        ; implicit-def: $sgpr54
	s_delay_alu instid0(VALU_DEP_2) | instskip(NEXT) | instid1(VALU_DEP_3)
	v_add_co_u32 v14, vcc_lo, s26, v17
	v_add_co_ci_u32_e32 v15, vcc_lo, s27, v18, vcc_lo
	v_add_co_u32 v16, vcc_lo, s42, v17
	v_add_co_ci_u32_e32 v17, vcc_lo, s43, v18, vcc_lo
	v_dual_mov_b32 v19, v11 :: v_dual_mov_b32 v18, v10
	s_branch .LBB195_26
.LBB195_25:                             ;   in Loop: Header=BB195_26 Depth=3
	s_or_b32 exec_lo, exec_lo, s12
	s_delay_alu instid0(SALU_CYCLE_1) | instskip(SKIP_4) | instid1(SALU_CYCLE_1)
	s_and_b32 s11, exec_lo, s55
	v_dual_mov_b32 v18, v20 :: v_dual_mov_b32 v19, v21
	s_or_b32 s53, s11, s53
	s_and_not1_b32 s11, s52, exec_lo
	s_and_b32 s12, s54, exec_lo
	s_or_b32 s52, s11, s12
	s_and_not1_b32 exec_lo, exec_lo, s53
	s_cbranch_execz .LBB195_32
.LBB195_26:                             ;   Parent Loop BB195_13 Depth=1
                                        ;     Parent Loop BB195_20 Depth=2
                                        ; =>    This Inner Loop Header: Depth=3
	global_load_b32 v20, v[14:15], off
	s_waitcnt vmcnt(0)
	v_subrev_nc_u32_e32 v42, s29, v20
	s_delay_alu instid0(VALU_DEP_1) | instskip(SKIP_2) | instid1(VALU_DEP_2)
	v_cmp_lt_i32_e64 s11, v42, v38
	v_cmp_ge_i32_e64 s12, v42, v39
	v_cmp_lt_i32_e32 vcc_lo, v42, v39
	s_or_b32 s55, s11, s12
	s_mov_b32 s11, 0
                                        ; implicit-def: $sgpr12
	s_and_saveexec_b32 s56, s55
	s_delay_alu instid0(SALU_CYCLE_1)
	s_xor_b32 s55, exec_lo, s56
; %bb.27:                               ;   in Loop: Header=BB195_26 Depth=3
	s_mov_b32 s12, -1
	s_and_b32 s11, vcc_lo, exec_lo
; %bb.28:                               ;   in Loop: Header=BB195_26 Depth=3
	s_and_not1_saveexec_b32 s55, s55
	s_cbranch_execz .LBB195_30
; %bb.29:                               ;   in Loop: Header=BB195_26 Depth=3
	global_load_b32 v20, v[16:17], off
	v_sub_nc_u32_e32 v21, v42, v38
	s_or_b32 s11, s11, exec_lo
	s_delay_alu instid0(VALU_DEP_1)
	v_lshlrev_b32_e32 v22, 2, v21
	ds_store_b8 v21, v37 offset:8192
	s_waitcnt vmcnt(0)
	v_mul_f32_e32 v20, v41, v20
	ds_add_f32 v22, v20
.LBB195_30:                             ;   in Loop: Header=BB195_26 Depth=3
	s_or_b32 exec_lo, exec_lo, s55
	v_dual_mov_b32 v23, v19 :: v_dual_mov_b32 v22, v18
	s_and_not1_b32 s54, s54, exec_lo
	s_and_b32 s12, s12, exec_lo
	s_mov_b32 s55, -1
	s_or_b32 s54, s54, s12
                                        ; implicit-def: $vgpr20_vgpr21
	s_and_saveexec_b32 s12, s11
	s_cbranch_execz .LBB195_25
; %bb.31:                               ;   in Loop: Header=BB195_26 Depth=3
	v_add_co_u32 v20, vcc_lo, v18, 16
	v_add_co_ci_u32_e32 v21, vcc_lo, 0, v19, vcc_lo
	v_add_co_u32 v14, vcc_lo, v14, 64
	v_add_co_ci_u32_e32 v15, vcc_lo, 0, v15, vcc_lo
	s_delay_alu instid0(VALU_DEP_3) | instskip(SKIP_1) | instid1(VALU_DEP_1)
	v_cmp_ge_i64_e32 vcc_lo, v[20:21], v[12:13]
	v_add_co_u32 v16, s11, v16, 64
	v_add_co_ci_u32_e64 v17, s11, 0, v17, s11
	v_dual_mov_b32 v23, v19 :: v_dual_mov_b32 v22, v18
	s_and_not1_b32 s54, s54, exec_lo
	s_or_not1_b32 s55, vcc_lo, exec_lo
	s_branch .LBB195_25
.LBB195_32:                             ;   in Loop: Header=BB195_20 Depth=2
	s_or_b32 exec_lo, exec_lo, s53
	s_and_saveexec_b32 s11, s52
	s_delay_alu instid0(SALU_CYCLE_1)
	s_xor_b32 s11, exec_lo, s11
; %bb.33:                               ;   in Loop: Header=BB195_20 Depth=2
	v_min_i32_e32 v40, v42, v40
	v_dual_mov_b32 v10, v22 :: v_dual_mov_b32 v11, v23
; %bb.34:                               ;   in Loop: Header=BB195_20 Depth=2
	s_or_b32 exec_lo, exec_lo, s11
.LBB195_35:                             ;   in Loop: Header=BB195_20 Depth=2
	s_delay_alu instid0(SALU_CYCLE_1)
	s_or_b32 exec_lo, exec_lo, s51
	ds_bpermute_b32 v12, v30, v10
	ds_bpermute_b32 v13, v30, v11
	s_waitcnt lgkmcnt(0)
	v_cmp_lt_i64_e32 vcc_lo, v[12:13], v[10:11]
	v_dual_cndmask_b32 v11, v11, v13 :: v_dual_cndmask_b32 v10, v10, v12
	ds_bpermute_b32 v13, v31, v11
	ds_bpermute_b32 v12, v31, v10
	s_waitcnt lgkmcnt(0)
	v_cmp_lt_i64_e32 vcc_lo, v[12:13], v[10:11]
	v_dual_cndmask_b32 v11, v11, v13 :: v_dual_cndmask_b32 v10, v10, v12
	ds_bpermute_b32 v13, v32, v11
	ds_bpermute_b32 v12, v32, v10
	s_waitcnt lgkmcnt(0)
	v_cmp_lt_i64_e32 vcc_lo, v[12:13], v[10:11]
	v_dual_cndmask_b32 v11, v11, v13 :: v_dual_cndmask_b32 v10, v10, v12
	ds_bpermute_b32 v13, v33, v11
	ds_bpermute_b32 v12, v33, v10
	s_and_saveexec_b32 s12, s1
	s_cbranch_execz .LBB195_19
; %bb.36:                               ;   in Loop: Header=BB195_20 Depth=2
	s_waitcnt lgkmcnt(0)
	v_cmp_lt_i64_e32 vcc_lo, v[12:13], v[10:11]
	v_add_co_u32 v8, s11, s40, v8
	s_delay_alu instid0(VALU_DEP_1)
	v_add_co_ci_u32_e64 v9, s11, s41, v9, s11
	v_dual_cndmask_b32 v11, v11, v13 :: v_dual_cndmask_b32 v10, v10, v12
	global_store_b64 v[8:9], v[10:11], off
	s_branch .LBB195_19
.LBB195_37:                             ;   in Loop: Header=BB195_20 Depth=2
                                        ; implicit-def: $vgpr14_vgpr15
	s_branch .LBB195_22
.LBB195_38:                             ;   in Loop: Header=BB195_13 Depth=1
	s_or_b32 exec_lo, exec_lo, s50
.LBB195_39:                             ;   in Loop: Header=BB195_13 Depth=1
	s_delay_alu instid0(SALU_CYCLE_1) | instskip(NEXT) | instid1(SALU_CYCLE_1)
	s_or_b32 exec_lo, exec_lo, s13
	s_and_not1_b32 vcc_lo, exec_lo, s33
	s_cbranch_vccnz .LBB195_53
; %bb.40:                               ;   in Loop: Header=BB195_13 Depth=1
	s_load_b128 s[52:55], s[18:19], 0x0
	s_mov_b32 s50, exec_lo
	s_waitcnt lgkmcnt(0)
	v_add_co_u32 v6, vcc_lo, s52, v28
	v_add_co_ci_u32_e32 v7, vcc_lo, s53, v29, vcc_lo
	s_sub_u32 s12, s54, s46
	s_subb_u32 s13, s55, 0
	s_delay_alu instid0(VALU_DEP_1) | instid1(SALU_CYCLE_1)
	v_cmpx_gt_i64_e64 s[12:13], v[6:7]
	s_cbranch_execz .LBB195_52
; %bb.41:                               ;   in Loop: Header=BB195_13 Depth=1
	v_lshlrev_b64 v[10:11], 2, v[6:7]
	s_mov_b32 s51, 0
                                        ; implicit-def: $sgpr52
                                        ; implicit-def: $sgpr53
	s_delay_alu instid0(VALU_DEP_1) | instskip(NEXT) | instid1(VALU_DEP_2)
	v_add_co_u32 v8, vcc_lo, s14, v10
	v_add_co_ci_u32_e32 v9, vcc_lo, s15, v11, vcc_lo
	v_add_co_u32 v10, vcc_lo, s16, v10
	v_add_co_ci_u32_e32 v11, vcc_lo, s17, v11, vcc_lo
	s_branch .LBB195_43
.LBB195_42:                             ;   in Loop: Header=BB195_43 Depth=2
	s_or_b32 exec_lo, exec_lo, s11
	s_delay_alu instid0(SALU_CYCLE_1) | instskip(NEXT) | instid1(SALU_CYCLE_1)
	s_and_b32 s10, exec_lo, s54
	s_or_b32 s51, s10, s51
	s_and_not1_b32 s10, s52, exec_lo
	s_and_b32 s11, s53, exec_lo
	s_delay_alu instid0(SALU_CYCLE_1)
	s_or_b32 s52, s10, s11
	s_and_not1_b32 exec_lo, exec_lo, s51
	s_cbranch_execz .LBB195_49
.LBB195_43:                             ;   Parent Loop BB195_13 Depth=1
                                        ; =>  This Inner Loop Header: Depth=2
	global_load_b32 v12, v[8:9], off
	s_waitcnt vmcnt(0)
	v_subrev_nc_u32_e32 v12, s31, v12
	s_delay_alu instid0(VALU_DEP_1) | instskip(SKIP_2) | instid1(VALU_DEP_2)
	v_cmp_lt_i32_e64 s10, v12, v38
	v_cmp_ge_i32_e64 s11, v12, v39
	v_cmp_lt_i32_e32 vcc_lo, v12, v39
	s_or_b32 s54, s10, s11
	s_mov_b32 s10, 0
                                        ; implicit-def: $sgpr11
	s_and_saveexec_b32 s55, s54
	s_delay_alu instid0(SALU_CYCLE_1)
	s_xor_b32 s54, exec_lo, s55
; %bb.44:                               ;   in Loop: Header=BB195_43 Depth=2
	s_mov_b32 s11, -1
	s_and_b32 s10, vcc_lo, exec_lo
; %bb.45:                               ;   in Loop: Header=BB195_43 Depth=2
	s_and_not1_saveexec_b32 s54, s54
	s_cbranch_execz .LBB195_47
; %bb.46:                               ;   in Loop: Header=BB195_43 Depth=2
	global_load_b32 v13, v[10:11], off
	v_sub_nc_u32_e32 v14, v12, v38
	s_or_b32 s10, s10, exec_lo
	s_delay_alu instid0(VALU_DEP_1)
	v_lshlrev_b32_e32 v15, 2, v14
	ds_store_b8 v14, v37 offset:8192
	s_waitcnt vmcnt(0)
	v_mul_f32_e32 v13, v25, v13
	ds_add_f32 v15, v13
.LBB195_47:                             ;   in Loop: Header=BB195_43 Depth=2
	s_or_b32 exec_lo, exec_lo, s54
	s_delay_alu instid0(SALU_CYCLE_1)
	s_and_not1_b32 s53, s53, exec_lo
	s_and_b32 s11, s11, exec_lo
	s_mov_b32 s54, -1
	s_or_b32 s53, s53, s11
	s_and_saveexec_b32 s11, s10
	s_cbranch_execz .LBB195_42
; %bb.48:                               ;   in Loop: Header=BB195_43 Depth=2
	v_add_co_u32 v6, vcc_lo, 0x200, v6
	v_add_co_ci_u32_e32 v7, vcc_lo, 0, v7, vcc_lo
	v_add_co_u32 v8, vcc_lo, 0x800, v8
	v_add_co_ci_u32_e32 v9, vcc_lo, 0, v9, vcc_lo
	s_delay_alu instid0(VALU_DEP_3) | instskip(SKIP_1) | instid1(VALU_DEP_1)
	v_cmp_le_i64_e32 vcc_lo, s[12:13], v[6:7]
	v_add_co_u32 v10, s10, 0x800, v10
	v_add_co_ci_u32_e64 v11, s10, 0, v11, s10
	s_and_not1_b32 s53, s53, exec_lo
	s_or_not1_b32 s54, vcc_lo, exec_lo
	s_branch .LBB195_42
.LBB195_49:                             ;   in Loop: Header=BB195_13 Depth=1
	s_or_b32 exec_lo, exec_lo, s51
	s_and_saveexec_b32 s10, s52
	s_delay_alu instid0(SALU_CYCLE_1)
	s_xor_b32 s10, exec_lo, s10
; %bb.50:                               ;   in Loop: Header=BB195_13 Depth=1
	v_min_i32_e32 v40, v12, v40
; %bb.51:                               ;   in Loop: Header=BB195_13 Depth=1
	s_or_b32 exec_lo, exec_lo, s10
.LBB195_52:                             ;   in Loop: Header=BB195_13 Depth=1
	s_delay_alu instid0(SALU_CYCLE_1)
	s_or_b32 exec_lo, exec_lo, s50
.LBB195_53:                             ;   in Loop: Header=BB195_13 Depth=1
	ds_bpermute_b32 v6, v30, v40
	s_waitcnt lgkmcnt(0)
	v_min_i32_e32 v6, v6, v40
	ds_bpermute_b32 v7, v31, v6
	s_waitcnt lgkmcnt(0)
	v_min_i32_e32 v6, v7, v6
	;; [unrolled: 3-line block ×3, first 2 shown]
	ds_bpermute_b32 v7, v33, v6
	s_and_saveexec_b32 s10, s1
	s_cbranch_execz .LBB195_58
; %bb.54:                               ;   in Loop: Header=BB195_13 Depth=1
	s_waitcnt lgkmcnt(0)
	v_min_i32_e32 v6, v7, v6
	s_mov_b32 s12, exec_lo
	s_brev_b32 s11, -2
.LBB195_55:                             ;   Parent Loop BB195_13 Depth=1
                                        ; =>  This Inner Loop Header: Depth=2
	s_ctz_i32_b32 s13, s12
	s_delay_alu instid0(VALU_DEP_1) | instid1(SALU_CYCLE_1)
	v_readlane_b32 s50, v6, s13
	s_lshl_b32 s13, 1, s13
	s_delay_alu instid0(SALU_CYCLE_1) | instskip(NEXT) | instid1(VALU_DEP_1)
	s_and_not1_b32 s12, s12, s13
	s_min_i32 s11, s11, s50
	s_cmp_lg_u32 s12, 0
	s_cbranch_scc1 .LBB195_55
; %bb.56:                               ;   in Loop: Header=BB195_13 Depth=1
	v_mbcnt_lo_u32_b32 v6, exec_lo, 0
	s_mov_b32 s12, exec_lo
	s_delay_alu instid0(VALU_DEP_1)
	v_cmpx_eq_u32_e32 0, v6
	s_xor_b32 s12, exec_lo, s12
	s_cbranch_execz .LBB195_58
; %bb.57:                               ;   in Loop: Header=BB195_13 Depth=1
	v_mov_b32_e32 v6, s11
	ds_min_i32 v27, v6 offset:10240
.LBB195_58:                             ;   in Loop: Header=BB195_13 Depth=1
	s_or_b32 exec_lo, exec_lo, s10
	s_waitcnt lgkmcnt(0)
	v_dual_mov_b32 v7, v36 :: v_dual_add_nc_u32 v6, s30, v38
	v_mov_b32_e32 v8, v0
	s_mov_b32 s11, 0
	s_waitcnt_vscnt null, 0x0
	s_barrier
	buffer_gl0_inv
	s_branch .LBB195_60
.LBB195_59:                             ;   in Loop: Header=BB195_60 Depth=2
	s_or_b32 exec_lo, exec_lo, s10
	s_waitcnt lgkmcnt(0)
	s_waitcnt_vscnt null, 0x0
	s_barrier
	buffer_gl0_inv
	ds_load_b32 v9, v27 offset:28
	v_add_nc_u32_e32 v10, 0x200, v8
	v_cmp_lt_u32_e32 vcc_lo, 0x5ff, v8
	s_delay_alu instid0(VALU_DEP_2) | instskip(SKIP_4) | instid1(VALU_DEP_1)
	v_dual_mov_b32 v8, v10 :: v_dual_add_nc_u32 v7, 0x800, v7
	s_or_b32 s11, vcc_lo, s11
	s_waitcnt lgkmcnt(0)
	v_ashrrev_i32_e32 v11, 31, v9
	v_add_co_u32 v4, s10, v4, v9
	v_add_co_ci_u32_e64 v5, s10, v5, v11, s10
	s_and_not1_b32 exec_lo, exec_lo, s11
	s_cbranch_execz .LBB195_12
.LBB195_60:                             ;   Parent Loop BB195_13 Depth=1
                                        ; =>  This Inner Loop Header: Depth=2
	ds_load_u8 v17, v8 offset:8192
	ds_load_b32 v9, v7
	s_waitcnt lgkmcnt(0)
	s_barrier
	buffer_gl0_inv
	v_cmp_ne_u16_e32 vcc_lo, 0, v17
	s_bcnt1_i32_b32 s10, vcc_lo
	v_and_b32_e32 v18, vcc_lo, v3
	v_mov_b32_e32 v10, s10
	s_mov_b32 s10, exec_lo
	ds_store_b32 v34, v10
	s_waitcnt lgkmcnt(0)
	s_barrier
	buffer_gl0_inv
	ds_load_b128 v[10:13], v27
	ds_load_b96 v[14:16], v27 offset:16
	s_waitcnt lgkmcnt(1)
	v_cndmask_b32_e64 v10, v10, 0, s3
	v_cndmask_b32_e64 v11, v11, 0, s4
	;; [unrolled: 1-line block ×4, first 2 shown]
	s_waitcnt lgkmcnt(0)
	v_cndmask_b32_e64 v14, v14, 0, s7
	v_bcnt_u32_b32 v10, v18, v10
	s_delay_alu instid0(VALU_DEP_1) | instskip(SKIP_2) | instid1(VALU_DEP_3)
	v_add3_u32 v10, v10, v11, v12
	v_cndmask_b32_e64 v11, v15, 0, s8
	v_cndmask_b32_e64 v12, v16, 0, s9
	v_add3_u32 v10, v10, v13, v14
	v_and_b32_e32 v13, 1, v17
	s_delay_alu instid0(VALU_DEP_2) | instskip(NEXT) | instid1(VALU_DEP_2)
	v_add3_u32 v10, v10, v11, v12
	v_cmpx_eq_u32_e32 1, v13
	s_cbranch_execz .LBB195_62
; %bb.61:                               ;   in Loop: Header=BB195_60 Depth=2
	s_delay_alu instid0(VALU_DEP_2) | instskip(SKIP_2) | instid1(VALU_DEP_3)
	v_ashrrev_i32_e32 v12, 31, v10
	v_add_co_u32 v11, vcc_lo, v4, v10
	v_add_nc_u32_e32 v15, v6, v8
	v_add_co_ci_u32_e32 v12, vcc_lo, v5, v12, vcc_lo
	s_delay_alu instid0(VALU_DEP_1) | instskip(NEXT) | instid1(VALU_DEP_1)
	v_lshlrev_b64 v[11:12], 2, v[11:12]
	v_add_co_u32 v13, vcc_lo, s36, v11
	s_delay_alu instid0(VALU_DEP_2)
	v_add_co_ci_u32_e32 v14, vcc_lo, s37, v12, vcc_lo
	v_add_co_u32 v11, vcc_lo, s38, v11
	v_add_co_ci_u32_e32 v12, vcc_lo, s39, v12, vcc_lo
	global_store_b32 v[13:14], v15, off
	global_store_b32 v[11:12], v9, off
.LBB195_62:                             ;   in Loop: Header=BB195_60 Depth=2
	s_or_b32 exec_lo, exec_lo, s10
	s_and_saveexec_b32 s10, s2
	s_cbranch_execz .LBB195_59
; %bb.63:                               ;   in Loop: Header=BB195_60 Depth=2
	ds_store_b32 v27, v10 offset:28
	s_branch .LBB195_59
.LBB195_64:
	s_endpgm
	.section	.rodata,"a",@progbits
	.p2align	6, 0x0
	.amdhsa_kernel _ZN9rocsparseL36csrgemm_fill_block_per_row_multipassILj512ELj16ELj2048ELj64ElifEEvT4_PKS1_S3_NS_24const_host_device_scalarIT5_EEPKT3_S3_PKS5_S9_S3_SB_S6_S9_S3_SB_S9_PS1_PS5_PS7_21rocsparse_index_base_SF_SF_SF_bbb
		.amdhsa_group_segment_fixed_size 10244
		.amdhsa_private_segment_fixed_size 0
		.amdhsa_kernarg_size 164
		.amdhsa_user_sgpr_count 15
		.amdhsa_user_sgpr_dispatch_ptr 0
		.amdhsa_user_sgpr_queue_ptr 0
		.amdhsa_user_sgpr_kernarg_segment_ptr 1
		.amdhsa_user_sgpr_dispatch_id 0
		.amdhsa_user_sgpr_private_segment_size 0
		.amdhsa_wavefront_size32 1
		.amdhsa_uses_dynamic_stack 0
		.amdhsa_enable_private_segment 0
		.amdhsa_system_sgpr_workgroup_id_x 1
		.amdhsa_system_sgpr_workgroup_id_y 0
		.amdhsa_system_sgpr_workgroup_id_z 0
		.amdhsa_system_sgpr_workgroup_info 0
		.amdhsa_system_vgpr_workitem_id 0
		.amdhsa_next_free_vgpr 43
		.amdhsa_next_free_sgpr 57
		.amdhsa_reserve_vcc 1
		.amdhsa_float_round_mode_32 0
		.amdhsa_float_round_mode_16_64 0
		.amdhsa_float_denorm_mode_32 3
		.amdhsa_float_denorm_mode_16_64 3
		.amdhsa_dx10_clamp 1
		.amdhsa_ieee_mode 1
		.amdhsa_fp16_overflow 0
		.amdhsa_workgroup_processor_mode 1
		.amdhsa_memory_ordered 1
		.amdhsa_forward_progress 0
		.amdhsa_shared_vgpr_count 0
		.amdhsa_exception_fp_ieee_invalid_op 0
		.amdhsa_exception_fp_denorm_src 0
		.amdhsa_exception_fp_ieee_div_zero 0
		.amdhsa_exception_fp_ieee_overflow 0
		.amdhsa_exception_fp_ieee_underflow 0
		.amdhsa_exception_fp_ieee_inexact 0
		.amdhsa_exception_int_div_zero 0
	.end_amdhsa_kernel
	.section	.text._ZN9rocsparseL36csrgemm_fill_block_per_row_multipassILj512ELj16ELj2048ELj64ElifEEvT4_PKS1_S3_NS_24const_host_device_scalarIT5_EEPKT3_S3_PKS5_S9_S3_SB_S6_S9_S3_SB_S9_PS1_PS5_PS7_21rocsparse_index_base_SF_SF_SF_bbb,"axG",@progbits,_ZN9rocsparseL36csrgemm_fill_block_per_row_multipassILj512ELj16ELj2048ELj64ElifEEvT4_PKS1_S3_NS_24const_host_device_scalarIT5_EEPKT3_S3_PKS5_S9_S3_SB_S6_S9_S3_SB_S9_PS1_PS5_PS7_21rocsparse_index_base_SF_SF_SF_bbb,comdat
.Lfunc_end195:
	.size	_ZN9rocsparseL36csrgemm_fill_block_per_row_multipassILj512ELj16ELj2048ELj64ElifEEvT4_PKS1_S3_NS_24const_host_device_scalarIT5_EEPKT3_S3_PKS5_S9_S3_SB_S6_S9_S3_SB_S9_PS1_PS5_PS7_21rocsparse_index_base_SF_SF_SF_bbb, .Lfunc_end195-_ZN9rocsparseL36csrgemm_fill_block_per_row_multipassILj512ELj16ELj2048ELj64ElifEEvT4_PKS1_S3_NS_24const_host_device_scalarIT5_EEPKT3_S3_PKS5_S9_S3_SB_S6_S9_S3_SB_S9_PS1_PS5_PS7_21rocsparse_index_base_SF_SF_SF_bbb
                                        ; -- End function
	.section	.AMDGPU.csdata,"",@progbits
; Kernel info:
; codeLenInByte = 2900
; NumSgprs: 59
; NumVgprs: 43
; ScratchSize: 0
; MemoryBound: 0
; FloatMode: 240
; IeeeMode: 1
; LDSByteSize: 10244 bytes/workgroup (compile time only)
; SGPRBlocks: 7
; VGPRBlocks: 5
; NumSGPRsForWavesPerEU: 59
; NumVGPRsForWavesPerEU: 43
; Occupancy: 16
; WaveLimiterHint : 1
; COMPUTE_PGM_RSRC2:SCRATCH_EN: 0
; COMPUTE_PGM_RSRC2:USER_SGPR: 15
; COMPUTE_PGM_RSRC2:TRAP_HANDLER: 0
; COMPUTE_PGM_RSRC2:TGID_X_EN: 1
; COMPUTE_PGM_RSRC2:TGID_Y_EN: 0
; COMPUTE_PGM_RSRC2:TGID_Z_EN: 0
; COMPUTE_PGM_RSRC2:TIDIG_COMP_CNT: 0
	.section	.text._ZN9rocsparseL26csrgemm_group_reduce_part2ILj256ELj11EdliEEvT3_PKT2_PS1_Pij,"axG",@progbits,_ZN9rocsparseL26csrgemm_group_reduce_part2ILj256ELj11EdliEEvT3_PKT2_PS1_Pij,comdat
	.globl	_ZN9rocsparseL26csrgemm_group_reduce_part2ILj256ELj11EdliEEvT3_PKT2_PS1_Pij ; -- Begin function _ZN9rocsparseL26csrgemm_group_reduce_part2ILj256ELj11EdliEEvT3_PKT2_PS1_Pij
	.p2align	8
	.type	_ZN9rocsparseL26csrgemm_group_reduce_part2ILj256ELj11EdliEEvT3_PKT2_PS1_Pij,@function
_ZN9rocsparseL26csrgemm_group_reduce_part2ILj256ELj11EdliEEvT3_PKT2_PS1_Pij: ; @_ZN9rocsparseL26csrgemm_group_reduce_part2ILj256ELj11EdliEEvT3_PKT2_PS1_Pij
; %bb.0:
	s_clause 0x1
	s_load_b32 s8, s[0:1], 0x0
	s_load_b64 s[2:3], s[0:1], 0x10
	v_mul_u32_u24_e32 v2, 11, v0
	v_mov_b32_e32 v6, 0
	v_lshl_or_b32 v1, s15, 8, v0
	s_mov_b32 s9, 0
	s_mov_b32 s10, exec_lo
	v_lshlrev_b32_e32 v5, 2, v2
	ds_store_2addr_b32 v5, v6, v6 offset1:1
	ds_store_2addr_b32 v5, v6, v6 offset0:2 offset1:3
	ds_store_2addr_b32 v5, v6, v6 offset0:4 offset1:5
	ds_store_2addr_b32 v5, v6, v6 offset0:6 offset1:7
	ds_store_2addr_b32 v5, v6, v6 offset0:8 offset1:9
	ds_store_b32 v5, v6 offset:40
	s_waitcnt lgkmcnt(0)
	buffer_gl0_inv
	v_cmpx_gt_i32_e64 s8, v1
	s_cbranch_execz .LBB196_43
; %bb.1:
	s_clause 0x3
	s_load_b32 s11, s[0:1], 0x20
	s_load_b32 s12, s[0:1], 0x28
	s_load_b64 s[4:5], s[0:1], 0x8
	s_load_b64 s[6:7], s[0:1], 0x18
	v_dual_mov_b32 v7, 6 :: v_dual_mov_b32 v8, 7
	v_dual_mov_b32 v9, 8 :: v_dual_mov_b32 v10, 9
	;; [unrolled: 1-line block ×5, first 2 shown]
	s_waitcnt lgkmcnt(0)
	s_cmpk_lt_u32 s11, 0xc084
	s_cselect_b32 s0, -1, 0
	s_cmp_lt_u32 s11, 0x18084
	s_cselect_b32 s13, -1, 0
	s_cmp_lt_u32 s11, 0x30084
	;; [unrolled: 2-line block ×3, first 2 shown]
	s_cselect_b32 s16, -1, 0
	s_lshl_b32 s1, s12, 8
	s_xor_b32 s11, s0, -1
	s_xor_b32 s12, s13, -1
	;; [unrolled: 1-line block ×4, first 2 shown]
	s_branch .LBB196_3
.LBB196_2:                              ;   in Loop: Header=BB196_3 Depth=1
	s_or_b32 exec_lo, exec_lo, s0
	v_add_nc_u32_e32 v1, s1, v1
	s_delay_alu instid0(VALU_DEP_1) | instskip(SKIP_1) | instid1(SALU_CYCLE_1)
	v_cmp_le_i32_e32 vcc_lo, s8, v1
	s_or_b32 s9, vcc_lo, s9
	s_and_not1_b32 exec_lo, exec_lo, s9
	s_cbranch_execz .LBB196_43
.LBB196_3:                              ; =>This Inner Loop Header: Depth=1
	v_ashrrev_i32_e32 v2, 31, v1
	s_mov_b32 s0, exec_lo
	s_delay_alu instid0(VALU_DEP_1) | instskip(NEXT) | instid1(VALU_DEP_1)
	v_lshlrev_b64 v[3:4], 3, v[1:2]
	v_add_co_u32 v3, vcc_lo, s4, v3
	s_delay_alu instid0(VALU_DEP_2) | instskip(SKIP_4) | instid1(VALU_DEP_1)
	v_add_co_ci_u32_e32 v4, vcc_lo, s5, v4, vcc_lo
	global_load_b128 v[17:20], v[3:4], off
	s_waitcnt vmcnt(0)
	v_sub_co_u32 v3, vcc_lo, v19, v17
	v_sub_co_ci_u32_e32 v4, vcc_lo, v20, v18, vcc_lo
	v_cmpx_lt_i64_e32 16, v[3:4]
	s_xor_b32 s16, exec_lo, s0
	s_cbranch_execz .LBB196_41
; %bb.4:                                ;   in Loop: Header=BB196_3 Depth=1
	s_mov_b32 s0, exec_lo
	v_cmpx_lt_u64_e32 32, v[3:4]
	s_xor_b32 s17, exec_lo, s0
	s_cbranch_execz .LBB196_38
; %bb.5:                                ;   in Loop: Header=BB196_3 Depth=1
	s_mov_b32 s0, exec_lo
	v_cmpx_lt_u64_e32 0x100, v[3:4]
	;; [unrolled: 5-line block ×5, first 2 shown]
	s_xor_b32 s21, exec_lo, s0
	s_cbranch_execz .LBB196_26
; %bb.9:                                ;   in Loop: Header=BB196_3 Depth=1
	v_cmp_gt_u64_e32 vcc_lo, 0x1001, v[3:4]
	s_and_b32 s0, s11, vcc_lo
	s_delay_alu instid0(SALU_CYCLE_1) | instskip(NEXT) | instid1(SALU_CYCLE_1)
	s_and_saveexec_b32 s22, s0
	s_xor_b32 s0, exec_lo, s22
	s_cbranch_execz .LBB196_11
; %bb.10:                               ;   in Loop: Header=BB196_3 Depth=1
	ds_load_b32 v17, v5 offset:24
	v_lshlrev_b64 v[3:4], 2, v[1:2]
	s_delay_alu instid0(VALU_DEP_1) | instskip(NEXT) | instid1(VALU_DEP_2)
	v_add_co_u32 v3, vcc_lo, s6, v3
	v_add_co_ci_u32_e32 v4, vcc_lo, s7, v4, vcc_lo
	global_store_b32 v[3:4], v7, off
                                        ; implicit-def: $vgpr3_vgpr4
	s_waitcnt lgkmcnt(0)
	v_add_nc_u32_e32 v17, 1, v17
	ds_store_b32 v5, v17 offset:24
.LBB196_11:                             ;   in Loop: Header=BB196_3 Depth=1
	s_and_not1_saveexec_b32 s22, s0
	s_cbranch_execz .LBB196_25
; %bb.12:                               ;   in Loop: Header=BB196_3 Depth=1
	v_cmp_gt_u64_e32 vcc_lo, 0x2001, v[3:4]
	s_and_b32 s0, s12, vcc_lo
	s_delay_alu instid0(SALU_CYCLE_1) | instskip(NEXT) | instid1(SALU_CYCLE_1)
	s_and_saveexec_b32 s23, s0
	s_xor_b32 s0, exec_lo, s23
	s_cbranch_execz .LBB196_14
; %bb.13:                               ;   in Loop: Header=BB196_3 Depth=1
	ds_load_b32 v17, v5 offset:28
	v_lshlrev_b64 v[3:4], 2, v[1:2]
	s_delay_alu instid0(VALU_DEP_1) | instskip(NEXT) | instid1(VALU_DEP_2)
	v_add_co_u32 v3, vcc_lo, s6, v3
	v_add_co_ci_u32_e32 v4, vcc_lo, s7, v4, vcc_lo
	global_store_b32 v[3:4], v8, off
                                        ; implicit-def: $vgpr3_vgpr4
	s_waitcnt lgkmcnt(0)
	v_add_nc_u32_e32 v17, 1, v17
	ds_store_b32 v5, v17 offset:28
.LBB196_14:                             ;   in Loop: Header=BB196_3 Depth=1
	s_and_not1_saveexec_b32 s23, s0
	s_cbranch_execz .LBB196_24
; %bb.15:                               ;   in Loop: Header=BB196_3 Depth=1
	;; [unrolled: 21-line block ×3, first 2 shown]
	v_lshlrev_b64 v[17:18], 2, v[1:2]
	v_cmp_gt_u64_e32 vcc_lo, 0x8001, v[3:4]
	s_delay_alu instid0(VALU_DEP_2) | instskip(NEXT) | instid1(VALU_DEP_1)
	v_add_co_u32 v3, s0, s6, v17
	v_add_co_ci_u32_e64 v4, s0, s7, v18, s0
	s_and_b32 s0, s14, vcc_lo
	s_delay_alu instid0(SALU_CYCLE_1) | instskip(NEXT) | instid1(SALU_CYCLE_1)
	s_and_saveexec_b32 s25, s0
	s_xor_b32 s0, exec_lo, s25
	s_cbranch_execz .LBB196_20
; %bb.19:                               ;   in Loop: Header=BB196_3 Depth=1
	ds_load_b32 v17, v5 offset:36
	global_store_b32 v[3:4], v10, off
                                        ; implicit-def: $vgpr3_vgpr4
	s_waitcnt lgkmcnt(0)
	v_add_nc_u32_e32 v17, 1, v17
	ds_store_b32 v5, v17 offset:36
.LBB196_20:                             ;   in Loop: Header=BB196_3 Depth=1
	s_and_not1_saveexec_b32 s0, s0
	s_cbranch_execz .LBB196_22
; %bb.21:                               ;   in Loop: Header=BB196_3 Depth=1
	ds_load_b32 v17, v5 offset:40
	global_store_b32 v[3:4], v11, off
	s_waitcnt lgkmcnt(0)
	v_add_nc_u32_e32 v17, 1, v17
	ds_store_b32 v5, v17 offset:40
.LBB196_22:                             ;   in Loop: Header=BB196_3 Depth=1
	s_or_b32 exec_lo, exec_lo, s0
.LBB196_23:                             ;   in Loop: Header=BB196_3 Depth=1
	s_delay_alu instid0(SALU_CYCLE_1)
	s_or_b32 exec_lo, exec_lo, s24
.LBB196_24:                             ;   in Loop: Header=BB196_3 Depth=1
	s_delay_alu instid0(SALU_CYCLE_1)
	s_or_b32 exec_lo, exec_lo, s23
.LBB196_25:                             ;   in Loop: Header=BB196_3 Depth=1
	s_delay_alu instid0(SALU_CYCLE_1)
	s_or_b32 exec_lo, exec_lo, s22
.LBB196_26:                             ;   in Loop: Header=BB196_3 Depth=1
	s_and_not1_saveexec_b32 s0, s21
	s_cbranch_execz .LBB196_28
; %bb.27:                               ;   in Loop: Header=BB196_3 Depth=1
	ds_load_b32 v17, v5 offset:20
	v_lshlrev_b64 v[3:4], 2, v[1:2]
	s_delay_alu instid0(VALU_DEP_1) | instskip(NEXT) | instid1(VALU_DEP_2)
	v_add_co_u32 v3, vcc_lo, s6, v3
	v_add_co_ci_u32_e32 v4, vcc_lo, s7, v4, vcc_lo
	global_store_b32 v[3:4], v12, off
	s_waitcnt lgkmcnt(0)
	v_add_nc_u32_e32 v17, 1, v17
	ds_store_b32 v5, v17 offset:20
.LBB196_28:                             ;   in Loop: Header=BB196_3 Depth=1
	s_or_b32 exec_lo, exec_lo, s0
.LBB196_29:                             ;   in Loop: Header=BB196_3 Depth=1
	s_and_not1_saveexec_b32 s0, s20
	s_cbranch_execz .LBB196_31
; %bb.30:                               ;   in Loop: Header=BB196_3 Depth=1
	ds_load_b32 v17, v5 offset:16
	v_lshlrev_b64 v[3:4], 2, v[1:2]
	s_delay_alu instid0(VALU_DEP_1) | instskip(NEXT) | instid1(VALU_DEP_2)
	v_add_co_u32 v3, vcc_lo, s6, v3
	v_add_co_ci_u32_e32 v4, vcc_lo, s7, v4, vcc_lo
	global_store_b32 v[3:4], v13, off
	s_waitcnt lgkmcnt(0)
	v_add_nc_u32_e32 v17, 1, v17
	ds_store_b32 v5, v17 offset:16
.LBB196_31:                             ;   in Loop: Header=BB196_3 Depth=1
	s_or_b32 exec_lo, exec_lo, s0
.LBB196_32:                             ;   in Loop: Header=BB196_3 Depth=1
	s_and_not1_saveexec_b32 s0, s19
	s_cbranch_execz .LBB196_34
; %bb.33:                               ;   in Loop: Header=BB196_3 Depth=1
	ds_load_b32 v17, v5 offset:12
	v_lshlrev_b64 v[3:4], 2, v[1:2]
	s_delay_alu instid0(VALU_DEP_1) | instskip(NEXT) | instid1(VALU_DEP_2)
	v_add_co_u32 v3, vcc_lo, s6, v3
	v_add_co_ci_u32_e32 v4, vcc_lo, s7, v4, vcc_lo
	global_store_b32 v[3:4], v14, off
	s_waitcnt lgkmcnt(0)
	v_add_nc_u32_e32 v17, 1, v17
	ds_store_b32 v5, v17 offset:12
.LBB196_34:                             ;   in Loop: Header=BB196_3 Depth=1
	s_or_b32 exec_lo, exec_lo, s0
.LBB196_35:                             ;   in Loop: Header=BB196_3 Depth=1
	s_and_not1_saveexec_b32 s0, s18
	s_cbranch_execz .LBB196_37
; %bb.36:                               ;   in Loop: Header=BB196_3 Depth=1
	ds_load_b32 v17, v5 offset:8
	v_lshlrev_b64 v[3:4], 2, v[1:2]
	s_delay_alu instid0(VALU_DEP_1) | instskip(NEXT) | instid1(VALU_DEP_2)
	v_add_co_u32 v3, vcc_lo, s6, v3
	v_add_co_ci_u32_e32 v4, vcc_lo, s7, v4, vcc_lo
	global_store_b32 v[3:4], v15, off
	s_waitcnt lgkmcnt(0)
	v_add_nc_u32_e32 v17, 1, v17
	ds_store_b32 v5, v17 offset:8
.LBB196_37:                             ;   in Loop: Header=BB196_3 Depth=1
	s_or_b32 exec_lo, exec_lo, s0
.LBB196_38:                             ;   in Loop: Header=BB196_3 Depth=1
	s_and_not1_saveexec_b32 s0, s17
	s_cbranch_execz .LBB196_40
; %bb.39:                               ;   in Loop: Header=BB196_3 Depth=1
	ds_load_b32 v17, v5 offset:4
	v_lshlrev_b64 v[3:4], 2, v[1:2]
	s_delay_alu instid0(VALU_DEP_1) | instskip(NEXT) | instid1(VALU_DEP_2)
	v_add_co_u32 v3, vcc_lo, s6, v3
	v_add_co_ci_u32_e32 v4, vcc_lo, s7, v4, vcc_lo
	global_store_b32 v[3:4], v16, off
	s_waitcnt lgkmcnt(0)
	v_add_nc_u32_e32 v17, 1, v17
	ds_store_b32 v5, v17 offset:4
.LBB196_40:                             ;   in Loop: Header=BB196_3 Depth=1
	s_or_b32 exec_lo, exec_lo, s0
.LBB196_41:                             ;   in Loop: Header=BB196_3 Depth=1
	s_and_not1_saveexec_b32 s0, s16
	s_cbranch_execz .LBB196_2
; %bb.42:                               ;   in Loop: Header=BB196_3 Depth=1
	ds_load_b32 v4, v5
	v_lshlrev_b64 v[2:3], 2, v[1:2]
	s_delay_alu instid0(VALU_DEP_1) | instskip(NEXT) | instid1(VALU_DEP_2)
	v_add_co_u32 v2, vcc_lo, s6, v2
	v_add_co_ci_u32_e32 v3, vcc_lo, s7, v3, vcc_lo
	global_store_b32 v[2:3], v6, off
	s_waitcnt lgkmcnt(0)
	v_add_nc_u32_e32 v4, 1, v4
	ds_store_b32 v5, v4
	s_branch .LBB196_2
.LBB196_43:
	s_or_b32 exec_lo, exec_lo, s10
	s_delay_alu instid0(SALU_CYCLE_1)
	s_mov_b32 s0, exec_lo
	s_waitcnt lgkmcnt(0)
	s_waitcnt_vscnt null, 0x0
	s_barrier
	buffer_gl0_inv
	s_barrier
	buffer_gl0_inv
	;; [unrolled: 2-line block ×3, first 2 shown]
	v_cmpx_gt_u32_e32 0x80, v0
	s_cbranch_execz .LBB196_45
; %bb.44:
	v_add_nc_u32_e32 v1, 0x1600, v5
	v_add_nc_u32_e32 v3, 0x1608, v5
	;; [unrolled: 1-line block ×5, first 2 shown]
	ds_load_2addr_b32 v[1:2], v1 offset1:1
	ds_load_2addr_b32 v[3:4], v3 offset1:1
	;; [unrolled: 1-line block ×4, first 2 shown]
	ds_load_2addr_b32 v[10:11], v5 offset0:2 offset1:3
	ds_load_2addr_b32 v[12:13], v5 offset0:4 offset1:5
	;; [unrolled: 1-line block ×3, first 2 shown]
	v_add_nc_u32_e32 v22, 40, v5
	ds_load_2addr_b32 v[16:17], v16 offset1:1
	ds_load_2addr_b32 v[18:19], v18 offset1:1
	ds_load_2addr_b32 v[20:21], v5 offset0:8 offset1:9
	ds_load_2addr_stride64_b32 v[22:23], v22 offset1:22
	s_waitcnt lgkmcnt(6)
	v_add_nc_u32_e32 v3, v10, v3
	v_add_nc_u32_e32 v1, v8, v1
	;; [unrolled: 1-line block ×4, first 2 shown]
	s_waitcnt lgkmcnt(5)
	v_add_nc_u32_e32 v6, v12, v6
	v_add_nc_u32_e32 v7, v13, v7
	s_waitcnt lgkmcnt(3)
	v_add_nc_u32_e32 v8, v14, v16
	v_add_nc_u32_e32 v9, v15, v17
	;; [unrolled: 3-line block ×3, first 2 shown]
	s_waitcnt lgkmcnt(0)
	v_add_nc_u32_e32 v12, v22, v23
	ds_store_2addr_b32 v5, v1, v2 offset1:1
	ds_store_2addr_b32 v5, v3, v4 offset0:2 offset1:3
	ds_store_2addr_b32 v5, v6, v7 offset0:4 offset1:5
	;; [unrolled: 1-line block ×4, first 2 shown]
	ds_store_b32 v5, v12 offset:40
.LBB196_45:
	s_or_b32 exec_lo, exec_lo, s0
	s_delay_alu instid0(SALU_CYCLE_1)
	s_mov_b32 s0, exec_lo
	s_waitcnt lgkmcnt(0)
	s_barrier
	buffer_gl0_inv
	v_cmpx_gt_u32_e32 64, v0
	s_cbranch_execz .LBB196_47
; %bb.46:
	v_add_nc_u32_e32 v1, 0xb00, v5
	v_add_nc_u32_e32 v3, 0xb08, v5
	;; [unrolled: 1-line block ×5, first 2 shown]
	ds_load_2addr_b32 v[1:2], v1 offset1:1
	ds_load_2addr_b32 v[3:4], v3 offset1:1
	;; [unrolled: 1-line block ×4, first 2 shown]
	ds_load_2addr_b32 v[10:11], v5 offset0:2 offset1:3
	ds_load_2addr_b32 v[12:13], v5 offset0:4 offset1:5
	;; [unrolled: 1-line block ×3, first 2 shown]
	v_add_nc_u32_e32 v22, 40, v5
	ds_load_2addr_b32 v[16:17], v16 offset1:1
	ds_load_2addr_b32 v[18:19], v18 offset1:1
	ds_load_2addr_b32 v[20:21], v5 offset0:8 offset1:9
	ds_load_2addr_stride64_b32 v[22:23], v22 offset1:11
	s_waitcnt lgkmcnt(6)
	v_add_nc_u32_e32 v3, v10, v3
	v_add_nc_u32_e32 v1, v8, v1
	;; [unrolled: 1-line block ×4, first 2 shown]
	s_waitcnt lgkmcnt(5)
	v_add_nc_u32_e32 v6, v12, v6
	v_add_nc_u32_e32 v7, v13, v7
	s_waitcnt lgkmcnt(3)
	v_add_nc_u32_e32 v8, v14, v16
	v_add_nc_u32_e32 v9, v15, v17
	;; [unrolled: 3-line block ×3, first 2 shown]
	s_waitcnt lgkmcnt(0)
	v_add_nc_u32_e32 v12, v22, v23
	ds_store_2addr_b32 v5, v1, v2 offset1:1
	ds_store_2addr_b32 v5, v3, v4 offset0:2 offset1:3
	ds_store_2addr_b32 v5, v6, v7 offset0:4 offset1:5
	;; [unrolled: 1-line block ×4, first 2 shown]
	ds_store_b32 v5, v12 offset:40
.LBB196_47:
	s_or_b32 exec_lo, exec_lo, s0
	s_delay_alu instid0(SALU_CYCLE_1)
	s_mov_b32 s0, exec_lo
	s_waitcnt lgkmcnt(0)
	s_barrier
	buffer_gl0_inv
	v_cmpx_gt_u32_e32 32, v0
	s_cbranch_execz .LBB196_49
; %bb.48:
	v_add_nc_u32_e32 v6, 0x580, v5
	v_add_nc_u32_e32 v8, 0x588, v5
	ds_load_2addr_b32 v[1:2], v5 offset1:1
	ds_load_2addr_b32 v[3:4], v5 offset0:2 offset1:3
	v_add_nc_u32_e32 v10, 0x590, v5
	v_add_nc_u32_e32 v16, 0x598, v5
	ds_load_2addr_b32 v[6:7], v6 offset1:1
	v_add_nc_u32_e32 v18, 0x5a0, v5
	ds_load_2addr_b32 v[8:9], v8 offset1:1
	ds_load_2addr_b32 v[10:11], v10 offset1:1
	ds_load_2addr_b32 v[12:13], v5 offset0:4 offset1:5
	ds_load_2addr_b32 v[14:15], v5 offset0:6 offset1:7
	ds_load_2addr_b32 v[16:17], v16 offset1:1
	ds_load_2addr_b32 v[18:19], v18 offset1:1
	ds_load_2addr_b32 v[20:21], v5 offset0:8 offset1:9
	ds_load_b32 v22, v5 offset:1448
	ds_load_b32 v23, v5 offset:40
	s_waitcnt lgkmcnt(8)
	v_add_nc_u32_e32 v3, v3, v8
	v_add_nc_u32_e32 v4, v4, v9
	s_waitcnt lgkmcnt(4)
	v_add_nc_u32_e32 v8, v14, v16
	v_add_nc_u32_e32 v1, v1, v6
	;; [unrolled: 1-line block ×6, first 2 shown]
	s_waitcnt lgkmcnt(2)
	v_add_nc_u32_e32 v10, v20, v18
	v_add_nc_u32_e32 v11, v21, v19
	s_waitcnt lgkmcnt(0)
	v_add_nc_u32_e32 v12, v23, v22
	ds_store_2addr_b32 v5, v1, v2 offset1:1
	ds_store_2addr_b32 v5, v3, v4 offset0:2 offset1:3
	ds_store_2addr_b32 v5, v6, v7 offset0:4 offset1:5
	;; [unrolled: 1-line block ×4, first 2 shown]
	ds_store_b32 v5, v12 offset:40
.LBB196_49:
	s_or_b32 exec_lo, exec_lo, s0
	s_delay_alu instid0(SALU_CYCLE_1)
	s_mov_b32 s0, exec_lo
	s_waitcnt lgkmcnt(0)
	s_barrier
	buffer_gl0_inv
	v_cmpx_gt_u32_e32 16, v0
	s_cbranch_execz .LBB196_51
; %bb.50:
	ds_load_2addr_b32 v[1:2], v5 offset0:176 offset1:177
	ds_load_2addr_b32 v[3:4], v5 offset1:1
	ds_load_2addr_b32 v[6:7], v5 offset0:2 offset1:3
	ds_load_2addr_b32 v[8:9], v5 offset0:178 offset1:179
	ds_load_2addr_b32 v[10:11], v5 offset0:180 offset1:181
	ds_load_2addr_b32 v[12:13], v5 offset0:4 offset1:5
	ds_load_2addr_b32 v[14:15], v5 offset0:6 offset1:7
	ds_load_2addr_b32 v[16:17], v5 offset0:182 offset1:183
	ds_load_2addr_b32 v[18:19], v5 offset0:184 offset1:185
	ds_load_2addr_b32 v[20:21], v5 offset0:8 offset1:9
	ds_load_2addr_b32 v[22:23], v5 offset0:10 offset1:186
	s_waitcnt lgkmcnt(9)
	v_add_nc_u32_e32 v1, v3, v1
	v_add_nc_u32_e32 v2, v4, v2
	s_waitcnt lgkmcnt(7)
	v_add_nc_u32_e32 v3, v6, v8
	v_add_nc_u32_e32 v4, v7, v9
	s_waitcnt lgkmcnt(5)
	v_add_nc_u32_e32 v6, v12, v10
	v_add_nc_u32_e32 v7, v13, v11
	s_waitcnt lgkmcnt(3)
	v_add_nc_u32_e32 v8, v14, v16
	v_add_nc_u32_e32 v9, v15, v17
	s_waitcnt lgkmcnt(1)
	v_add_nc_u32_e32 v10, v20, v18
	v_add_nc_u32_e32 v11, v21, v19
	s_waitcnt lgkmcnt(0)
	v_add_nc_u32_e32 v12, v22, v23
	ds_store_2addr_b32 v5, v1, v2 offset1:1
	ds_store_2addr_b32 v5, v3, v4 offset0:2 offset1:3
	ds_store_2addr_b32 v5, v6, v7 offset0:4 offset1:5
	ds_store_2addr_b32 v5, v8, v9 offset0:6 offset1:7
	ds_store_2addr_b32 v5, v10, v11 offset0:8 offset1:9
	ds_store_b32 v5, v12 offset:40
.LBB196_51:
	s_or_b32 exec_lo, exec_lo, s0
	s_delay_alu instid0(SALU_CYCLE_1)
	s_mov_b32 s0, exec_lo
	s_waitcnt lgkmcnt(0)
	s_barrier
	buffer_gl0_inv
	v_cmpx_gt_u32_e32 8, v0
	s_cbranch_execz .LBB196_53
; %bb.52:
	ds_load_2addr_b32 v[1:2], v5 offset0:88 offset1:89
	ds_load_2addr_b32 v[3:4], v5 offset1:1
	ds_load_2addr_b32 v[6:7], v5 offset0:2 offset1:3
	ds_load_2addr_b32 v[8:9], v5 offset0:90 offset1:91
	ds_load_2addr_b32 v[10:11], v5 offset0:92 offset1:93
	ds_load_2addr_b32 v[12:13], v5 offset0:4 offset1:5
	ds_load_2addr_b32 v[14:15], v5 offset0:6 offset1:7
	ds_load_2addr_b32 v[16:17], v5 offset0:94 offset1:95
	ds_load_2addr_b32 v[18:19], v5 offset0:96 offset1:97
	ds_load_2addr_b32 v[20:21], v5 offset0:8 offset1:9
	ds_load_2addr_b32 v[22:23], v5 offset0:10 offset1:98
	s_waitcnt lgkmcnt(9)
	v_add_nc_u32_e32 v1, v3, v1
	v_add_nc_u32_e32 v2, v4, v2
	s_waitcnt lgkmcnt(7)
	v_add_nc_u32_e32 v3, v6, v8
	v_add_nc_u32_e32 v4, v7, v9
	s_waitcnt lgkmcnt(5)
	v_add_nc_u32_e32 v6, v12, v10
	v_add_nc_u32_e32 v7, v13, v11
	s_waitcnt lgkmcnt(3)
	v_add_nc_u32_e32 v8, v14, v16
	v_add_nc_u32_e32 v9, v15, v17
	s_waitcnt lgkmcnt(1)
	v_add_nc_u32_e32 v10, v20, v18
	v_add_nc_u32_e32 v11, v21, v19
	s_waitcnt lgkmcnt(0)
	v_add_nc_u32_e32 v12, v22, v23
	ds_store_2addr_b32 v5, v1, v2 offset1:1
	ds_store_2addr_b32 v5, v3, v4 offset0:2 offset1:3
	ds_store_2addr_b32 v5, v6, v7 offset0:4 offset1:5
	ds_store_2addr_b32 v5, v8, v9 offset0:6 offset1:7
	ds_store_2addr_b32 v5, v10, v11 offset0:8 offset1:9
	ds_store_b32 v5, v12 offset:40
.LBB196_53:
	;; [unrolled: 44-line block ×4, first 2 shown]
	s_or_b32 exec_lo, exec_lo, s0
	s_delay_alu instid0(SALU_CYCLE_1)
	s_mov_b32 s0, exec_lo
	s_waitcnt lgkmcnt(0)
	s_barrier
	buffer_gl0_inv
	v_cmpx_eq_u32_e32 0, v0
	s_cbranch_execz .LBB196_59
; %bb.58:
	v_mov_b32_e32 v23, 0
	ds_load_b128 v[1:4], v23
	ds_load_b128 v[5:8], v23 offset:32
	ds_load_b128 v[9:12], v23 offset:48
	;; [unrolled: 1-line block ×4, first 2 shown]
	ds_load_b64 v[21:22], v23 offset:80
	s_waitcnt lgkmcnt(4)
	v_add_nc_u32_e32 v1, v1, v8
	s_waitcnt lgkmcnt(3)
	v_add_nc_u32_e32 v2, v2, v9
	v_add_nc_u32_e32 v3, v3, v10
	;; [unrolled: 1-line block ×3, first 2 shown]
	s_waitcnt lgkmcnt(2)
	v_add_nc_u32_e32 v8, v13, v12
	s_waitcnt lgkmcnt(1)
	v_add_nc_u32_e32 v9, v14, v17
	v_add_nc_u32_e32 v10, v15, v18
	;; [unrolled: 1-line block ×4, first 2 shown]
	s_waitcnt lgkmcnt(0)
	v_add_nc_u32_e32 v6, v6, v21
	v_add_nc_u32_e32 v7, v7, v22
	ds_store_b128 v23, v[1:4]
	ds_store_b128 v23, v[8:11] offset:16
	ds_store_b96 v23, v[5:7] offset:32
.LBB196_59:
	s_or_b32 exec_lo, exec_lo, s0
	s_waitcnt lgkmcnt(0)
	s_barrier
	buffer_gl0_inv
	s_mov_b32 s0, exec_lo
	v_cmpx_gt_u32_e32 11, v0
	s_cbranch_execz .LBB196_61
; %bb.60:
	v_lshlrev_b32_e32 v3, 2, v0
	v_mad_u64_u32 v[1:2], null, s15, 11, v[0:1]
	v_mov_b32_e32 v2, 0
	ds_load_b32 v3, v3
	v_lshlrev_b64 v[0:1], 2, v[1:2]
	s_delay_alu instid0(VALU_DEP_1) | instskip(NEXT) | instid1(VALU_DEP_2)
	v_add_co_u32 v0, vcc_lo, s2, v0
	v_add_co_ci_u32_e32 v1, vcc_lo, s3, v1, vcc_lo
	s_waitcnt lgkmcnt(0)
	global_store_b32 v[0:1], v3, off
.LBB196_61:
	s_nop 0
	s_sendmsg sendmsg(MSG_DEALLOC_VGPRS)
	s_endpgm
	.section	.rodata,"a",@progbits
	.p2align	6, 0x0
	.amdhsa_kernel _ZN9rocsparseL26csrgemm_group_reduce_part2ILj256ELj11EdliEEvT3_PKT2_PS1_Pij
		.amdhsa_group_segment_fixed_size 11264
		.amdhsa_private_segment_fixed_size 0
		.amdhsa_kernarg_size 296
		.amdhsa_user_sgpr_count 15
		.amdhsa_user_sgpr_dispatch_ptr 0
		.amdhsa_user_sgpr_queue_ptr 0
		.amdhsa_user_sgpr_kernarg_segment_ptr 1
		.amdhsa_user_sgpr_dispatch_id 0
		.amdhsa_user_sgpr_private_segment_size 0
		.amdhsa_wavefront_size32 1
		.amdhsa_uses_dynamic_stack 0
		.amdhsa_enable_private_segment 0
		.amdhsa_system_sgpr_workgroup_id_x 1
		.amdhsa_system_sgpr_workgroup_id_y 0
		.amdhsa_system_sgpr_workgroup_id_z 0
		.amdhsa_system_sgpr_workgroup_info 0
		.amdhsa_system_vgpr_workitem_id 0
		.amdhsa_next_free_vgpr 24
		.amdhsa_next_free_sgpr 26
		.amdhsa_reserve_vcc 1
		.amdhsa_float_round_mode_32 0
		.amdhsa_float_round_mode_16_64 0
		.amdhsa_float_denorm_mode_32 3
		.amdhsa_float_denorm_mode_16_64 3
		.amdhsa_dx10_clamp 1
		.amdhsa_ieee_mode 1
		.amdhsa_fp16_overflow 0
		.amdhsa_workgroup_processor_mode 1
		.amdhsa_memory_ordered 1
		.amdhsa_forward_progress 0
		.amdhsa_shared_vgpr_count 0
		.amdhsa_exception_fp_ieee_invalid_op 0
		.amdhsa_exception_fp_denorm_src 0
		.amdhsa_exception_fp_ieee_div_zero 0
		.amdhsa_exception_fp_ieee_overflow 0
		.amdhsa_exception_fp_ieee_underflow 0
		.amdhsa_exception_fp_ieee_inexact 0
		.amdhsa_exception_int_div_zero 0
	.end_amdhsa_kernel
	.section	.text._ZN9rocsparseL26csrgemm_group_reduce_part2ILj256ELj11EdliEEvT3_PKT2_PS1_Pij,"axG",@progbits,_ZN9rocsparseL26csrgemm_group_reduce_part2ILj256ELj11EdliEEvT3_PKT2_PS1_Pij,comdat
.Lfunc_end196:
	.size	_ZN9rocsparseL26csrgemm_group_reduce_part2ILj256ELj11EdliEEvT3_PKT2_PS1_Pij, .Lfunc_end196-_ZN9rocsparseL26csrgemm_group_reduce_part2ILj256ELj11EdliEEvT3_PKT2_PS1_Pij
                                        ; -- End function
	.section	.AMDGPU.csdata,"",@progbits
; Kernel info:
; codeLenInByte = 3416
; NumSgprs: 28
; NumVgprs: 24
; ScratchSize: 0
; MemoryBound: 0
; FloatMode: 240
; IeeeMode: 1
; LDSByteSize: 11264 bytes/workgroup (compile time only)
; SGPRBlocks: 3
; VGPRBlocks: 2
; NumSGPRsForWavesPerEU: 28
; NumVGPRsForWavesPerEU: 24
; Occupancy: 16
; WaveLimiterHint : 0
; COMPUTE_PGM_RSRC2:SCRATCH_EN: 0
; COMPUTE_PGM_RSRC2:USER_SGPR: 15
; COMPUTE_PGM_RSRC2:TRAP_HANDLER: 0
; COMPUTE_PGM_RSRC2:TGID_X_EN: 1
; COMPUTE_PGM_RSRC2:TGID_Y_EN: 0
; COMPUTE_PGM_RSRC2:TGID_Z_EN: 0
; COMPUTE_PGM_RSRC2:TIDIG_COMP_CNT: 0
	.section	.text._ZN9rocsparseL23csrgemm_fill_wf_per_rowILj256ELj8ELj16ELj137ElidEEvT4_S1_PKS1_S3_NS_24const_host_device_scalarIT5_EEPKT3_S3_PKS5_S9_S3_SB_S6_S9_S3_SB_S9_PS1_PS5_21rocsparse_index_base_SE_SE_SE_bbb,"axG",@progbits,_ZN9rocsparseL23csrgemm_fill_wf_per_rowILj256ELj8ELj16ELj137ElidEEvT4_S1_PKS1_S3_NS_24const_host_device_scalarIT5_EEPKT3_S3_PKS5_S9_S3_SB_S6_S9_S3_SB_S9_PS1_PS5_21rocsparse_index_base_SE_SE_SE_bbb,comdat
	.globl	_ZN9rocsparseL23csrgemm_fill_wf_per_rowILj256ELj8ELj16ELj137ElidEEvT4_S1_PKS1_S3_NS_24const_host_device_scalarIT5_EEPKT3_S3_PKS5_S9_S3_SB_S6_S9_S3_SB_S9_PS1_PS5_21rocsparse_index_base_SE_SE_SE_bbb ; -- Begin function _ZN9rocsparseL23csrgemm_fill_wf_per_rowILj256ELj8ELj16ELj137ElidEEvT4_S1_PKS1_S3_NS_24const_host_device_scalarIT5_EEPKT3_S3_PKS5_S9_S3_SB_S6_S9_S3_SB_S9_PS1_PS5_21rocsparse_index_base_SE_SE_SE_bbb
	.p2align	8
	.type	_ZN9rocsparseL23csrgemm_fill_wf_per_rowILj256ELj8ELj16ELj137ElidEEvT4_S1_PKS1_S3_NS_24const_host_device_scalarIT5_EEPKT3_S3_PKS5_S9_S3_SB_S6_S9_S3_SB_S9_PS1_PS5_21rocsparse_index_base_SE_SE_SE_bbb,@function
_ZN9rocsparseL23csrgemm_fill_wf_per_rowILj256ELj8ELj16ELj137ElidEEvT4_S1_PKS1_S3_NS_24const_host_device_scalarIT5_EEPKT3_S3_PKS5_S9_S3_SB_S6_S9_S3_SB_S9_PS1_PS5_21rocsparse_index_base_SE_SE_SE_bbb: ; @_ZN9rocsparseL23csrgemm_fill_wf_per_rowILj256ELj8ELj16ELj137ElidEEvT4_S1_PKS1_S3_NS_24const_host_device_scalarIT5_EEPKT3_S3_PKS5_S9_S3_SB_S6_S9_S3_SB_S9_PS1_PS5_21rocsparse_index_base_SE_SE_SE_bbb
; %bb.0:
	s_clause 0x3
	s_load_b32 s12, s[0:1], 0x98
	s_load_b64 s[4:5], s[0:1], 0x18
	s_load_b128 s[24:27], s[0:1], 0x88
	s_load_b64 s[2:3], s[0:1], 0x50
	s_waitcnt lgkmcnt(0)
	s_and_b32 s6, 1, s12
	s_bitcmp1_b32 s12, 16
	s_cselect_b32 s14, -1, 0
	s_cmp_eq_u32 s6, 1
	s_cselect_b32 s13, -1, 0
	s_delay_alu instid0(SALU_CYCLE_1)
	s_and_b32 s6, s13, exec_lo
	s_cselect_b32 s7, s5, 0
	s_cselect_b32 s6, s4, 0
	s_xor_b32 s8, s13, -1
	v_dual_mov_b32 v9, s7 :: v_dual_mov_b32 v8, s6
	s_or_b32 s8, s8, s14
	s_delay_alu instid0(SALU_CYCLE_1)
	s_and_b32 vcc_lo, exec_lo, s8
	s_cbranch_vccnz .LBB197_2
; %bb.1:
	v_dual_mov_b32 v1, s4 :: v_dual_mov_b32 v2, s5
	flat_load_b64 v[8:9], v[1:2]
.LBB197_2:
	s_clause 0x4
	s_load_b128 s[28:31], s[0:1], 0x78
	s_load_b256 s[4:11], s[0:1], 0x58
	s_load_b128 s[36:39], s[0:1], 0x40
	s_load_b128 s[40:43], s[0:1], 0x8
	s_load_b256 s[16:23], s[0:1], 0x20
	s_bitcmp1_b32 s12, 8
	s_cselect_b32 s12, -1, 0
	s_delay_alu instid0(SALU_CYCLE_1)
	s_and_b32 s33, s12, exec_lo
	s_cselect_b32 s35, s3, 0
	s_cselect_b32 s34, s2, 0
	s_xor_b32 s33, s12, -1
	v_dual_mov_b32 v4, s34 :: v_dual_mov_b32 v5, s35
	s_or_b32 s14, s33, s14
	s_delay_alu instid0(SALU_CYCLE_1)
	s_and_b32 vcc_lo, exec_lo, s14
	s_cbranch_vccnz .LBB197_4
; %bb.3:
	v_dual_mov_b32 v1, s2 :: v_dual_mov_b32 v2, s3
	flat_load_b64 v[4:5], v[1:2]
.LBB197_4:
	s_load_b64 s[0:1], s[0:1], 0x0
	v_and_b32_e32 v25, 7, v0
	v_lshrrev_b32_e32 v2, 3, v0
	v_mov_b32_e32 v0, 0
	s_mov_b32 s2, 0
	s_delay_alu instid0(VALU_DEP_3) | instskip(SKIP_2) | instid1(VALU_DEP_3)
	v_lshlrev_b32_e32 v6, 3, v25
	v_or_b32_e32 v22, -8, v25
	v_lshlrev_b32_e32 v3, 2, v25
	v_lshl_or_b32 v21, v2, 7, v6
	s_delay_alu instid0(VALU_DEP_3) | instskip(NEXT) | instid1(VALU_DEP_2)
	v_dual_mov_b32 v10, v22 :: v_dual_lshlrev_b32 v1, 6, v2
	v_mov_b32_e32 v6, v21
	s_delay_alu instid0(VALU_DEP_2) | instskip(SKIP_3) | instid1(VALU_DEP_3)
	v_or3_b32 v20, v1, v3, 0x1000
	v_mov_b32_e32 v1, v0
	s_waitcnt lgkmcnt(0)
	v_mov_b32_e32 v7, s1
	v_mov_b32_e32 v3, v20
.LBB197_5:                              ; =>This Inner Loop Header: Depth=1
	v_add_co_u32 v10, s3, v10, 8
	s_delay_alu instid0(VALU_DEP_1)
	s_xor_b32 s3, s3, -1
	ds_store_b32 v3, v7
	ds_store_b64 v6, v[0:1]
	v_add_nc_u32_e32 v6, 64, v6
	v_add_nc_u32_e32 v3, 32, v3
	s_and_b32 s3, exec_lo, s3
	s_delay_alu instid0(SALU_CYCLE_1) | instskip(NEXT) | instid1(SALU_CYCLE_1)
	s_or_b32 s2, s3, s2
	s_and_not1_b32 exec_lo, exec_lo, s2
	s_cbranch_execnz .LBB197_5
; %bb.6:
	s_or_b32 exec_lo, exec_lo, s2
	s_lshl_b32 s2, s15, 5
	s_waitcnt vmcnt(0) lgkmcnt(0)
	buffer_gl0_inv
	v_and_or_b32 v0, 0x1fffffe0, s2, v2
	s_delay_alu instid0(VALU_DEP_1)
	v_cmp_gt_i32_e32 vcc_lo, s0, v0
	s_and_saveexec_b32 s0, vcc_lo
	s_cbranch_execz .LBB197_57
; %bb.7:
	s_cmp_eq_u64 s[42:43], 0
	s_cbranch_scc1 .LBB197_9
; %bb.8:
	s_load_b32 s0, s[40:41], 0x0
	s_waitcnt lgkmcnt(0)
	v_add_nc_u32_e32 v0, s0, v0
	s_delay_alu instid0(VALU_DEP_1) | instskip(NEXT) | instid1(VALU_DEP_1)
	v_ashrrev_i32_e32 v1, 31, v0
	v_lshlrev_b64 v[0:1], 2, v[0:1]
	s_delay_alu instid0(VALU_DEP_1) | instskip(NEXT) | instid1(VALU_DEP_2)
	v_add_co_u32 v0, vcc_lo, s42, v0
	v_add_co_ci_u32_e32 v1, vcc_lo, s43, v1, vcc_lo
	global_load_b32 v0, v[0:1], off
.LBB197_9:
	s_waitcnt vmcnt(0)
	v_ashrrev_i32_e32 v1, 31, v0
	v_lshl_or_b32 v23, v2, 6, 0x1000
	v_lshlrev_b32_e32 v24, 7, v2
	s_and_not1_b32 vcc_lo, exec_lo, s13
	s_delay_alu instid0(VALU_DEP_3)
	v_lshlrev_b64 v[6:7], 3, v[0:1]
	s_cbranch_vccnz .LBB197_33
; %bb.10:
	s_delay_alu instid0(VALU_DEP_1) | instskip(NEXT) | instid1(VALU_DEP_2)
	v_add_co_u32 v0, vcc_lo, s16, v6
	v_add_co_ci_u32_e32 v1, vcc_lo, s17, v7, vcc_lo
	v_sub_co_u32 v12, s0, v25, s24
	s_delay_alu instid0(VALU_DEP_1)
	v_sub_co_ci_u32_e64 v13, null, 0, 0, s0
	global_load_b128 v[0:3], v[0:1], off
	s_mov_b32 s2, 0
	s_mov_b32 s0, exec_lo
	s_waitcnt vmcnt(0)
	v_sub_co_u32 v10, vcc_lo, v2, s24
	v_subrev_co_ci_u32_e32 v11, vcc_lo, 0, v3, vcc_lo
	v_add_co_u32 v12, vcc_lo, v0, v12
	v_add_co_ci_u32_e32 v13, vcc_lo, v1, v13, vcc_lo
	s_delay_alu instid0(VALU_DEP_1)
	v_cmpx_lt_i64_e64 v[12:13], v[10:11]
	s_cbranch_execz .LBB197_32
; %bb.11:
	s_mov_b32 s3, s25
	s_branch .LBB197_13
.LBB197_12:                             ;   in Loop: Header=BB197_13 Depth=1
	s_or_b32 exec_lo, exec_lo, s13
	v_add_co_u32 v12, vcc_lo, v12, 8
	v_add_co_ci_u32_e32 v13, vcc_lo, 0, v13, vcc_lo
	s_delay_alu instid0(VALU_DEP_1) | instskip(SKIP_1) | instid1(SALU_CYCLE_1)
	v_cmp_ge_i64_e32 vcc_lo, v[12:13], v[10:11]
	s_or_b32 s2, vcc_lo, s2
	s_and_not1_b32 exec_lo, exec_lo, s2
	s_cbranch_execz .LBB197_32
.LBB197_13:                             ; =>This Loop Header: Depth=1
                                        ;     Child Loop BB197_16 Depth 2
                                        ;       Child Loop BB197_18 Depth 3
                                        ;         Child Loop BB197_24 Depth 4
                                        ;         Child Loop BB197_30 Depth 4
	v_lshlrev_b64 v[0:1], 2, v[12:13]
	s_mov_b32 s13, exec_lo
	s_delay_alu instid0(VALU_DEP_1) | instskip(NEXT) | instid1(VALU_DEP_2)
	v_add_co_u32 v0, vcc_lo, s18, v0
	v_add_co_ci_u32_e32 v1, vcc_lo, s19, v1, vcc_lo
	global_load_b32 v0, v[0:1], off
	s_waitcnt vmcnt(0)
	v_subrev_nc_u32_e32 v0, s24, v0
	s_delay_alu instid0(VALU_DEP_1) | instskip(NEXT) | instid1(VALU_DEP_1)
	v_ashrrev_i32_e32 v1, 31, v0
	v_lshlrev_b64 v[0:1], 3, v[0:1]
	s_delay_alu instid0(VALU_DEP_1) | instskip(NEXT) | instid1(VALU_DEP_2)
	v_add_co_u32 v0, vcc_lo, s22, v0
	v_add_co_ci_u32_e32 v1, vcc_lo, s23, v1, vcc_lo
	global_load_b128 v[0:3], v[0:1], off
	s_waitcnt vmcnt(0)
	v_cmpx_lt_i64_e64 v[0:1], v[2:3]
	s_cbranch_execz .LBB197_12
; %bb.14:                               ;   in Loop: Header=BB197_13 Depth=1
	v_lshlrev_b64 v[14:15], 3, v[12:13]
	s_mov_b32 s14, 0
	s_delay_alu instid0(VALU_DEP_1) | instskip(NEXT) | instid1(VALU_DEP_2)
	v_add_co_u32 v14, vcc_lo, s20, v14
	v_add_co_ci_u32_e32 v15, vcc_lo, s21, v15, vcc_lo
	v_sub_co_u32 v2, vcc_lo, v2, s3
	v_subrev_co_ci_u32_e32 v3, vcc_lo, 0, v3, vcc_lo
	global_load_b64 v[14:15], v[14:15], off
	v_sub_co_u32 v0, vcc_lo, v0, s3
	v_subrev_co_ci_u32_e32 v1, vcc_lo, 0, v1, vcc_lo
	s_waitcnt vmcnt(0)
	v_mul_f64 v[14:15], v[8:9], v[14:15]
	s_branch .LBB197_16
.LBB197_15:                             ;   in Loop: Header=BB197_16 Depth=2
	s_or_b32 exec_lo, exec_lo, s15
	v_add_co_u32 v0, vcc_lo, v0, 1
	v_add_co_ci_u32_e32 v1, vcc_lo, 0, v1, vcc_lo
	s_delay_alu instid0(VALU_DEP_1) | instskip(SKIP_1) | instid1(SALU_CYCLE_1)
	v_cmp_ge_i64_e32 vcc_lo, v[0:1], v[2:3]
	s_or_b32 s14, vcc_lo, s14
	s_and_not1_b32 exec_lo, exec_lo, s14
	s_cbranch_execz .LBB197_12
.LBB197_16:                             ;   Parent Loop BB197_13 Depth=1
                                        ; =>  This Loop Header: Depth=2
                                        ;       Child Loop BB197_18 Depth 3
                                        ;         Child Loop BB197_24 Depth 4
                                        ;         Child Loop BB197_30 Depth 4
	s_delay_alu instid0(VALU_DEP_2) | instskip(SKIP_2) | instid1(VALU_DEP_2)
	v_lshlrev_b64 v[16:17], 3, v[0:1]
	v_lshlrev_b64 v[18:19], 2, v[0:1]
	s_mov_b32 s15, 0
	v_add_co_u32 v16, vcc_lo, s38, v16
	s_delay_alu instid0(VALU_DEP_3) | instskip(NEXT) | instid1(VALU_DEP_3)
	v_add_co_ci_u32_e32 v17, vcc_lo, s39, v17, vcc_lo
	v_add_co_u32 v18, vcc_lo, s36, v18
	s_delay_alu instid0(VALU_DEP_4)
	v_add_co_ci_u32_e32 v19, vcc_lo, s37, v19, vcc_lo
	global_load_b64 v[16:17], v[16:17], off
	global_load_b32 v18, v[18:19], off
	s_waitcnt vmcnt(1)
	v_mul_f64 v[16:17], v[14:15], v[16:17]
	s_waitcnt vmcnt(0)
	v_subrev_nc_u32_e32 v26, s25, v18
	s_delay_alu instid0(VALU_DEP_1) | instskip(NEXT) | instid1(VALU_DEP_1)
	v_lshl_add_u32 v18, v26, 3, v26
	v_and_b32_e32 v27, 15, v18
	s_branch .LBB197_18
.LBB197_17:                             ;   in Loop: Header=BB197_18 Depth=3
	s_or_b32 exec_lo, exec_lo, s16
	s_xor_b32 s16, s17, -1
	s_delay_alu instid0(SALU_CYCLE_1) | instskip(NEXT) | instid1(SALU_CYCLE_1)
	s_and_b32 s16, exec_lo, s16
	s_or_b32 s15, s16, s15
	s_delay_alu instid0(SALU_CYCLE_1)
	s_and_not1_b32 exec_lo, exec_lo, s15
	s_cbranch_execz .LBB197_15
.LBB197_18:                             ;   Parent Loop BB197_13 Depth=1
                                        ;     Parent Loop BB197_16 Depth=2
                                        ; =>    This Loop Header: Depth=3
                                        ;         Child Loop BB197_24 Depth 4
                                        ;         Child Loop BB197_30 Depth 4
	s_delay_alu instid0(VALU_DEP_1)
	v_lshl_add_u32 v18, v27, 2, v23
	s_mov_b32 s16, exec_lo
                                        ; implicit-def: $sgpr17
	ds_load_b32 v19, v18
	s_waitcnt lgkmcnt(0)
	v_cmpx_ne_u32_e64 v19, v26
	s_xor_b32 s16, exec_lo, s16
	s_cbranch_execz .LBB197_28
; %bb.19:                               ;   in Loop: Header=BB197_18 Depth=3
	s_mov_b32 s33, exec_lo
                                        ; implicit-def: $sgpr17
	v_cmpx_ne_u32_e64 s1, v19
	s_xor_b32 s33, exec_lo, s33
; %bb.20:                               ;   in Loop: Header=BB197_18 Depth=3
	v_add_nc_u32_e32 v18, 1, v27
	s_mov_b32 s17, -1
	s_delay_alu instid0(VALU_DEP_1)
	v_and_b32_e32 v27, 15, v18
                                        ; implicit-def: $vgpr18
; %bb.21:                               ;   in Loop: Header=BB197_18 Depth=3
	s_and_not1_saveexec_b32 s33, s33
	s_cbranch_execz .LBB197_27
; %bb.22:                               ;   in Loop: Header=BB197_18 Depth=3
	v_mov_b32_e32 v19, s1
	s_mov_b32 s35, -1
	s_mov_b32 s34, exec_lo
	ds_cmpstore_rtn_b32 v18, v18, v26, v19
	s_waitcnt lgkmcnt(0)
	v_cmpx_eq_u32_e64 s1, v18
	s_cbranch_execz .LBB197_26
; %bb.23:                               ;   in Loop: Header=BB197_18 Depth=3
	v_lshl_add_u32 v28, v27, 3, v24
	s_mov_b32 s35, 0
	ds_load_b64 v[18:19], v28
.LBB197_24:                             ;   Parent Loop BB197_13 Depth=1
                                        ;     Parent Loop BB197_16 Depth=2
                                        ;       Parent Loop BB197_18 Depth=3
                                        ; =>      This Inner Loop Header: Depth=4
	s_waitcnt lgkmcnt(0)
	v_add_f64 v[29:30], v[18:19], v[16:17]
	ds_cmpstore_rtn_b64 v[29:30], v28, v[29:30], v[18:19]
	s_waitcnt lgkmcnt(0)
	v_cmp_eq_u64_e32 vcc_lo, v[29:30], v[18:19]
	v_dual_mov_b32 v18, v29 :: v_dual_mov_b32 v19, v30
	s_or_b32 s35, vcc_lo, s35
	s_delay_alu instid0(SALU_CYCLE_1)
	s_and_not1_b32 exec_lo, exec_lo, s35
	s_cbranch_execnz .LBB197_24
; %bb.25:                               ;   in Loop: Header=BB197_18 Depth=3
	s_or_b32 exec_lo, exec_lo, s35
	s_delay_alu instid0(SALU_CYCLE_1)
	s_xor_b32 s35, exec_lo, -1
.LBB197_26:                             ;   in Loop: Header=BB197_18 Depth=3
	s_or_b32 exec_lo, exec_lo, s34
	s_delay_alu instid0(SALU_CYCLE_1) | instskip(SKIP_1) | instid1(SALU_CYCLE_1)
	s_and_not1_b32 s17, s17, exec_lo
	s_and_b32 s34, s35, exec_lo
	s_or_b32 s17, s17, s34
.LBB197_27:                             ;   in Loop: Header=BB197_18 Depth=3
	s_or_b32 exec_lo, exec_lo, s33
	s_delay_alu instid0(SALU_CYCLE_1)
	s_and_b32 s17, s17, exec_lo
.LBB197_28:                             ;   in Loop: Header=BB197_18 Depth=3
	s_and_not1_saveexec_b32 s16, s16
	s_cbranch_execz .LBB197_17
; %bb.29:                               ;   in Loop: Header=BB197_18 Depth=3
	v_lshl_add_u32 v28, v27, 3, v24
	s_mov_b32 s33, 0
	ds_load_b64 v[18:19], v28
.LBB197_30:                             ;   Parent Loop BB197_13 Depth=1
                                        ;     Parent Loop BB197_16 Depth=2
                                        ;       Parent Loop BB197_18 Depth=3
                                        ; =>      This Inner Loop Header: Depth=4
	s_waitcnt lgkmcnt(0)
	v_add_f64 v[29:30], v[18:19], v[16:17]
	ds_cmpstore_rtn_b64 v[29:30], v28, v[29:30], v[18:19]
	s_waitcnt lgkmcnt(0)
	v_cmp_eq_u64_e32 vcc_lo, v[29:30], v[18:19]
	v_dual_mov_b32 v18, v29 :: v_dual_mov_b32 v19, v30
	s_or_b32 s33, vcc_lo, s33
	s_delay_alu instid0(SALU_CYCLE_1)
	s_and_not1_b32 exec_lo, exec_lo, s33
	s_cbranch_execnz .LBB197_30
; %bb.31:                               ;   in Loop: Header=BB197_18 Depth=3
	s_or_b32 exec_lo, exec_lo, s33
	s_delay_alu instid0(SALU_CYCLE_1)
	s_and_not1_b32 s17, s17, exec_lo
	s_branch .LBB197_17
.LBB197_32:
	s_or_b32 exec_lo, exec_lo, s0
.LBB197_33:
	s_delay_alu instid0(SALU_CYCLE_1)
	s_and_not1_b32 vcc_lo, exec_lo, s12
	s_cbranch_vccnz .LBB197_36
; %bb.34:
	s_delay_alu instid0(VALU_DEP_1) | instskip(NEXT) | instid1(VALU_DEP_2)
	v_add_co_u32 v0, vcc_lo, s4, v6
	v_add_co_ci_u32_e32 v1, vcc_lo, s5, v7, vcc_lo
	v_sub_co_u32 v2, s0, v25, s27
	s_delay_alu instid0(VALU_DEP_1)
	v_sub_co_ci_u32_e64 v3, null, 0, 0, s0
	global_load_b128 v[8:11], v[0:1], off
	s_mov_b32 s2, 0
	s_mov_b32 s0, exec_lo
	s_waitcnt vmcnt(0)
	v_sub_co_u32 v0, vcc_lo, v10, s27
	v_subrev_co_ci_u32_e32 v1, vcc_lo, 0, v11, vcc_lo
	v_add_co_u32 v2, vcc_lo, v8, v2
	v_add_co_ci_u32_e32 v3, vcc_lo, v9, v3, vcc_lo
	s_delay_alu instid0(VALU_DEP_1)
	v_cmpx_lt_i64_e64 v[2:3], v[0:1]
	s_cbranch_execnz .LBB197_41
.LBB197_35:
	s_or_b32 exec_lo, exec_lo, s0
.LBB197_36:
	s_delay_alu instid0(VALU_DEP_1) | instskip(NEXT) | instid1(VALU_DEP_2)
	v_add_co_u32 v0, vcc_lo, s10, v6
	v_add_co_ci_u32_e32 v1, vcc_lo, s11, v7, vcc_lo
	buffer_gl0_inv
	s_mov_b32 s0, 0
	global_load_b64 v[0:1], v[0:1], off
	s_waitcnt vmcnt(0)
	v_sub_co_u32 v0, vcc_lo, v0, s26
	v_subrev_co_ci_u32_e32 v1, vcc_lo, 0, v1, vcc_lo
	s_branch .LBB197_38
.LBB197_37:                             ;   in Loop: Header=BB197_38 Depth=1
	s_or_b32 exec_lo, exec_lo, s2
	v_add_co_u32 v22, s2, v22, 8
	s_delay_alu instid0(VALU_DEP_1) | instskip(SKIP_3) | instid1(SALU_CYCLE_1)
	s_xor_b32 s2, s2, -1
	v_add_nc_u32_e32 v21, 64, v21
	v_add_nc_u32_e32 v20, 32, v20
	s_and_b32 s2, exec_lo, s2
	s_or_b32 s0, s2, s0
	s_delay_alu instid0(SALU_CYCLE_1)
	s_and_not1_b32 exec_lo, exec_lo, s0
	s_cbranch_execz .LBB197_57
.LBB197_38:                             ; =>This Inner Loop Header: Depth=1
	ds_load_b32 v2, v20
	s_mov_b32 s2, exec_lo
	s_waitcnt lgkmcnt(0)
	v_cmpx_gt_i32_e64 s1, v2
	s_cbranch_execz .LBB197_37
; %bb.39:                               ;   in Loop: Header=BB197_38 Depth=1
	ds_load_b128 v[3:6], v23
	ds_load_b128 v[7:10], v23 offset:16
	ds_load_b128 v[11:14], v23 offset:32
	ds_load_b128 v[15:18], v23 offset:48
	s_waitcnt lgkmcnt(3)
	v_cmp_gt_i32_e32 vcc_lo, v2, v3
	v_cndmask_b32_e64 v3, 0, 1, vcc_lo
	v_cmp_gt_i32_e32 vcc_lo, v2, v4
	v_cndmask_b32_e64 v4, 0, 1, vcc_lo
	s_delay_alu instid0(VALU_DEP_3) | instskip(SKIP_3) | instid1(VALU_DEP_4)
	v_add_co_u32 v3, vcc_lo, v0, v3
	v_add_co_ci_u32_e32 v19, vcc_lo, 0, v1, vcc_lo
	v_cmp_gt_i32_e32 vcc_lo, v2, v5
	v_cndmask_b32_e64 v5, 0, 1, vcc_lo
	v_add_co_u32 v3, vcc_lo, v3, v4
	s_delay_alu instid0(VALU_DEP_4) | instskip(SKIP_2) | instid1(VALU_DEP_4)
	v_add_co_ci_u32_e32 v4, vcc_lo, 0, v19, vcc_lo
	v_cmp_gt_i32_e32 vcc_lo, v2, v6
	v_cndmask_b32_e64 v6, 0, 1, vcc_lo
	v_add_co_u32 v3, vcc_lo, v3, v5
	s_delay_alu instid0(VALU_DEP_4)
	v_add_co_ci_u32_e32 v4, vcc_lo, 0, v4, vcc_lo
	s_waitcnt lgkmcnt(2)
	v_cmp_gt_i32_e32 vcc_lo, v2, v7
	v_cndmask_b32_e64 v5, 0, 1, vcc_lo
	v_add_co_u32 v3, vcc_lo, v3, v6
	v_add_co_ci_u32_e32 v4, vcc_lo, 0, v4, vcc_lo
	v_cmp_gt_i32_e32 vcc_lo, v2, v8
	v_cndmask_b32_e64 v6, 0, 1, vcc_lo
	s_delay_alu instid0(VALU_DEP_4) | instskip(NEXT) | instid1(VALU_DEP_4)
	v_add_co_u32 v3, vcc_lo, v3, v5
	v_add_co_ci_u32_e32 v4, vcc_lo, 0, v4, vcc_lo
	v_cmp_gt_i32_e32 vcc_lo, v2, v9
	v_add_nc_u32_e32 v9, s26, v2
	v_cndmask_b32_e64 v5, 0, 1, vcc_lo
	v_add_co_u32 v3, vcc_lo, v3, v6
	v_add_co_ci_u32_e32 v4, vcc_lo, 0, v4, vcc_lo
	v_cmp_gt_i32_e32 vcc_lo, v2, v10
	v_cndmask_b32_e64 v6, 0, 1, vcc_lo
	s_delay_alu instid0(VALU_DEP_4) | instskip(NEXT) | instid1(VALU_DEP_4)
	v_add_co_u32 v3, vcc_lo, v3, v5
	v_add_co_ci_u32_e32 v4, vcc_lo, 0, v4, vcc_lo
	s_waitcnt lgkmcnt(1)
	v_cmp_gt_i32_e32 vcc_lo, v2, v11
	v_cndmask_b32_e64 v5, 0, 1, vcc_lo
	v_add_co_u32 v3, vcc_lo, v3, v6
	v_add_co_ci_u32_e32 v4, vcc_lo, 0, v4, vcc_lo
	v_cmp_gt_i32_e32 vcc_lo, v2, v12
	v_cndmask_b32_e64 v6, 0, 1, vcc_lo
	s_delay_alu instid0(VALU_DEP_4) | instskip(NEXT) | instid1(VALU_DEP_4)
	v_add_co_u32 v3, vcc_lo, v3, v5
	v_add_co_ci_u32_e32 v4, vcc_lo, 0, v4, vcc_lo
	v_cmp_gt_i32_e32 vcc_lo, v2, v13
	v_cndmask_b32_e64 v5, 0, 1, vcc_lo
	s_delay_alu instid0(VALU_DEP_4) | instskip(NEXT) | instid1(VALU_DEP_4)
	;; [unrolled: 5-line block ×3, first 2 shown]
	v_add_co_u32 v3, vcc_lo, v3, v5
	v_add_co_ci_u32_e32 v4, vcc_lo, 0, v4, vcc_lo
	s_waitcnt lgkmcnt(0)
	v_cmp_gt_i32_e32 vcc_lo, v2, v15
	v_cndmask_b32_e64 v5, 0, 1, vcc_lo
	v_add_co_u32 v3, vcc_lo, v3, v6
	v_add_co_ci_u32_e32 v4, vcc_lo, 0, v4, vcc_lo
	v_cmp_gt_i32_e32 vcc_lo, v2, v16
	v_cndmask_b32_e64 v6, 0, 1, vcc_lo
	s_delay_alu instid0(VALU_DEP_4) | instskip(NEXT) | instid1(VALU_DEP_4)
	v_add_co_u32 v3, vcc_lo, v3, v5
	v_add_co_ci_u32_e32 v4, vcc_lo, 0, v4, vcc_lo
	v_cmp_gt_i32_e32 vcc_lo, v2, v17
	v_cndmask_b32_e64 v5, 0, 1, vcc_lo
	s_delay_alu instid0(VALU_DEP_4) | instskip(NEXT) | instid1(VALU_DEP_4)
	;; [unrolled: 5-line block ×3, first 2 shown]
	v_add_co_u32 v3, vcc_lo, v3, v5
	v_add_co_ci_u32_e32 v4, vcc_lo, 0, v4, vcc_lo
	s_delay_alu instid0(VALU_DEP_2) | instskip(NEXT) | instid1(VALU_DEP_2)
	v_add_co_u32 v3, vcc_lo, v3, v6
	v_add_co_ci_u32_e32 v4, vcc_lo, 0, v4, vcc_lo
	ds_load_b64 v[5:6], v21
	v_lshlrev_b64 v[7:8], 2, v[3:4]
	v_lshlrev_b64 v[2:3], 3, v[3:4]
	s_delay_alu instid0(VALU_DEP_2) | instskip(NEXT) | instid1(VALU_DEP_3)
	v_add_co_u32 v7, vcc_lo, s28, v7
	v_add_co_ci_u32_e32 v8, vcc_lo, s29, v8, vcc_lo
	s_delay_alu instid0(VALU_DEP_3) | instskip(NEXT) | instid1(VALU_DEP_4)
	v_add_co_u32 v2, vcc_lo, s30, v2
	v_add_co_ci_u32_e32 v3, vcc_lo, s31, v3, vcc_lo
	global_store_b32 v[7:8], v9, off
	s_waitcnt lgkmcnt(0)
	global_store_b64 v[2:3], v[5:6], off
	s_branch .LBB197_37
.LBB197_40:                             ;   in Loop: Header=BB197_41 Depth=1
	s_or_b32 exec_lo, exec_lo, s3
	v_add_co_u32 v2, vcc_lo, v2, 8
	v_add_co_ci_u32_e32 v3, vcc_lo, 0, v3, vcc_lo
	s_delay_alu instid0(VALU_DEP_1) | instskip(SKIP_1) | instid1(SALU_CYCLE_1)
	v_cmp_ge_i64_e32 vcc_lo, v[2:3], v[0:1]
	s_or_b32 s2, vcc_lo, s2
	s_and_not1_b32 exec_lo, exec_lo, s2
	s_cbranch_execz .LBB197_35
.LBB197_41:                             ; =>This Loop Header: Depth=1
                                        ;     Child Loop BB197_43 Depth 2
                                        ;       Child Loop BB197_49 Depth 3
                                        ;       Child Loop BB197_55 Depth 3
	v_lshlrev_b64 v[8:9], 3, v[2:3]
	v_lshlrev_b64 v[10:11], 2, v[2:3]
	s_mov_b32 s3, 0
	s_delay_alu instid0(VALU_DEP_2) | instskip(NEXT) | instid1(VALU_DEP_3)
	v_add_co_u32 v8, vcc_lo, s8, v8
	v_add_co_ci_u32_e32 v9, vcc_lo, s9, v9, vcc_lo
	s_delay_alu instid0(VALU_DEP_3) | instskip(NEXT) | instid1(VALU_DEP_4)
	v_add_co_u32 v10, vcc_lo, s6, v10
	v_add_co_ci_u32_e32 v11, vcc_lo, s7, v11, vcc_lo
	global_load_b64 v[8:9], v[8:9], off
	global_load_b32 v10, v[10:11], off
	s_waitcnt vmcnt(1)
	v_mul_f64 v[8:9], v[4:5], v[8:9]
	s_waitcnt vmcnt(0)
	v_subrev_nc_u32_e32 v12, s27, v10
	s_delay_alu instid0(VALU_DEP_1) | instskip(NEXT) | instid1(VALU_DEP_1)
	v_lshl_add_u32 v10, v12, 3, v12
	v_and_b32_e32 v13, 15, v10
	s_branch .LBB197_43
.LBB197_42:                             ;   in Loop: Header=BB197_43 Depth=2
	s_or_b32 exec_lo, exec_lo, s4
	s_xor_b32 s4, s5, -1
	s_delay_alu instid0(SALU_CYCLE_1) | instskip(NEXT) | instid1(SALU_CYCLE_1)
	s_and_b32 s4, exec_lo, s4
	s_or_b32 s3, s4, s3
	s_delay_alu instid0(SALU_CYCLE_1)
	s_and_not1_b32 exec_lo, exec_lo, s3
	s_cbranch_execz .LBB197_40
.LBB197_43:                             ;   Parent Loop BB197_41 Depth=1
                                        ; =>  This Loop Header: Depth=2
                                        ;       Child Loop BB197_49 Depth 3
                                        ;       Child Loop BB197_55 Depth 3
	s_delay_alu instid0(VALU_DEP_1)
	v_lshl_add_u32 v10, v13, 2, v23
	s_mov_b32 s4, exec_lo
                                        ; implicit-def: $sgpr5
	ds_load_b32 v11, v10
	s_waitcnt lgkmcnt(0)
	v_cmpx_ne_u32_e64 v11, v12
	s_xor_b32 s4, exec_lo, s4
	s_cbranch_execz .LBB197_53
; %bb.44:                               ;   in Loop: Header=BB197_43 Depth=2
	s_mov_b32 s12, exec_lo
                                        ; implicit-def: $sgpr5
	v_cmpx_ne_u32_e64 s1, v11
	s_xor_b32 s12, exec_lo, s12
; %bb.45:                               ;   in Loop: Header=BB197_43 Depth=2
	v_add_nc_u32_e32 v10, 1, v13
	s_mov_b32 s5, -1
	s_delay_alu instid0(VALU_DEP_1)
	v_and_b32_e32 v13, 15, v10
                                        ; implicit-def: $vgpr10
; %bb.46:                               ;   in Loop: Header=BB197_43 Depth=2
	s_and_not1_saveexec_b32 s12, s12
	s_cbranch_execz .LBB197_52
; %bb.47:                               ;   in Loop: Header=BB197_43 Depth=2
	v_mov_b32_e32 v11, s1
	s_mov_b32 s14, -1
	s_mov_b32 s13, exec_lo
	ds_cmpstore_rtn_b32 v10, v10, v12, v11
	s_waitcnt lgkmcnt(0)
	v_cmpx_eq_u32_e64 s1, v10
	s_cbranch_execz .LBB197_51
; %bb.48:                               ;   in Loop: Header=BB197_43 Depth=2
	v_lshl_add_u32 v14, v13, 3, v24
	s_mov_b32 s14, 0
	ds_load_b64 v[10:11], v14
.LBB197_49:                             ;   Parent Loop BB197_41 Depth=1
                                        ;     Parent Loop BB197_43 Depth=2
                                        ; =>    This Inner Loop Header: Depth=3
	s_waitcnt lgkmcnt(0)
	v_add_f64 v[15:16], v[10:11], v[8:9]
	ds_cmpstore_rtn_b64 v[15:16], v14, v[15:16], v[10:11]
	s_waitcnt lgkmcnt(0)
	v_cmp_eq_u64_e32 vcc_lo, v[15:16], v[10:11]
	v_dual_mov_b32 v10, v15 :: v_dual_mov_b32 v11, v16
	s_or_b32 s14, vcc_lo, s14
	s_delay_alu instid0(SALU_CYCLE_1)
	s_and_not1_b32 exec_lo, exec_lo, s14
	s_cbranch_execnz .LBB197_49
; %bb.50:                               ;   in Loop: Header=BB197_43 Depth=2
	s_or_b32 exec_lo, exec_lo, s14
	s_delay_alu instid0(SALU_CYCLE_1)
	s_xor_b32 s14, exec_lo, -1
.LBB197_51:                             ;   in Loop: Header=BB197_43 Depth=2
	s_or_b32 exec_lo, exec_lo, s13
	s_delay_alu instid0(SALU_CYCLE_1) | instskip(SKIP_1) | instid1(SALU_CYCLE_1)
	s_and_not1_b32 s5, s5, exec_lo
	s_and_b32 s13, s14, exec_lo
	s_or_b32 s5, s5, s13
.LBB197_52:                             ;   in Loop: Header=BB197_43 Depth=2
	s_or_b32 exec_lo, exec_lo, s12
	s_delay_alu instid0(SALU_CYCLE_1)
	s_and_b32 s5, s5, exec_lo
.LBB197_53:                             ;   in Loop: Header=BB197_43 Depth=2
	s_and_not1_saveexec_b32 s4, s4
	s_cbranch_execz .LBB197_42
; %bb.54:                               ;   in Loop: Header=BB197_43 Depth=2
	v_lshl_add_u32 v14, v13, 3, v24
	s_mov_b32 s12, 0
	ds_load_b64 v[10:11], v14
.LBB197_55:                             ;   Parent Loop BB197_41 Depth=1
                                        ;     Parent Loop BB197_43 Depth=2
                                        ; =>    This Inner Loop Header: Depth=3
	s_waitcnt lgkmcnt(0)
	v_add_f64 v[15:16], v[10:11], v[8:9]
	ds_cmpstore_rtn_b64 v[15:16], v14, v[15:16], v[10:11]
	s_waitcnt lgkmcnt(0)
	v_cmp_eq_u64_e32 vcc_lo, v[15:16], v[10:11]
	v_dual_mov_b32 v10, v15 :: v_dual_mov_b32 v11, v16
	s_or_b32 s12, vcc_lo, s12
	s_delay_alu instid0(SALU_CYCLE_1)
	s_and_not1_b32 exec_lo, exec_lo, s12
	s_cbranch_execnz .LBB197_55
; %bb.56:                               ;   in Loop: Header=BB197_43 Depth=2
	s_or_b32 exec_lo, exec_lo, s12
	s_delay_alu instid0(SALU_CYCLE_1)
	s_and_not1_b32 s5, s5, exec_lo
	s_branch .LBB197_42
.LBB197_57:
	s_nop 0
	s_sendmsg sendmsg(MSG_DEALLOC_VGPRS)
	s_endpgm
	.section	.rodata,"a",@progbits
	.p2align	6, 0x0
	.amdhsa_kernel _ZN9rocsparseL23csrgemm_fill_wf_per_rowILj256ELj8ELj16ELj137ElidEEvT4_S1_PKS1_S3_NS_24const_host_device_scalarIT5_EEPKT3_S3_PKS5_S9_S3_SB_S6_S9_S3_SB_S9_PS1_PS5_21rocsparse_index_base_SE_SE_SE_bbb
		.amdhsa_group_segment_fixed_size 6144
		.amdhsa_private_segment_fixed_size 0
		.amdhsa_kernarg_size 156
		.amdhsa_user_sgpr_count 15
		.amdhsa_user_sgpr_dispatch_ptr 0
		.amdhsa_user_sgpr_queue_ptr 0
		.amdhsa_user_sgpr_kernarg_segment_ptr 1
		.amdhsa_user_sgpr_dispatch_id 0
		.amdhsa_user_sgpr_private_segment_size 0
		.amdhsa_wavefront_size32 1
		.amdhsa_uses_dynamic_stack 0
		.amdhsa_enable_private_segment 0
		.amdhsa_system_sgpr_workgroup_id_x 1
		.amdhsa_system_sgpr_workgroup_id_y 0
		.amdhsa_system_sgpr_workgroup_id_z 0
		.amdhsa_system_sgpr_workgroup_info 0
		.amdhsa_system_vgpr_workitem_id 0
		.amdhsa_next_free_vgpr 31
		.amdhsa_next_free_sgpr 44
		.amdhsa_reserve_vcc 1
		.amdhsa_float_round_mode_32 0
		.amdhsa_float_round_mode_16_64 0
		.amdhsa_float_denorm_mode_32 3
		.amdhsa_float_denorm_mode_16_64 3
		.amdhsa_dx10_clamp 1
		.amdhsa_ieee_mode 1
		.amdhsa_fp16_overflow 0
		.amdhsa_workgroup_processor_mode 1
		.amdhsa_memory_ordered 1
		.amdhsa_forward_progress 0
		.amdhsa_shared_vgpr_count 0
		.amdhsa_exception_fp_ieee_invalid_op 0
		.amdhsa_exception_fp_denorm_src 0
		.amdhsa_exception_fp_ieee_div_zero 0
		.amdhsa_exception_fp_ieee_overflow 0
		.amdhsa_exception_fp_ieee_underflow 0
		.amdhsa_exception_fp_ieee_inexact 0
		.amdhsa_exception_int_div_zero 0
	.end_amdhsa_kernel
	.section	.text._ZN9rocsparseL23csrgemm_fill_wf_per_rowILj256ELj8ELj16ELj137ElidEEvT4_S1_PKS1_S3_NS_24const_host_device_scalarIT5_EEPKT3_S3_PKS5_S9_S3_SB_S6_S9_S3_SB_S9_PS1_PS5_21rocsparse_index_base_SE_SE_SE_bbb,"axG",@progbits,_ZN9rocsparseL23csrgemm_fill_wf_per_rowILj256ELj8ELj16ELj137ElidEEvT4_S1_PKS1_S3_NS_24const_host_device_scalarIT5_EEPKT3_S3_PKS5_S9_S3_SB_S6_S9_S3_SB_S9_PS1_PS5_21rocsparse_index_base_SE_SE_SE_bbb,comdat
.Lfunc_end197:
	.size	_ZN9rocsparseL23csrgemm_fill_wf_per_rowILj256ELj8ELj16ELj137ElidEEvT4_S1_PKS1_S3_NS_24const_host_device_scalarIT5_EEPKT3_S3_PKS5_S9_S3_SB_S6_S9_S3_SB_S9_PS1_PS5_21rocsparse_index_base_SE_SE_SE_bbb, .Lfunc_end197-_ZN9rocsparseL23csrgemm_fill_wf_per_rowILj256ELj8ELj16ELj137ElidEEvT4_S1_PKS1_S3_NS_24const_host_device_scalarIT5_EEPKT3_S3_PKS5_S9_S3_SB_S6_S9_S3_SB_S9_PS1_PS5_21rocsparse_index_base_SE_SE_SE_bbb
                                        ; -- End function
	.section	.AMDGPU.csdata,"",@progbits
; Kernel info:
; codeLenInByte = 2704
; NumSgprs: 46
; NumVgprs: 31
; ScratchSize: 0
; MemoryBound: 0
; FloatMode: 240
; IeeeMode: 1
; LDSByteSize: 6144 bytes/workgroup (compile time only)
; SGPRBlocks: 5
; VGPRBlocks: 3
; NumSGPRsForWavesPerEU: 46
; NumVGPRsForWavesPerEU: 31
; Occupancy: 16
; WaveLimiterHint : 1
; COMPUTE_PGM_RSRC2:SCRATCH_EN: 0
; COMPUTE_PGM_RSRC2:USER_SGPR: 15
; COMPUTE_PGM_RSRC2:TRAP_HANDLER: 0
; COMPUTE_PGM_RSRC2:TGID_X_EN: 1
; COMPUTE_PGM_RSRC2:TGID_Y_EN: 0
; COMPUTE_PGM_RSRC2:TGID_Z_EN: 0
; COMPUTE_PGM_RSRC2:TIDIG_COMP_CNT: 0
	.section	.text._ZN9rocsparseL23csrgemm_fill_wf_per_rowILj256ELj16ELj32ELj137ElidEEvT4_S1_PKS1_S3_NS_24const_host_device_scalarIT5_EEPKT3_S3_PKS5_S9_S3_SB_S6_S9_S3_SB_S9_PS1_PS5_21rocsparse_index_base_SE_SE_SE_bbb,"axG",@progbits,_ZN9rocsparseL23csrgemm_fill_wf_per_rowILj256ELj16ELj32ELj137ElidEEvT4_S1_PKS1_S3_NS_24const_host_device_scalarIT5_EEPKT3_S3_PKS5_S9_S3_SB_S6_S9_S3_SB_S9_PS1_PS5_21rocsparse_index_base_SE_SE_SE_bbb,comdat
	.globl	_ZN9rocsparseL23csrgemm_fill_wf_per_rowILj256ELj16ELj32ELj137ElidEEvT4_S1_PKS1_S3_NS_24const_host_device_scalarIT5_EEPKT3_S3_PKS5_S9_S3_SB_S6_S9_S3_SB_S9_PS1_PS5_21rocsparse_index_base_SE_SE_SE_bbb ; -- Begin function _ZN9rocsparseL23csrgemm_fill_wf_per_rowILj256ELj16ELj32ELj137ElidEEvT4_S1_PKS1_S3_NS_24const_host_device_scalarIT5_EEPKT3_S3_PKS5_S9_S3_SB_S6_S9_S3_SB_S9_PS1_PS5_21rocsparse_index_base_SE_SE_SE_bbb
	.p2align	8
	.type	_ZN9rocsparseL23csrgemm_fill_wf_per_rowILj256ELj16ELj32ELj137ElidEEvT4_S1_PKS1_S3_NS_24const_host_device_scalarIT5_EEPKT3_S3_PKS5_S9_S3_SB_S6_S9_S3_SB_S9_PS1_PS5_21rocsparse_index_base_SE_SE_SE_bbb,@function
_ZN9rocsparseL23csrgemm_fill_wf_per_rowILj256ELj16ELj32ELj137ElidEEvT4_S1_PKS1_S3_NS_24const_host_device_scalarIT5_EEPKT3_S3_PKS5_S9_S3_SB_S6_S9_S3_SB_S9_PS1_PS5_21rocsparse_index_base_SE_SE_SE_bbb: ; @_ZN9rocsparseL23csrgemm_fill_wf_per_rowILj256ELj16ELj32ELj137ElidEEvT4_S1_PKS1_S3_NS_24const_host_device_scalarIT5_EEPKT3_S3_PKS5_S9_S3_SB_S6_S9_S3_SB_S9_PS1_PS5_21rocsparse_index_base_SE_SE_SE_bbb
; %bb.0:
	s_clause 0x3
	s_load_b32 s12, s[0:1], 0x98
	s_load_b64 s[4:5], s[0:1], 0x18
	s_load_b128 s[24:27], s[0:1], 0x88
	s_load_b64 s[2:3], s[0:1], 0x50
	s_waitcnt lgkmcnt(0)
	s_and_b32 s6, 1, s12
	s_bitcmp1_b32 s12, 16
	s_cselect_b32 s14, -1, 0
	s_cmp_eq_u32 s6, 1
	s_cselect_b32 s13, -1, 0
	s_delay_alu instid0(SALU_CYCLE_1)
	s_and_b32 s6, s13, exec_lo
	s_cselect_b32 s7, s5, 0
	s_cselect_b32 s6, s4, 0
	s_xor_b32 s8, s13, -1
	v_dual_mov_b32 v9, s7 :: v_dual_mov_b32 v8, s6
	s_or_b32 s8, s8, s14
	s_delay_alu instid0(SALU_CYCLE_1)
	s_and_b32 vcc_lo, exec_lo, s8
	s_cbranch_vccnz .LBB198_2
; %bb.1:
	v_dual_mov_b32 v1, s4 :: v_dual_mov_b32 v2, s5
	flat_load_b64 v[8:9], v[1:2]
.LBB198_2:
	s_clause 0x4
	s_load_b128 s[28:31], s[0:1], 0x78
	s_load_b256 s[4:11], s[0:1], 0x58
	s_load_b128 s[36:39], s[0:1], 0x40
	s_load_b128 s[40:43], s[0:1], 0x8
	s_load_b256 s[16:23], s[0:1], 0x20
	s_bitcmp1_b32 s12, 8
	s_cselect_b32 s12, -1, 0
	s_delay_alu instid0(SALU_CYCLE_1)
	s_and_b32 s33, s12, exec_lo
	s_cselect_b32 s35, s3, 0
	s_cselect_b32 s34, s2, 0
	s_xor_b32 s33, s12, -1
	v_dual_mov_b32 v4, s34 :: v_dual_mov_b32 v5, s35
	s_or_b32 s14, s33, s14
	s_delay_alu instid0(SALU_CYCLE_1)
	s_and_b32 vcc_lo, exec_lo, s14
	s_cbranch_vccnz .LBB198_4
; %bb.3:
	v_dual_mov_b32 v1, s2 :: v_dual_mov_b32 v2, s3
	flat_load_b64 v[4:5], v[1:2]
.LBB198_4:
	s_load_b64 s[0:1], s[0:1], 0x0
	v_and_b32_e32 v25, 15, v0
	v_lshrrev_b32_e32 v2, 4, v0
	v_mov_b32_e32 v0, 0
	s_mov_b32 s2, 0
	s_delay_alu instid0(VALU_DEP_3) | instskip(SKIP_2) | instid1(VALU_DEP_3)
	v_lshlrev_b32_e32 v6, 3, v25
	v_or_b32_e32 v22, -16, v25
	v_lshlrev_b32_e32 v3, 2, v25
	v_lshl_or_b32 v21, v2, 8, v6
	s_delay_alu instid0(VALU_DEP_3) | instskip(NEXT) | instid1(VALU_DEP_2)
	v_dual_mov_b32 v10, v22 :: v_dual_lshlrev_b32 v1, 7, v2
	v_mov_b32_e32 v6, v21
	s_delay_alu instid0(VALU_DEP_2) | instskip(SKIP_3) | instid1(VALU_DEP_3)
	v_or3_b32 v20, v1, v3, 0x1000
	v_mov_b32_e32 v1, v0
	s_waitcnt lgkmcnt(0)
	v_mov_b32_e32 v7, s1
	v_mov_b32_e32 v3, v20
.LBB198_5:                              ; =>This Inner Loop Header: Depth=1
	v_add_co_u32 v10, s3, v10, 16
	s_delay_alu instid0(VALU_DEP_1)
	s_xor_b32 s3, s3, -1
	ds_store_b32 v3, v7
	ds_store_b64 v6, v[0:1]
	v_add_nc_u32_e32 v6, 0x80, v6
	v_add_nc_u32_e32 v3, 64, v3
	s_and_b32 s3, exec_lo, s3
	s_delay_alu instid0(SALU_CYCLE_1) | instskip(NEXT) | instid1(SALU_CYCLE_1)
	s_or_b32 s2, s3, s2
	s_and_not1_b32 exec_lo, exec_lo, s2
	s_cbranch_execnz .LBB198_5
; %bb.6:
	s_or_b32 exec_lo, exec_lo, s2
	s_lshl_b32 s2, s15, 4
	s_waitcnt vmcnt(0) lgkmcnt(0)
	buffer_gl0_inv
	v_and_or_b32 v0, 0xffffff0, s2, v2
	s_delay_alu instid0(VALU_DEP_1)
	v_cmp_gt_i32_e32 vcc_lo, s0, v0
	s_and_saveexec_b32 s0, vcc_lo
	s_cbranch_execz .LBB198_57
; %bb.7:
	s_cmp_eq_u64 s[42:43], 0
	s_cbranch_scc1 .LBB198_9
; %bb.8:
	s_load_b32 s0, s[40:41], 0x0
	s_waitcnt lgkmcnt(0)
	v_add_nc_u32_e32 v0, s0, v0
	s_delay_alu instid0(VALU_DEP_1) | instskip(NEXT) | instid1(VALU_DEP_1)
	v_ashrrev_i32_e32 v1, 31, v0
	v_lshlrev_b64 v[0:1], 2, v[0:1]
	s_delay_alu instid0(VALU_DEP_1) | instskip(NEXT) | instid1(VALU_DEP_2)
	v_add_co_u32 v0, vcc_lo, s42, v0
	v_add_co_ci_u32_e32 v1, vcc_lo, s43, v1, vcc_lo
	global_load_b32 v0, v[0:1], off
.LBB198_9:
	s_waitcnt vmcnt(0)
	v_ashrrev_i32_e32 v1, 31, v0
	v_lshl_or_b32 v23, v2, 7, 0x1000
	v_lshlrev_b32_e32 v24, 8, v2
	s_and_not1_b32 vcc_lo, exec_lo, s13
	s_delay_alu instid0(VALU_DEP_3)
	v_lshlrev_b64 v[6:7], 3, v[0:1]
	s_cbranch_vccnz .LBB198_33
; %bb.10:
	s_delay_alu instid0(VALU_DEP_1) | instskip(NEXT) | instid1(VALU_DEP_2)
	v_add_co_u32 v0, vcc_lo, s16, v6
	v_add_co_ci_u32_e32 v1, vcc_lo, s17, v7, vcc_lo
	v_sub_co_u32 v12, s0, v25, s24
	s_delay_alu instid0(VALU_DEP_1)
	v_sub_co_ci_u32_e64 v13, null, 0, 0, s0
	global_load_b128 v[0:3], v[0:1], off
	s_mov_b32 s2, 0
	s_mov_b32 s0, exec_lo
	s_waitcnt vmcnt(0)
	v_sub_co_u32 v10, vcc_lo, v2, s24
	v_subrev_co_ci_u32_e32 v11, vcc_lo, 0, v3, vcc_lo
	v_add_co_u32 v12, vcc_lo, v0, v12
	v_add_co_ci_u32_e32 v13, vcc_lo, v1, v13, vcc_lo
	s_delay_alu instid0(VALU_DEP_1)
	v_cmpx_lt_i64_e64 v[12:13], v[10:11]
	s_cbranch_execz .LBB198_32
; %bb.11:
	s_mov_b32 s3, s25
	s_branch .LBB198_13
.LBB198_12:                             ;   in Loop: Header=BB198_13 Depth=1
	s_or_b32 exec_lo, exec_lo, s13
	v_add_co_u32 v12, vcc_lo, v12, 16
	v_add_co_ci_u32_e32 v13, vcc_lo, 0, v13, vcc_lo
	s_delay_alu instid0(VALU_DEP_1) | instskip(SKIP_1) | instid1(SALU_CYCLE_1)
	v_cmp_ge_i64_e32 vcc_lo, v[12:13], v[10:11]
	s_or_b32 s2, vcc_lo, s2
	s_and_not1_b32 exec_lo, exec_lo, s2
	s_cbranch_execz .LBB198_32
.LBB198_13:                             ; =>This Loop Header: Depth=1
                                        ;     Child Loop BB198_16 Depth 2
                                        ;       Child Loop BB198_18 Depth 3
                                        ;         Child Loop BB198_24 Depth 4
                                        ;         Child Loop BB198_30 Depth 4
	v_lshlrev_b64 v[0:1], 2, v[12:13]
	s_mov_b32 s13, exec_lo
	s_delay_alu instid0(VALU_DEP_1) | instskip(NEXT) | instid1(VALU_DEP_2)
	v_add_co_u32 v0, vcc_lo, s18, v0
	v_add_co_ci_u32_e32 v1, vcc_lo, s19, v1, vcc_lo
	global_load_b32 v0, v[0:1], off
	s_waitcnt vmcnt(0)
	v_subrev_nc_u32_e32 v0, s24, v0
	s_delay_alu instid0(VALU_DEP_1) | instskip(NEXT) | instid1(VALU_DEP_1)
	v_ashrrev_i32_e32 v1, 31, v0
	v_lshlrev_b64 v[0:1], 3, v[0:1]
	s_delay_alu instid0(VALU_DEP_1) | instskip(NEXT) | instid1(VALU_DEP_2)
	v_add_co_u32 v0, vcc_lo, s22, v0
	v_add_co_ci_u32_e32 v1, vcc_lo, s23, v1, vcc_lo
	global_load_b128 v[0:3], v[0:1], off
	s_waitcnt vmcnt(0)
	v_cmpx_lt_i64_e64 v[0:1], v[2:3]
	s_cbranch_execz .LBB198_12
; %bb.14:                               ;   in Loop: Header=BB198_13 Depth=1
	v_lshlrev_b64 v[14:15], 3, v[12:13]
	s_mov_b32 s14, 0
	s_delay_alu instid0(VALU_DEP_1) | instskip(NEXT) | instid1(VALU_DEP_2)
	v_add_co_u32 v14, vcc_lo, s20, v14
	v_add_co_ci_u32_e32 v15, vcc_lo, s21, v15, vcc_lo
	v_sub_co_u32 v2, vcc_lo, v2, s3
	v_subrev_co_ci_u32_e32 v3, vcc_lo, 0, v3, vcc_lo
	global_load_b64 v[14:15], v[14:15], off
	v_sub_co_u32 v0, vcc_lo, v0, s3
	v_subrev_co_ci_u32_e32 v1, vcc_lo, 0, v1, vcc_lo
	s_waitcnt vmcnt(0)
	v_mul_f64 v[14:15], v[8:9], v[14:15]
	s_branch .LBB198_16
.LBB198_15:                             ;   in Loop: Header=BB198_16 Depth=2
	s_or_b32 exec_lo, exec_lo, s15
	v_add_co_u32 v0, vcc_lo, v0, 1
	v_add_co_ci_u32_e32 v1, vcc_lo, 0, v1, vcc_lo
	s_delay_alu instid0(VALU_DEP_1) | instskip(SKIP_1) | instid1(SALU_CYCLE_1)
	v_cmp_ge_i64_e32 vcc_lo, v[0:1], v[2:3]
	s_or_b32 s14, vcc_lo, s14
	s_and_not1_b32 exec_lo, exec_lo, s14
	s_cbranch_execz .LBB198_12
.LBB198_16:                             ;   Parent Loop BB198_13 Depth=1
                                        ; =>  This Loop Header: Depth=2
                                        ;       Child Loop BB198_18 Depth 3
                                        ;         Child Loop BB198_24 Depth 4
                                        ;         Child Loop BB198_30 Depth 4
	s_delay_alu instid0(VALU_DEP_2) | instskip(SKIP_2) | instid1(VALU_DEP_2)
	v_lshlrev_b64 v[16:17], 3, v[0:1]
	v_lshlrev_b64 v[18:19], 2, v[0:1]
	s_mov_b32 s15, 0
	v_add_co_u32 v16, vcc_lo, s38, v16
	s_delay_alu instid0(VALU_DEP_3) | instskip(NEXT) | instid1(VALU_DEP_3)
	v_add_co_ci_u32_e32 v17, vcc_lo, s39, v17, vcc_lo
	v_add_co_u32 v18, vcc_lo, s36, v18
	s_delay_alu instid0(VALU_DEP_4)
	v_add_co_ci_u32_e32 v19, vcc_lo, s37, v19, vcc_lo
	global_load_b64 v[16:17], v[16:17], off
	global_load_b32 v18, v[18:19], off
	s_waitcnt vmcnt(1)
	v_mul_f64 v[16:17], v[14:15], v[16:17]
	s_waitcnt vmcnt(0)
	v_subrev_nc_u32_e32 v26, s25, v18
	s_delay_alu instid0(VALU_DEP_1) | instskip(NEXT) | instid1(VALU_DEP_1)
	v_lshl_add_u32 v18, v26, 3, v26
	v_and_b32_e32 v27, 31, v18
	s_branch .LBB198_18
.LBB198_17:                             ;   in Loop: Header=BB198_18 Depth=3
	s_or_b32 exec_lo, exec_lo, s16
	s_xor_b32 s16, s17, -1
	s_delay_alu instid0(SALU_CYCLE_1) | instskip(NEXT) | instid1(SALU_CYCLE_1)
	s_and_b32 s16, exec_lo, s16
	s_or_b32 s15, s16, s15
	s_delay_alu instid0(SALU_CYCLE_1)
	s_and_not1_b32 exec_lo, exec_lo, s15
	s_cbranch_execz .LBB198_15
.LBB198_18:                             ;   Parent Loop BB198_13 Depth=1
                                        ;     Parent Loop BB198_16 Depth=2
                                        ; =>    This Loop Header: Depth=3
                                        ;         Child Loop BB198_24 Depth 4
                                        ;         Child Loop BB198_30 Depth 4
	s_delay_alu instid0(VALU_DEP_1)
	v_lshl_add_u32 v18, v27, 2, v23
	s_mov_b32 s16, exec_lo
                                        ; implicit-def: $sgpr17
	ds_load_b32 v19, v18
	s_waitcnt lgkmcnt(0)
	v_cmpx_ne_u32_e64 v19, v26
	s_xor_b32 s16, exec_lo, s16
	s_cbranch_execz .LBB198_28
; %bb.19:                               ;   in Loop: Header=BB198_18 Depth=3
	s_mov_b32 s33, exec_lo
                                        ; implicit-def: $sgpr17
	v_cmpx_ne_u32_e64 s1, v19
	s_xor_b32 s33, exec_lo, s33
; %bb.20:                               ;   in Loop: Header=BB198_18 Depth=3
	v_add_nc_u32_e32 v18, 1, v27
	s_mov_b32 s17, -1
	s_delay_alu instid0(VALU_DEP_1)
	v_and_b32_e32 v27, 31, v18
                                        ; implicit-def: $vgpr18
; %bb.21:                               ;   in Loop: Header=BB198_18 Depth=3
	s_and_not1_saveexec_b32 s33, s33
	s_cbranch_execz .LBB198_27
; %bb.22:                               ;   in Loop: Header=BB198_18 Depth=3
	v_mov_b32_e32 v19, s1
	s_mov_b32 s35, -1
	s_mov_b32 s34, exec_lo
	ds_cmpstore_rtn_b32 v18, v18, v26, v19
	s_waitcnt lgkmcnt(0)
	v_cmpx_eq_u32_e64 s1, v18
	s_cbranch_execz .LBB198_26
; %bb.23:                               ;   in Loop: Header=BB198_18 Depth=3
	v_lshl_add_u32 v28, v27, 3, v24
	s_mov_b32 s35, 0
	ds_load_b64 v[18:19], v28
.LBB198_24:                             ;   Parent Loop BB198_13 Depth=1
                                        ;     Parent Loop BB198_16 Depth=2
                                        ;       Parent Loop BB198_18 Depth=3
                                        ; =>      This Inner Loop Header: Depth=4
	s_waitcnt lgkmcnt(0)
	v_add_f64 v[29:30], v[18:19], v[16:17]
	ds_cmpstore_rtn_b64 v[29:30], v28, v[29:30], v[18:19]
	s_waitcnt lgkmcnt(0)
	v_cmp_eq_u64_e32 vcc_lo, v[29:30], v[18:19]
	v_dual_mov_b32 v18, v29 :: v_dual_mov_b32 v19, v30
	s_or_b32 s35, vcc_lo, s35
	s_delay_alu instid0(SALU_CYCLE_1)
	s_and_not1_b32 exec_lo, exec_lo, s35
	s_cbranch_execnz .LBB198_24
; %bb.25:                               ;   in Loop: Header=BB198_18 Depth=3
	s_or_b32 exec_lo, exec_lo, s35
	s_delay_alu instid0(SALU_CYCLE_1)
	s_xor_b32 s35, exec_lo, -1
.LBB198_26:                             ;   in Loop: Header=BB198_18 Depth=3
	s_or_b32 exec_lo, exec_lo, s34
	s_delay_alu instid0(SALU_CYCLE_1) | instskip(SKIP_1) | instid1(SALU_CYCLE_1)
	s_and_not1_b32 s17, s17, exec_lo
	s_and_b32 s34, s35, exec_lo
	s_or_b32 s17, s17, s34
.LBB198_27:                             ;   in Loop: Header=BB198_18 Depth=3
	s_or_b32 exec_lo, exec_lo, s33
	s_delay_alu instid0(SALU_CYCLE_1)
	s_and_b32 s17, s17, exec_lo
.LBB198_28:                             ;   in Loop: Header=BB198_18 Depth=3
	s_and_not1_saveexec_b32 s16, s16
	s_cbranch_execz .LBB198_17
; %bb.29:                               ;   in Loop: Header=BB198_18 Depth=3
	v_lshl_add_u32 v28, v27, 3, v24
	s_mov_b32 s33, 0
	ds_load_b64 v[18:19], v28
.LBB198_30:                             ;   Parent Loop BB198_13 Depth=1
                                        ;     Parent Loop BB198_16 Depth=2
                                        ;       Parent Loop BB198_18 Depth=3
                                        ; =>      This Inner Loop Header: Depth=4
	s_waitcnt lgkmcnt(0)
	v_add_f64 v[29:30], v[18:19], v[16:17]
	ds_cmpstore_rtn_b64 v[29:30], v28, v[29:30], v[18:19]
	s_waitcnt lgkmcnt(0)
	v_cmp_eq_u64_e32 vcc_lo, v[29:30], v[18:19]
	v_dual_mov_b32 v18, v29 :: v_dual_mov_b32 v19, v30
	s_or_b32 s33, vcc_lo, s33
	s_delay_alu instid0(SALU_CYCLE_1)
	s_and_not1_b32 exec_lo, exec_lo, s33
	s_cbranch_execnz .LBB198_30
; %bb.31:                               ;   in Loop: Header=BB198_18 Depth=3
	s_or_b32 exec_lo, exec_lo, s33
	s_delay_alu instid0(SALU_CYCLE_1)
	s_and_not1_b32 s17, s17, exec_lo
	s_branch .LBB198_17
.LBB198_32:
	s_or_b32 exec_lo, exec_lo, s0
.LBB198_33:
	s_delay_alu instid0(SALU_CYCLE_1)
	s_and_not1_b32 vcc_lo, exec_lo, s12
	s_cbranch_vccnz .LBB198_36
; %bb.34:
	s_delay_alu instid0(VALU_DEP_1) | instskip(NEXT) | instid1(VALU_DEP_2)
	v_add_co_u32 v0, vcc_lo, s4, v6
	v_add_co_ci_u32_e32 v1, vcc_lo, s5, v7, vcc_lo
	v_sub_co_u32 v2, s0, v25, s27
	s_delay_alu instid0(VALU_DEP_1)
	v_sub_co_ci_u32_e64 v3, null, 0, 0, s0
	global_load_b128 v[8:11], v[0:1], off
	s_mov_b32 s2, 0
	s_mov_b32 s0, exec_lo
	s_waitcnt vmcnt(0)
	v_sub_co_u32 v0, vcc_lo, v10, s27
	v_subrev_co_ci_u32_e32 v1, vcc_lo, 0, v11, vcc_lo
	v_add_co_u32 v2, vcc_lo, v8, v2
	v_add_co_ci_u32_e32 v3, vcc_lo, v9, v3, vcc_lo
	s_delay_alu instid0(VALU_DEP_1)
	v_cmpx_lt_i64_e64 v[2:3], v[0:1]
	s_cbranch_execnz .LBB198_41
.LBB198_35:
	s_or_b32 exec_lo, exec_lo, s0
.LBB198_36:
	s_delay_alu instid0(VALU_DEP_1) | instskip(NEXT) | instid1(VALU_DEP_2)
	v_add_co_u32 v0, vcc_lo, s10, v6
	v_add_co_ci_u32_e32 v1, vcc_lo, s11, v7, vcc_lo
	buffer_gl0_inv
	s_mov_b32 s0, 0
	global_load_b64 v[0:1], v[0:1], off
	s_waitcnt vmcnt(0)
	v_sub_co_u32 v0, vcc_lo, v0, s26
	v_subrev_co_ci_u32_e32 v1, vcc_lo, 0, v1, vcc_lo
	s_branch .LBB198_38
.LBB198_37:                             ;   in Loop: Header=BB198_38 Depth=1
	s_or_b32 exec_lo, exec_lo, s2
	v_add_co_u32 v22, s2, v22, 16
	s_delay_alu instid0(VALU_DEP_1) | instskip(SKIP_3) | instid1(SALU_CYCLE_1)
	s_xor_b32 s2, s2, -1
	v_add_nc_u32_e32 v21, 0x80, v21
	v_add_nc_u32_e32 v20, 64, v20
	s_and_b32 s2, exec_lo, s2
	s_or_b32 s0, s2, s0
	s_delay_alu instid0(SALU_CYCLE_1)
	s_and_not1_b32 exec_lo, exec_lo, s0
	s_cbranch_execz .LBB198_57
.LBB198_38:                             ; =>This Inner Loop Header: Depth=1
	ds_load_b32 v2, v20
	s_mov_b32 s2, exec_lo
	s_waitcnt lgkmcnt(0)
	v_cmpx_gt_i32_e64 s1, v2
	s_cbranch_execz .LBB198_37
; %bb.39:                               ;   in Loop: Header=BB198_38 Depth=1
	ds_load_b128 v[3:6], v23
	ds_load_b128 v[7:10], v23 offset:16
	ds_load_b128 v[11:14], v23 offset:32
	;; [unrolled: 1-line block ×4, first 2 shown]
	s_waitcnt lgkmcnt(4)
	v_cmp_gt_i32_e32 vcc_lo, v2, v3
	v_cndmask_b32_e64 v3, 0, 1, vcc_lo
	v_cmp_gt_i32_e32 vcc_lo, v2, v4
	v_cndmask_b32_e64 v4, 0, 1, vcc_lo
	s_delay_alu instid0(VALU_DEP_3) | instskip(SKIP_3) | instid1(VALU_DEP_4)
	v_add_co_u32 v3, vcc_lo, v0, v3
	v_add_co_ci_u32_e32 v19, vcc_lo, 0, v1, vcc_lo
	v_cmp_gt_i32_e32 vcc_lo, v2, v5
	v_cndmask_b32_e64 v5, 0, 1, vcc_lo
	v_add_co_u32 v3, vcc_lo, v3, v4
	s_delay_alu instid0(VALU_DEP_4) | instskip(SKIP_2) | instid1(VALU_DEP_4)
	v_add_co_ci_u32_e32 v4, vcc_lo, 0, v19, vcc_lo
	v_cmp_gt_i32_e32 vcc_lo, v2, v6
	v_cndmask_b32_e64 v6, 0, 1, vcc_lo
	v_add_co_u32 v3, vcc_lo, v3, v5
	s_delay_alu instid0(VALU_DEP_4)
	v_add_co_ci_u32_e32 v4, vcc_lo, 0, v4, vcc_lo
	s_waitcnt lgkmcnt(3)
	v_cmp_gt_i32_e32 vcc_lo, v2, v7
	v_cndmask_b32_e64 v5, 0, 1, vcc_lo
	v_add_co_u32 v3, vcc_lo, v3, v6
	v_add_co_ci_u32_e32 v4, vcc_lo, 0, v4, vcc_lo
	v_cmp_gt_i32_e32 vcc_lo, v2, v8
	v_cndmask_b32_e64 v6, 0, 1, vcc_lo
	s_delay_alu instid0(VALU_DEP_4) | instskip(NEXT) | instid1(VALU_DEP_4)
	v_add_co_u32 v3, vcc_lo, v3, v5
	v_add_co_ci_u32_e32 v4, vcc_lo, 0, v4, vcc_lo
	v_cmp_gt_i32_e32 vcc_lo, v2, v9
	v_cndmask_b32_e64 v5, 0, 1, vcc_lo
	s_delay_alu instid0(VALU_DEP_4) | instskip(NEXT) | instid1(VALU_DEP_4)
	;; [unrolled: 5-line block ×3, first 2 shown]
	v_add_co_u32 v3, vcc_lo, v3, v5
	v_add_co_ci_u32_e32 v4, vcc_lo, 0, v4, vcc_lo
	s_waitcnt lgkmcnt(2)
	v_cmp_gt_i32_e32 vcc_lo, v2, v11
	v_cndmask_b32_e64 v5, 0, 1, vcc_lo
	v_add_co_u32 v3, vcc_lo, v3, v6
	v_add_co_ci_u32_e32 v4, vcc_lo, 0, v4, vcc_lo
	v_cmp_gt_i32_e32 vcc_lo, v2, v12
	v_cndmask_b32_e64 v6, 0, 1, vcc_lo
	s_delay_alu instid0(VALU_DEP_4) | instskip(NEXT) | instid1(VALU_DEP_4)
	v_add_co_u32 v3, vcc_lo, v3, v5
	v_add_co_ci_u32_e32 v4, vcc_lo, 0, v4, vcc_lo
	v_cmp_gt_i32_e32 vcc_lo, v2, v13
	v_cndmask_b32_e64 v5, 0, 1, vcc_lo
	s_delay_alu instid0(VALU_DEP_4) | instskip(NEXT) | instid1(VALU_DEP_4)
	;; [unrolled: 5-line block ×3, first 2 shown]
	v_add_co_u32 v3, vcc_lo, v3, v5
	v_add_co_ci_u32_e32 v4, vcc_lo, 0, v4, vcc_lo
	s_waitcnt lgkmcnt(1)
	v_cmp_gt_i32_e32 vcc_lo, v2, v15
	v_cndmask_b32_e64 v5, 0, 1, vcc_lo
	v_add_co_u32 v3, vcc_lo, v3, v6
	v_add_co_ci_u32_e32 v4, vcc_lo, 0, v4, vcc_lo
	v_cmp_gt_i32_e32 vcc_lo, v2, v16
	v_cndmask_b32_e64 v6, 0, 1, vcc_lo
	s_delay_alu instid0(VALU_DEP_4) | instskip(NEXT) | instid1(VALU_DEP_4)
	v_add_co_u32 v3, vcc_lo, v3, v5
	v_add_co_ci_u32_e32 v4, vcc_lo, 0, v4, vcc_lo
	v_cmp_gt_i32_e32 vcc_lo, v2, v17
	v_cndmask_b32_e64 v5, 0, 1, vcc_lo
	s_delay_alu instid0(VALU_DEP_4) | instskip(NEXT) | instid1(VALU_DEP_4)
	v_add_co_u32 v3, vcc_lo, v3, v6
	v_add_co_ci_u32_e32 v4, vcc_lo, 0, v4, vcc_lo
	s_delay_alu instid0(VALU_DEP_2) | instskip(NEXT) | instid1(VALU_DEP_2)
	v_add_co_u32 v7, vcc_lo, v3, v5
	v_add_co_ci_u32_e32 v8, vcc_lo, 0, v4, vcc_lo
	ds_load_b128 v[3:6], v23 offset:80
	v_cmp_gt_i32_e32 vcc_lo, v2, v18
	v_cndmask_b32_e64 v9, 0, 1, vcc_lo
	s_waitcnt lgkmcnt(1)
	v_cmp_gt_i32_e32 vcc_lo, v2, v24
	v_cndmask_b32_e64 v10, 0, 1, vcc_lo
	s_delay_alu instid0(VALU_DEP_3) | instskip(SKIP_3) | instid1(VALU_DEP_4)
	v_add_co_u32 v7, vcc_lo, v7, v9
	v_add_co_ci_u32_e32 v8, vcc_lo, 0, v8, vcc_lo
	v_cmp_gt_i32_e32 vcc_lo, v2, v25
	v_cndmask_b32_e64 v9, 0, 1, vcc_lo
	v_add_co_u32 v7, vcc_lo, v7, v10
	s_delay_alu instid0(VALU_DEP_4) | instskip(SKIP_2) | instid1(VALU_DEP_4)
	v_add_co_ci_u32_e32 v8, vcc_lo, 0, v8, vcc_lo
	v_cmp_gt_i32_e32 vcc_lo, v2, v26
	v_cndmask_b32_e64 v10, 0, 1, vcc_lo
	v_add_co_u32 v7, vcc_lo, v7, v9
	s_delay_alu instid0(VALU_DEP_4) | instskip(SKIP_2) | instid1(VALU_DEP_4)
	v_add_co_ci_u32_e32 v8, vcc_lo, 0, v8, vcc_lo
	v_cmp_gt_i32_e32 vcc_lo, v2, v27
	v_cndmask_b32_e64 v9, 0, 1, vcc_lo
	v_add_co_u32 v7, vcc_lo, v7, v10
	s_delay_alu instid0(VALU_DEP_4) | instskip(NEXT) | instid1(VALU_DEP_2)
	v_add_co_ci_u32_e32 v8, vcc_lo, 0, v8, vcc_lo
	v_add_co_u32 v11, vcc_lo, v7, v9
	s_delay_alu instid0(VALU_DEP_2)
	v_add_co_ci_u32_e32 v12, vcc_lo, 0, v8, vcc_lo
	s_waitcnt lgkmcnt(0)
	v_cmp_gt_i32_e32 vcc_lo, v2, v3
	ds_load_b128 v[7:10], v23 offset:96
	v_cndmask_b32_e64 v3, 0, 1, vcc_lo
	v_cmp_gt_i32_e32 vcc_lo, v2, v4
	v_cndmask_b32_e64 v4, 0, 1, vcc_lo
	s_delay_alu instid0(VALU_DEP_3) | instskip(SKIP_3) | instid1(VALU_DEP_4)
	v_add_co_u32 v3, vcc_lo, v11, v3
	v_add_co_ci_u32_e32 v11, vcc_lo, 0, v12, vcc_lo
	v_cmp_gt_i32_e32 vcc_lo, v2, v5
	v_cndmask_b32_e64 v5, 0, 1, vcc_lo
	v_add_co_u32 v3, vcc_lo, v3, v4
	s_delay_alu instid0(VALU_DEP_4) | instskip(NEXT) | instid1(VALU_DEP_2)
	v_add_co_ci_u32_e32 v4, vcc_lo, 0, v11, vcc_lo
	v_add_co_u32 v11, vcc_lo, v3, v5
	s_delay_alu instid0(VALU_DEP_2)
	v_add_co_ci_u32_e32 v12, vcc_lo, 0, v4, vcc_lo
	v_cmp_gt_i32_e32 vcc_lo, v2, v6
	ds_load_b128 v[3:6], v23 offset:112
	v_cndmask_b32_e64 v13, 0, 1, vcc_lo
	s_waitcnt lgkmcnt(1)
	v_cmp_gt_i32_e32 vcc_lo, v2, v7
	v_cndmask_b32_e64 v7, 0, 1, vcc_lo
	s_delay_alu instid0(VALU_DEP_3) | instskip(SKIP_3) | instid1(VALU_DEP_4)
	v_add_co_u32 v11, vcc_lo, v11, v13
	v_add_co_ci_u32_e32 v12, vcc_lo, 0, v12, vcc_lo
	v_cmp_gt_i32_e32 vcc_lo, v2, v8
	v_cndmask_b32_e64 v8, 0, 1, vcc_lo
	v_add_co_u32 v7, vcc_lo, v11, v7
	s_delay_alu instid0(VALU_DEP_4) | instskip(SKIP_2) | instid1(VALU_DEP_4)
	v_add_co_ci_u32_e32 v11, vcc_lo, 0, v12, vcc_lo
	v_cmp_gt_i32_e32 vcc_lo, v2, v9
	v_cndmask_b32_e64 v9, 0, 1, vcc_lo
	v_add_co_u32 v7, vcc_lo, v7, v8
	s_delay_alu instid0(VALU_DEP_4) | instskip(SKIP_2) | instid1(VALU_DEP_4)
	v_add_co_ci_u32_e32 v8, vcc_lo, 0, v11, vcc_lo
	v_cmp_gt_i32_e32 vcc_lo, v2, v10
	v_cndmask_b32_e64 v10, 0, 1, vcc_lo
	v_add_co_u32 v7, vcc_lo, v7, v9
	s_delay_alu instid0(VALU_DEP_4)
	v_add_co_ci_u32_e32 v8, vcc_lo, 0, v8, vcc_lo
	s_waitcnt lgkmcnt(0)
	v_cmp_gt_i32_e32 vcc_lo, v2, v3
	v_add_nc_u32_e32 v9, s26, v2
	v_cndmask_b32_e64 v3, 0, 1, vcc_lo
	v_add_co_u32 v7, vcc_lo, v7, v10
	v_add_co_ci_u32_e32 v8, vcc_lo, 0, v8, vcc_lo
	v_cmp_gt_i32_e32 vcc_lo, v2, v4
	v_cndmask_b32_e64 v4, 0, 1, vcc_lo
	s_delay_alu instid0(VALU_DEP_4) | instskip(NEXT) | instid1(VALU_DEP_4)
	v_add_co_u32 v3, vcc_lo, v7, v3
	v_add_co_ci_u32_e32 v7, vcc_lo, 0, v8, vcc_lo
	v_cmp_gt_i32_e32 vcc_lo, v2, v5
	v_cndmask_b32_e64 v5, 0, 1, vcc_lo
	s_delay_alu instid0(VALU_DEP_4) | instskip(NEXT) | instid1(VALU_DEP_4)
	;; [unrolled: 5-line block ×3, first 2 shown]
	v_add_co_u32 v3, vcc_lo, v3, v5
	v_add_co_ci_u32_e32 v4, vcc_lo, 0, v4, vcc_lo
	s_delay_alu instid0(VALU_DEP_2) | instskip(NEXT) | instid1(VALU_DEP_2)
	v_add_co_u32 v3, vcc_lo, v3, v6
	v_add_co_ci_u32_e32 v4, vcc_lo, 0, v4, vcc_lo
	ds_load_b64 v[5:6], v21
	v_lshlrev_b64 v[7:8], 2, v[3:4]
	v_lshlrev_b64 v[2:3], 3, v[3:4]
	s_delay_alu instid0(VALU_DEP_2) | instskip(NEXT) | instid1(VALU_DEP_3)
	v_add_co_u32 v7, vcc_lo, s28, v7
	v_add_co_ci_u32_e32 v8, vcc_lo, s29, v8, vcc_lo
	s_delay_alu instid0(VALU_DEP_3) | instskip(NEXT) | instid1(VALU_DEP_4)
	v_add_co_u32 v2, vcc_lo, s30, v2
	v_add_co_ci_u32_e32 v3, vcc_lo, s31, v3, vcc_lo
	global_store_b32 v[7:8], v9, off
	s_waitcnt lgkmcnt(0)
	global_store_b64 v[2:3], v[5:6], off
	s_branch .LBB198_37
.LBB198_40:                             ;   in Loop: Header=BB198_41 Depth=1
	s_or_b32 exec_lo, exec_lo, s3
	v_add_co_u32 v2, vcc_lo, v2, 16
	v_add_co_ci_u32_e32 v3, vcc_lo, 0, v3, vcc_lo
	s_delay_alu instid0(VALU_DEP_1) | instskip(SKIP_1) | instid1(SALU_CYCLE_1)
	v_cmp_ge_i64_e32 vcc_lo, v[2:3], v[0:1]
	s_or_b32 s2, vcc_lo, s2
	s_and_not1_b32 exec_lo, exec_lo, s2
	s_cbranch_execz .LBB198_35
.LBB198_41:                             ; =>This Loop Header: Depth=1
                                        ;     Child Loop BB198_43 Depth 2
                                        ;       Child Loop BB198_49 Depth 3
                                        ;       Child Loop BB198_55 Depth 3
	v_lshlrev_b64 v[8:9], 3, v[2:3]
	v_lshlrev_b64 v[10:11], 2, v[2:3]
	s_mov_b32 s3, 0
	s_delay_alu instid0(VALU_DEP_2) | instskip(NEXT) | instid1(VALU_DEP_3)
	v_add_co_u32 v8, vcc_lo, s8, v8
	v_add_co_ci_u32_e32 v9, vcc_lo, s9, v9, vcc_lo
	s_delay_alu instid0(VALU_DEP_3) | instskip(NEXT) | instid1(VALU_DEP_4)
	v_add_co_u32 v10, vcc_lo, s6, v10
	v_add_co_ci_u32_e32 v11, vcc_lo, s7, v11, vcc_lo
	global_load_b64 v[8:9], v[8:9], off
	global_load_b32 v10, v[10:11], off
	s_waitcnt vmcnt(1)
	v_mul_f64 v[8:9], v[4:5], v[8:9]
	s_waitcnt vmcnt(0)
	v_subrev_nc_u32_e32 v12, s27, v10
	s_delay_alu instid0(VALU_DEP_1) | instskip(NEXT) | instid1(VALU_DEP_1)
	v_lshl_add_u32 v10, v12, 3, v12
	v_and_b32_e32 v13, 31, v10
	s_branch .LBB198_43
.LBB198_42:                             ;   in Loop: Header=BB198_43 Depth=2
	s_or_b32 exec_lo, exec_lo, s4
	s_xor_b32 s4, s5, -1
	s_delay_alu instid0(SALU_CYCLE_1) | instskip(NEXT) | instid1(SALU_CYCLE_1)
	s_and_b32 s4, exec_lo, s4
	s_or_b32 s3, s4, s3
	s_delay_alu instid0(SALU_CYCLE_1)
	s_and_not1_b32 exec_lo, exec_lo, s3
	s_cbranch_execz .LBB198_40
.LBB198_43:                             ;   Parent Loop BB198_41 Depth=1
                                        ; =>  This Loop Header: Depth=2
                                        ;       Child Loop BB198_49 Depth 3
                                        ;       Child Loop BB198_55 Depth 3
	s_delay_alu instid0(VALU_DEP_1)
	v_lshl_add_u32 v10, v13, 2, v23
	s_mov_b32 s4, exec_lo
                                        ; implicit-def: $sgpr5
	ds_load_b32 v11, v10
	s_waitcnt lgkmcnt(0)
	v_cmpx_ne_u32_e64 v11, v12
	s_xor_b32 s4, exec_lo, s4
	s_cbranch_execz .LBB198_53
; %bb.44:                               ;   in Loop: Header=BB198_43 Depth=2
	s_mov_b32 s12, exec_lo
                                        ; implicit-def: $sgpr5
	v_cmpx_ne_u32_e64 s1, v11
	s_xor_b32 s12, exec_lo, s12
; %bb.45:                               ;   in Loop: Header=BB198_43 Depth=2
	v_add_nc_u32_e32 v10, 1, v13
	s_mov_b32 s5, -1
	s_delay_alu instid0(VALU_DEP_1)
	v_and_b32_e32 v13, 31, v10
                                        ; implicit-def: $vgpr10
; %bb.46:                               ;   in Loop: Header=BB198_43 Depth=2
	s_and_not1_saveexec_b32 s12, s12
	s_cbranch_execz .LBB198_52
; %bb.47:                               ;   in Loop: Header=BB198_43 Depth=2
	v_mov_b32_e32 v11, s1
	s_mov_b32 s14, -1
	s_mov_b32 s13, exec_lo
	ds_cmpstore_rtn_b32 v10, v10, v12, v11
	s_waitcnt lgkmcnt(0)
	v_cmpx_eq_u32_e64 s1, v10
	s_cbranch_execz .LBB198_51
; %bb.48:                               ;   in Loop: Header=BB198_43 Depth=2
	v_lshl_add_u32 v14, v13, 3, v24
	s_mov_b32 s14, 0
	ds_load_b64 v[10:11], v14
.LBB198_49:                             ;   Parent Loop BB198_41 Depth=1
                                        ;     Parent Loop BB198_43 Depth=2
                                        ; =>    This Inner Loop Header: Depth=3
	s_waitcnt lgkmcnt(0)
	v_add_f64 v[15:16], v[10:11], v[8:9]
	ds_cmpstore_rtn_b64 v[15:16], v14, v[15:16], v[10:11]
	s_waitcnt lgkmcnt(0)
	v_cmp_eq_u64_e32 vcc_lo, v[15:16], v[10:11]
	v_dual_mov_b32 v10, v15 :: v_dual_mov_b32 v11, v16
	s_or_b32 s14, vcc_lo, s14
	s_delay_alu instid0(SALU_CYCLE_1)
	s_and_not1_b32 exec_lo, exec_lo, s14
	s_cbranch_execnz .LBB198_49
; %bb.50:                               ;   in Loop: Header=BB198_43 Depth=2
	s_or_b32 exec_lo, exec_lo, s14
	s_delay_alu instid0(SALU_CYCLE_1)
	s_xor_b32 s14, exec_lo, -1
.LBB198_51:                             ;   in Loop: Header=BB198_43 Depth=2
	s_or_b32 exec_lo, exec_lo, s13
	s_delay_alu instid0(SALU_CYCLE_1) | instskip(SKIP_1) | instid1(SALU_CYCLE_1)
	s_and_not1_b32 s5, s5, exec_lo
	s_and_b32 s13, s14, exec_lo
	s_or_b32 s5, s5, s13
.LBB198_52:                             ;   in Loop: Header=BB198_43 Depth=2
	s_or_b32 exec_lo, exec_lo, s12
	s_delay_alu instid0(SALU_CYCLE_1)
	s_and_b32 s5, s5, exec_lo
.LBB198_53:                             ;   in Loop: Header=BB198_43 Depth=2
	s_and_not1_saveexec_b32 s4, s4
	s_cbranch_execz .LBB198_42
; %bb.54:                               ;   in Loop: Header=BB198_43 Depth=2
	v_lshl_add_u32 v14, v13, 3, v24
	s_mov_b32 s12, 0
	ds_load_b64 v[10:11], v14
.LBB198_55:                             ;   Parent Loop BB198_41 Depth=1
                                        ;     Parent Loop BB198_43 Depth=2
                                        ; =>    This Inner Loop Header: Depth=3
	s_waitcnt lgkmcnt(0)
	v_add_f64 v[15:16], v[10:11], v[8:9]
	ds_cmpstore_rtn_b64 v[15:16], v14, v[15:16], v[10:11]
	s_waitcnt lgkmcnt(0)
	v_cmp_eq_u64_e32 vcc_lo, v[15:16], v[10:11]
	v_dual_mov_b32 v10, v15 :: v_dual_mov_b32 v11, v16
	s_or_b32 s12, vcc_lo, s12
	s_delay_alu instid0(SALU_CYCLE_1)
	s_and_not1_b32 exec_lo, exec_lo, s12
	s_cbranch_execnz .LBB198_55
; %bb.56:                               ;   in Loop: Header=BB198_43 Depth=2
	s_or_b32 exec_lo, exec_lo, s12
	s_delay_alu instid0(SALU_CYCLE_1)
	s_and_not1_b32 s5, s5, exec_lo
	s_branch .LBB198_42
.LBB198_57:
	s_nop 0
	s_sendmsg sendmsg(MSG_DEALLOC_VGPRS)
	s_endpgm
	.section	.rodata,"a",@progbits
	.p2align	6, 0x0
	.amdhsa_kernel _ZN9rocsparseL23csrgemm_fill_wf_per_rowILj256ELj16ELj32ELj137ElidEEvT4_S1_PKS1_S3_NS_24const_host_device_scalarIT5_EEPKT3_S3_PKS5_S9_S3_SB_S6_S9_S3_SB_S9_PS1_PS5_21rocsparse_index_base_SE_SE_SE_bbb
		.amdhsa_group_segment_fixed_size 6144
		.amdhsa_private_segment_fixed_size 0
		.amdhsa_kernarg_size 156
		.amdhsa_user_sgpr_count 15
		.amdhsa_user_sgpr_dispatch_ptr 0
		.amdhsa_user_sgpr_queue_ptr 0
		.amdhsa_user_sgpr_kernarg_segment_ptr 1
		.amdhsa_user_sgpr_dispatch_id 0
		.amdhsa_user_sgpr_private_segment_size 0
		.amdhsa_wavefront_size32 1
		.amdhsa_uses_dynamic_stack 0
		.amdhsa_enable_private_segment 0
		.amdhsa_system_sgpr_workgroup_id_x 1
		.amdhsa_system_sgpr_workgroup_id_y 0
		.amdhsa_system_sgpr_workgroup_id_z 0
		.amdhsa_system_sgpr_workgroup_info 0
		.amdhsa_system_vgpr_workitem_id 0
		.amdhsa_next_free_vgpr 31
		.amdhsa_next_free_sgpr 44
		.amdhsa_reserve_vcc 1
		.amdhsa_float_round_mode_32 0
		.amdhsa_float_round_mode_16_64 0
		.amdhsa_float_denorm_mode_32 3
		.amdhsa_float_denorm_mode_16_64 3
		.amdhsa_dx10_clamp 1
		.amdhsa_ieee_mode 1
		.amdhsa_fp16_overflow 0
		.amdhsa_workgroup_processor_mode 1
		.amdhsa_memory_ordered 1
		.amdhsa_forward_progress 0
		.amdhsa_shared_vgpr_count 0
		.amdhsa_exception_fp_ieee_invalid_op 0
		.amdhsa_exception_fp_denorm_src 0
		.amdhsa_exception_fp_ieee_div_zero 0
		.amdhsa_exception_fp_ieee_overflow 0
		.amdhsa_exception_fp_ieee_underflow 0
		.amdhsa_exception_fp_ieee_inexact 0
		.amdhsa_exception_int_div_zero 0
	.end_amdhsa_kernel
	.section	.text._ZN9rocsparseL23csrgemm_fill_wf_per_rowILj256ELj16ELj32ELj137ElidEEvT4_S1_PKS1_S3_NS_24const_host_device_scalarIT5_EEPKT3_S3_PKS5_S9_S3_SB_S6_S9_S3_SB_S9_PS1_PS5_21rocsparse_index_base_SE_SE_SE_bbb,"axG",@progbits,_ZN9rocsparseL23csrgemm_fill_wf_per_rowILj256ELj16ELj32ELj137ElidEEvT4_S1_PKS1_S3_NS_24const_host_device_scalarIT5_EEPKT3_S3_PKS5_S9_S3_SB_S6_S9_S3_SB_S9_PS1_PS5_21rocsparse_index_base_SE_SE_SE_bbb,comdat
.Lfunc_end198:
	.size	_ZN9rocsparseL23csrgemm_fill_wf_per_rowILj256ELj16ELj32ELj137ElidEEvT4_S1_PKS1_S3_NS_24const_host_device_scalarIT5_EEPKT3_S3_PKS5_S9_S3_SB_S6_S9_S3_SB_S9_PS1_PS5_21rocsparse_index_base_SE_SE_SE_bbb, .Lfunc_end198-_ZN9rocsparseL23csrgemm_fill_wf_per_rowILj256ELj16ELj32ELj137ElidEEvT4_S1_PKS1_S3_NS_24const_host_device_scalarIT5_EEPKT3_S3_PKS5_S9_S3_SB_S6_S9_S3_SB_S9_PS1_PS5_21rocsparse_index_base_SE_SE_SE_bbb
                                        ; -- End function
	.section	.AMDGPU.csdata,"",@progbits
; Kernel info:
; codeLenInByte = 3208
; NumSgprs: 46
; NumVgprs: 31
; ScratchSize: 0
; MemoryBound: 0
; FloatMode: 240
; IeeeMode: 1
; LDSByteSize: 6144 bytes/workgroup (compile time only)
; SGPRBlocks: 5
; VGPRBlocks: 3
; NumSGPRsForWavesPerEU: 46
; NumVGPRsForWavesPerEU: 31
; Occupancy: 16
; WaveLimiterHint : 1
; COMPUTE_PGM_RSRC2:SCRATCH_EN: 0
; COMPUTE_PGM_RSRC2:USER_SGPR: 15
; COMPUTE_PGM_RSRC2:TRAP_HANDLER: 0
; COMPUTE_PGM_RSRC2:TGID_X_EN: 1
; COMPUTE_PGM_RSRC2:TGID_Y_EN: 0
; COMPUTE_PGM_RSRC2:TGID_Z_EN: 0
; COMPUTE_PGM_RSRC2:TIDIG_COMP_CNT: 0
	.section	.text._ZN9rocsparseL26csrgemm_fill_block_per_rowILj128ELj16ELj256ELj137ELj32ElidEEvT5_PKS1_S3_NS_24const_host_device_scalarIT6_EEPKT4_S3_PKS5_S9_S3_SB_S6_S9_S3_SB_S9_PS1_PS5_21rocsparse_index_base_SE_SE_SE_bbb,"axG",@progbits,_ZN9rocsparseL26csrgemm_fill_block_per_rowILj128ELj16ELj256ELj137ELj32ElidEEvT5_PKS1_S3_NS_24const_host_device_scalarIT6_EEPKT4_S3_PKS5_S9_S3_SB_S6_S9_S3_SB_S9_PS1_PS5_21rocsparse_index_base_SE_SE_SE_bbb,comdat
	.globl	_ZN9rocsparseL26csrgemm_fill_block_per_rowILj128ELj16ELj256ELj137ELj32ElidEEvT5_PKS1_S3_NS_24const_host_device_scalarIT6_EEPKT4_S3_PKS5_S9_S3_SB_S6_S9_S3_SB_S9_PS1_PS5_21rocsparse_index_base_SE_SE_SE_bbb ; -- Begin function _ZN9rocsparseL26csrgemm_fill_block_per_rowILj128ELj16ELj256ELj137ELj32ElidEEvT5_PKS1_S3_NS_24const_host_device_scalarIT6_EEPKT4_S3_PKS5_S9_S3_SB_S6_S9_S3_SB_S9_PS1_PS5_21rocsparse_index_base_SE_SE_SE_bbb
	.p2align	8
	.type	_ZN9rocsparseL26csrgemm_fill_block_per_rowILj128ELj16ELj256ELj137ELj32ElidEEvT5_PKS1_S3_NS_24const_host_device_scalarIT6_EEPKT4_S3_PKS5_S9_S3_SB_S6_S9_S3_SB_S9_PS1_PS5_21rocsparse_index_base_SE_SE_SE_bbb,@function
_ZN9rocsparseL26csrgemm_fill_block_per_rowILj128ELj16ELj256ELj137ELj32ElidEEvT5_PKS1_S3_NS_24const_host_device_scalarIT6_EEPKT4_S3_PKS5_S9_S3_SB_S6_S9_S3_SB_S9_PS1_PS5_21rocsparse_index_base_SE_SE_SE_bbb: ; @_ZN9rocsparseL26csrgemm_fill_block_per_rowILj128ELj16ELj256ELj137ELj32ElidEEvT5_PKS1_S3_NS_24const_host_device_scalarIT6_EEPKT4_S3_PKS5_S9_S3_SB_S6_S9_S3_SB_S9_PS1_PS5_21rocsparse_index_base_SE_SE_SE_bbb
; %bb.0:
	s_clause 0x2
	s_load_b32 s6, s[0:1], 0x98
	s_load_b64 s[4:5], s[0:1], 0x18
	s_load_b64 s[2:3], s[0:1], 0x50
	s_waitcnt lgkmcnt(0)
	s_and_b32 s8, 1, s6
	s_bitcmp1_b32 s6, 16
	s_cselect_b32 s7, -1, 0
	s_cmp_eq_u32 s8, 1
	s_cselect_b32 s13, -1, 0
	s_delay_alu instid0(SALU_CYCLE_1)
	s_and_b32 s8, s13, exec_lo
	s_cselect_b32 s9, s5, 0
	s_cselect_b32 s8, s4, 0
	s_xor_b32 s10, s13, -1
	v_dual_mov_b32 v3, s8 :: v_dual_mov_b32 v4, s9
	s_or_b32 s10, s10, s7
	s_delay_alu instid0(SALU_CYCLE_1)
	s_and_b32 vcc_lo, exec_lo, s10
	s_cbranch_vccnz .LBB199_2
; %bb.1:
	v_dual_mov_b32 v1, s4 :: v_dual_mov_b32 v2, s5
	flat_load_b64 v[3:4], v[1:2]
.LBB199_2:
	s_load_b128 s[24:27], s[0:1], 0x88
	s_bitcmp1_b32 s6, 8
	s_cselect_b32 s33, -1, 0
	s_delay_alu instid0(SALU_CYCLE_1)
	s_and_b32 s4, s33, exec_lo
	s_cselect_b32 s5, s3, 0
	s_cselect_b32 s4, s2, 0
	s_xor_b32 s6, s33, -1
	v_dual_mov_b32 v1, s4 :: v_dual_mov_b32 v2, s5
	s_or_b32 s6, s6, s7
	s_delay_alu instid0(SALU_CYCLE_1)
	s_and_b32 vcc_lo, exec_lo, s6
	s_cbranch_vccnz .LBB199_4
; %bb.3:
	v_dual_mov_b32 v1, s2 :: v_dual_mov_b32 v2, s3
	flat_load_b64 v[1:2], v[1:2]
.LBB199_4:
	s_clause 0x5
	s_load_b128 s[28:31], s[0:1], 0x78
	s_load_b256 s[4:11], s[0:1], 0x58
	s_load_b128 s[36:39], s[0:1], 0x40
	s_load_b256 s[16:23], s[0:1], 0x20
	s_load_b128 s[40:43], s[0:1], 0x8
	s_load_b32 s14, s[0:1], 0x0
	v_cmp_gt_u32_e64 s0, 0x100, v0
	v_lshlrev_b32_e32 v19, 3, v0
	v_or_b32_e32 v17, 0xffffff80, v0
	v_lshl_add_u32 v18, v0, 2, 0
	s_delay_alu instid0(VALU_DEP_4)
	s_and_saveexec_b32 s1, s0
	s_cbranch_execz .LBB199_7
; %bb.5:
	s_waitcnt lgkmcnt(0)
	v_dual_mov_b32 v5, 0 :: v_dual_mov_b32 v10, s14
	v_add3_u32 v7, v19, 0, 0x400
	v_or_b32_e32 v8, 0xffffff80, v0
	v_lshl_add_u32 v9, v0, 2, 0
	s_delay_alu instid0(VALU_DEP_4)
	v_mov_b32_e32 v6, v5
	s_mov_b32 s2, 0
.LBB199_6:                              ; =>This Inner Loop Header: Depth=1
	s_delay_alu instid0(VALU_DEP_3) | instskip(NEXT) | instid1(VALU_DEP_1)
	v_add_co_u32 v8, s3, 0x80, v8
	s_xor_b32 s3, s3, -1
	ds_store_b32 v9, v10
	ds_store_b64 v7, v[5:6]
	v_add_nc_u32_e32 v7, 0x400, v7
	v_add_nc_u32_e32 v9, 0x200, v9
	s_and_b32 s3, exec_lo, s3
	s_delay_alu instid0(SALU_CYCLE_1) | instskip(NEXT) | instid1(SALU_CYCLE_1)
	s_or_b32 s2, s3, s2
	s_and_not1_b32 exec_lo, exec_lo, s2
	s_cbranch_execnz .LBB199_6
.LBB199_7:
	s_or_b32 exec_lo, exec_lo, s1
	s_waitcnt vmcnt(0) lgkmcnt(0)
	s_barrier
	buffer_gl0_inv
	s_load_b32 s1, s[40:41], 0x0
	s_mov_b32 s3, 0
	s_waitcnt lgkmcnt(0)
	s_add_i32 s2, s1, s15
	s_delay_alu instid0(SALU_CYCLE_1) | instskip(NEXT) | instid1(SALU_CYCLE_1)
	s_lshl_b64 s[2:3], s[2:3], 2
	s_add_u32 s2, s42, s2
	s_addc_u32 s3, s43, s3
	s_and_b32 vcc_lo, exec_lo, s13
	s_load_b32 s12, s[2:3], 0x0
	s_cbranch_vccz .LBB199_31
; %bb.8:
	s_waitcnt lgkmcnt(0)
	s_ashr_i32 s13, s12, 31
	v_lshrrev_b32_e32 v5, 4, v0
	s_lshl_b64 s[2:3], s[12:13], 3
	s_delay_alu instid0(SALU_CYCLE_1) | instskip(SKIP_1) | instid1(VALU_DEP_1)
	s_add_u32 s2, s16, s2
	s_addc_u32 s3, s17, s3
	v_sub_co_u32 v5, s1, v5, s24
	s_load_b128 s[40:43], s[2:3], 0x0
	v_sub_co_ci_u32_e64 v6, null, 0, 0, s1
	s_mov_b32 s1, exec_lo
	s_waitcnt lgkmcnt(0)
	v_add_co_u32 v5, vcc_lo, s40, v5
	s_delay_alu instid0(VALU_DEP_2)
	v_add_co_ci_u32_e32 v6, vcc_lo, s41, v6, vcc_lo
	s_sub_u32 s2, s42, s24
	s_subb_u32 s3, s43, 0
	s_delay_alu instid0(VALU_DEP_1) | instid1(SALU_CYCLE_1)
	v_cmpx_gt_i64_e64 s[2:3], v[5:6]
	s_cbranch_execz .LBB199_30
; %bb.9:
	v_and_b32_e32 v7, 15, v0
	s_mov_b32 s15, s25
	s_delay_alu instid0(VALU_DEP_1) | instskip(NEXT) | instid1(VALU_DEP_1)
	v_sub_co_u32 v20, s13, v7, s25
	v_sub_co_ci_u32_e64 v21, null, 0, 0, s13
	s_mov_b32 s13, 0
	s_branch .LBB199_11
.LBB199_10:                             ;   in Loop: Header=BB199_11 Depth=1
	s_or_b32 exec_lo, exec_lo, s16
	v_add_co_u32 v5, vcc_lo, v5, 8
	v_add_co_ci_u32_e32 v6, vcc_lo, 0, v6, vcc_lo
	s_delay_alu instid0(VALU_DEP_1) | instskip(SKIP_1) | instid1(SALU_CYCLE_1)
	v_cmp_le_i64_e32 vcc_lo, s[2:3], v[5:6]
	s_or_b32 s13, vcc_lo, s13
	s_and_not1_b32 exec_lo, exec_lo, s13
	s_cbranch_execz .LBB199_30
.LBB199_11:                             ; =>This Loop Header: Depth=1
                                        ;     Child Loop BB199_14 Depth 2
                                        ;       Child Loop BB199_16 Depth 3
                                        ;         Child Loop BB199_22 Depth 4
                                        ;         Child Loop BB199_28 Depth 4
	v_lshlrev_b64 v[7:8], 2, v[5:6]
	s_mov_b32 s16, exec_lo
	s_delay_alu instid0(VALU_DEP_1) | instskip(NEXT) | instid1(VALU_DEP_2)
	v_add_co_u32 v7, vcc_lo, s18, v7
	v_add_co_ci_u32_e32 v8, vcc_lo, s19, v8, vcc_lo
	global_load_b32 v7, v[7:8], off
	s_waitcnt vmcnt(0)
	v_subrev_nc_u32_e32 v7, s24, v7
	s_delay_alu instid0(VALU_DEP_1) | instskip(NEXT) | instid1(VALU_DEP_1)
	v_ashrrev_i32_e32 v8, 31, v7
	v_lshlrev_b64 v[7:8], 3, v[7:8]
	s_delay_alu instid0(VALU_DEP_1) | instskip(NEXT) | instid1(VALU_DEP_2)
	v_add_co_u32 v7, vcc_lo, s22, v7
	v_add_co_ci_u32_e32 v8, vcc_lo, s23, v8, vcc_lo
	global_load_b128 v[9:12], v[7:8], off
	s_waitcnt vmcnt(0)
	v_sub_co_u32 v7, vcc_lo, v11, s15
	v_subrev_co_ci_u32_e32 v8, vcc_lo, 0, v12, vcc_lo
	v_add_co_u32 v9, vcc_lo, v9, v20
	v_add_co_ci_u32_e32 v10, vcc_lo, v10, v21, vcc_lo
	s_delay_alu instid0(VALU_DEP_1)
	v_cmpx_lt_i64_e64 v[9:10], v[7:8]
	s_cbranch_execz .LBB199_10
; %bb.12:                               ;   in Loop: Header=BB199_11 Depth=1
	v_lshlrev_b64 v[11:12], 3, v[5:6]
	s_mov_b32 s17, 0
	s_delay_alu instid0(VALU_DEP_1) | instskip(NEXT) | instid1(VALU_DEP_2)
	v_add_co_u32 v11, vcc_lo, s20, v11
	v_add_co_ci_u32_e32 v12, vcc_lo, s21, v12, vcc_lo
	global_load_b64 v[11:12], v[11:12], off
	s_waitcnt vmcnt(0)
	v_mul_f64 v[11:12], v[3:4], v[11:12]
	s_branch .LBB199_14
.LBB199_13:                             ;   in Loop: Header=BB199_14 Depth=2
	s_or_b32 exec_lo, exec_lo, s34
	v_add_co_u32 v9, vcc_lo, v9, 16
	v_add_co_ci_u32_e32 v10, vcc_lo, 0, v10, vcc_lo
	s_delay_alu instid0(VALU_DEP_1) | instskip(SKIP_1) | instid1(SALU_CYCLE_1)
	v_cmp_ge_i64_e32 vcc_lo, v[9:10], v[7:8]
	s_or_b32 s17, vcc_lo, s17
	s_and_not1_b32 exec_lo, exec_lo, s17
	s_cbranch_execz .LBB199_10
.LBB199_14:                             ;   Parent Loop BB199_11 Depth=1
                                        ; =>  This Loop Header: Depth=2
                                        ;       Child Loop BB199_16 Depth 3
                                        ;         Child Loop BB199_22 Depth 4
                                        ;         Child Loop BB199_28 Depth 4
	v_lshlrev_b64 v[13:14], 3, v[9:10]
	v_lshlrev_b64 v[15:16], 2, v[9:10]
	s_mov_b32 s34, 0
	s_delay_alu instid0(VALU_DEP_2) | instskip(NEXT) | instid1(VALU_DEP_3)
	v_add_co_u32 v13, vcc_lo, s38, v13
	v_add_co_ci_u32_e32 v14, vcc_lo, s39, v14, vcc_lo
	s_delay_alu instid0(VALU_DEP_3) | instskip(NEXT) | instid1(VALU_DEP_4)
	v_add_co_u32 v15, vcc_lo, s36, v15
	v_add_co_ci_u32_e32 v16, vcc_lo, s37, v16, vcc_lo
	global_load_b64 v[13:14], v[13:14], off
	global_load_b32 v15, v[15:16], off
	s_waitcnt vmcnt(1)
	v_mul_f64 v[13:14], v[11:12], v[13:14]
	s_waitcnt vmcnt(0)
	v_subrev_nc_u32_e32 v22, s25, v15
	s_delay_alu instid0(VALU_DEP_1) | instskip(NEXT) | instid1(VALU_DEP_1)
	v_mul_lo_u32 v15, 0x89, v22
	v_and_b32_e32 v23, 0xff, v15
	s_branch .LBB199_16
.LBB199_15:                             ;   in Loop: Header=BB199_16 Depth=3
	s_or_b32 exec_lo, exec_lo, s35
	s_xor_b32 s35, s40, -1
	s_delay_alu instid0(SALU_CYCLE_1) | instskip(NEXT) | instid1(SALU_CYCLE_1)
	s_and_b32 s35, exec_lo, s35
	s_or_b32 s34, s35, s34
	s_delay_alu instid0(SALU_CYCLE_1)
	s_and_not1_b32 exec_lo, exec_lo, s34
	s_cbranch_execz .LBB199_13
.LBB199_16:                             ;   Parent Loop BB199_11 Depth=1
                                        ;     Parent Loop BB199_14 Depth=2
                                        ; =>    This Loop Header: Depth=3
                                        ;         Child Loop BB199_22 Depth 4
                                        ;         Child Loop BB199_28 Depth 4
	s_delay_alu instid0(VALU_DEP_1)
	v_lshl_add_u32 v15, v23, 2, 0
	s_mov_b32 s35, exec_lo
                                        ; implicit-def: $sgpr40
	ds_load_b32 v16, v15
	s_waitcnt lgkmcnt(0)
	v_cmpx_ne_u32_e64 v16, v22
	s_xor_b32 s35, exec_lo, s35
	s_cbranch_execz .LBB199_26
; %bb.17:                               ;   in Loop: Header=BB199_16 Depth=3
	s_mov_b32 s41, exec_lo
                                        ; implicit-def: $sgpr40
	v_cmpx_ne_u32_e64 s14, v16
	s_xor_b32 s41, exec_lo, s41
; %bb.18:                               ;   in Loop: Header=BB199_16 Depth=3
	v_add_nc_u32_e32 v15, 1, v23
	s_mov_b32 s40, -1
	s_delay_alu instid0(VALU_DEP_1)
	v_and_b32_e32 v23, 0xff, v15
                                        ; implicit-def: $vgpr15
; %bb.19:                               ;   in Loop: Header=BB199_16 Depth=3
	s_and_not1_saveexec_b32 s41, s41
	s_cbranch_execz .LBB199_25
; %bb.20:                               ;   in Loop: Header=BB199_16 Depth=3
	v_mov_b32_e32 v16, s14
	s_mov_b32 s43, -1
	s_mov_b32 s42, exec_lo
	ds_cmpstore_rtn_b32 v16, v15, v22, v16
	s_waitcnt lgkmcnt(0)
	v_cmpx_eq_u32_e64 s14, v16
	s_cbranch_execz .LBB199_24
; %bb.21:                               ;   in Loop: Header=BB199_16 Depth=3
	v_lshlrev_b32_e32 v16, 2, v23
	s_mov_b32 s43, 0
	s_delay_alu instid0(VALU_DEP_1)
	v_add_nc_u32_e32 v24, v15, v16
	ds_load_b64 v[15:16], v24 offset:1024
.LBB199_22:                             ;   Parent Loop BB199_11 Depth=1
                                        ;     Parent Loop BB199_14 Depth=2
                                        ;       Parent Loop BB199_16 Depth=3
                                        ; =>      This Inner Loop Header: Depth=4
	s_waitcnt lgkmcnt(0)
	v_add_f64 v[25:26], v[15:16], v[13:14]
	ds_cmpstore_rtn_b64 v[25:26], v24, v[25:26], v[15:16] offset:1024
	s_waitcnt lgkmcnt(0)
	v_cmp_eq_u64_e32 vcc_lo, v[25:26], v[15:16]
	v_dual_mov_b32 v15, v25 :: v_dual_mov_b32 v16, v26
	s_or_b32 s43, vcc_lo, s43
	s_delay_alu instid0(SALU_CYCLE_1)
	s_and_not1_b32 exec_lo, exec_lo, s43
	s_cbranch_execnz .LBB199_22
; %bb.23:                               ;   in Loop: Header=BB199_16 Depth=3
	s_or_b32 exec_lo, exec_lo, s43
	s_delay_alu instid0(SALU_CYCLE_1)
	s_xor_b32 s43, exec_lo, -1
.LBB199_24:                             ;   in Loop: Header=BB199_16 Depth=3
	s_or_b32 exec_lo, exec_lo, s42
	s_delay_alu instid0(SALU_CYCLE_1) | instskip(SKIP_1) | instid1(SALU_CYCLE_1)
	s_and_not1_b32 s40, s40, exec_lo
	s_and_b32 s42, s43, exec_lo
	s_or_b32 s40, s40, s42
.LBB199_25:                             ;   in Loop: Header=BB199_16 Depth=3
	s_or_b32 exec_lo, exec_lo, s41
	s_delay_alu instid0(SALU_CYCLE_1)
	s_and_b32 s40, s40, exec_lo
                                        ; implicit-def: $vgpr15
.LBB199_26:                             ;   in Loop: Header=BB199_16 Depth=3
	s_and_not1_saveexec_b32 s35, s35
	s_cbranch_execz .LBB199_15
; %bb.27:                               ;   in Loop: Header=BB199_16 Depth=3
	v_lshlrev_b32_e32 v16, 2, v23
	s_mov_b32 s41, 0
	s_delay_alu instid0(VALU_DEP_1)
	v_add_nc_u32_e32 v24, v15, v16
	ds_load_b64 v[15:16], v24 offset:1024
.LBB199_28:                             ;   Parent Loop BB199_11 Depth=1
                                        ;     Parent Loop BB199_14 Depth=2
                                        ;       Parent Loop BB199_16 Depth=3
                                        ; =>      This Inner Loop Header: Depth=4
	s_waitcnt lgkmcnt(0)
	v_add_f64 v[25:26], v[15:16], v[13:14]
	ds_cmpstore_rtn_b64 v[25:26], v24, v[25:26], v[15:16] offset:1024
	s_waitcnt lgkmcnt(0)
	v_cmp_eq_u64_e32 vcc_lo, v[25:26], v[15:16]
	v_dual_mov_b32 v15, v25 :: v_dual_mov_b32 v16, v26
	s_or_b32 s41, vcc_lo, s41
	s_delay_alu instid0(SALU_CYCLE_1)
	s_and_not1_b32 exec_lo, exec_lo, s41
	s_cbranch_execnz .LBB199_28
; %bb.29:                               ;   in Loop: Header=BB199_16 Depth=3
	s_or_b32 exec_lo, exec_lo, s41
	s_delay_alu instid0(SALU_CYCLE_1)
	s_and_not1_b32 s40, s40, exec_lo
	s_branch .LBB199_15
.LBB199_30:
	s_or_b32 exec_lo, exec_lo, s1
.LBB199_31:
	s_delay_alu instid0(SALU_CYCLE_1)
	s_and_not1_b32 vcc_lo, exec_lo, s33
	s_cbranch_vccnz .LBB199_34
; %bb.32:
	s_waitcnt lgkmcnt(0)
	s_ashr_i32 s13, s12, 31
	v_sub_co_u32 v3, s1, v0, s27
	s_lshl_b64 s[2:3], s[12:13], 3
	v_sub_co_ci_u32_e64 v4, null, 0, 0, s1
	s_add_u32 s2, s4, s2
	s_addc_u32 s3, s5, s3
	s_mov_b32 s4, 0
	s_load_b128 s[16:19], s[2:3], 0x0
	s_mov_b32 s1, exec_lo
	s_waitcnt lgkmcnt(0)
	v_add_co_u32 v3, vcc_lo, s16, v3
	v_add_co_ci_u32_e32 v4, vcc_lo, s17, v4, vcc_lo
	s_sub_u32 s2, s18, s27
	s_subb_u32 s3, s19, 0
	s_delay_alu instid0(VALU_DEP_1) | instid1(SALU_CYCLE_1)
	v_cmpx_gt_i64_e64 s[2:3], v[3:4]
	s_cbranch_execnz .LBB199_48
.LBB199_33:
	s_or_b32 exec_lo, exec_lo, s1
.LBB199_34:
	s_waitcnt lgkmcnt(0)
	s_barrier
	buffer_gl0_inv
	s_and_saveexec_b32 s4, s0
	s_cbranch_execz .LBB199_64
; %bb.35:
	v_mbcnt_lo_u32_b32 v1, -1, 0
	v_lshrrev_b32_e32 v2, 3, v0
	v_cmp_eq_u32_e32 vcc_lo, 0x7f, v0
	v_cmp_lt_u32_e64 s0, 31, v0
	v_cmp_lt_u32_e64 s1, 63, v0
	v_xor_b32_e32 v1, 63, v1
	v_dual_mov_b32 v6, 0 :: v_dual_and_b32 v3, 12, v2
	v_cmp_lt_u32_e64 s2, 0x5f, v0
	v_add3_u32 v4, v19, 0, 0x400
	s_delay_alu instid0(VALU_DEP_4) | instskip(NEXT) | instid1(VALU_DEP_4)
	v_lshrrev_b64 v[1:2], v1, -1
	v_add_nc_u32_e32 v5, 0, v3
	v_mov_b32_e32 v7, 0
	s_mov_b32 s5, 0
	s_branch .LBB199_37
.LBB199_36:                             ;   in Loop: Header=BB199_37 Depth=1
	s_or_b32 exec_lo, exec_lo, s3
	s_waitcnt lgkmcnt(0)
	s_barrier
	buffer_gl0_inv
	ds_load_b32 v2, v6 offset:3084
	v_add_co_u32 v17, s3, 0x80, v17
	s_delay_alu instid0(VALU_DEP_1) | instskip(SKIP_3) | instid1(SALU_CYCLE_1)
	s_xor_b32 s3, s3, -1
	v_add_nc_u32_e32 v4, 0x400, v4
	v_add_nc_u32_e32 v18, 0x200, v18
	s_and_b32 s3, exec_lo, s3
	s_or_b32 s5, s3, s5
	s_waitcnt lgkmcnt(0)
	v_add_nc_u32_e32 v7, v2, v7
	s_and_not1_b32 exec_lo, exec_lo, s5
	s_cbranch_execz .LBB199_64
.LBB199_37:                             ; =>This Inner Loop Header: Depth=1
	ds_load_b32 v8, v18
	ds_load_b64 v[2:3], v4
	s_waitcnt lgkmcnt(0)
	s_barrier
	buffer_gl0_inv
	v_cmp_gt_i32_e64 s3, s14, v8
	s_delay_alu instid0(VALU_DEP_1) | instskip(NEXT) | instid1(SALU_CYCLE_1)
	s_bcnt1_i32_b32 s6, s3
	v_dual_mov_b32 v10, s6 :: v_dual_and_b32 v9, s3, v1
	s_delay_alu instid0(VALU_DEP_1)
	v_bcnt_u32_b32 v9, v9, 0
	ds_store_b32 v5, v10 offset:3072
	s_waitcnt lgkmcnt(0)
	s_barrier
	buffer_gl0_inv
	s_and_saveexec_b32 s6, s0
	s_cbranch_execnz .LBB199_42
; %bb.38:                               ;   in Loop: Header=BB199_37 Depth=1
	s_or_b32 exec_lo, exec_lo, s6
	s_and_saveexec_b32 s6, s1
	s_cbranch_execnz .LBB199_43
.LBB199_39:                             ;   in Loop: Header=BB199_37 Depth=1
	s_or_b32 exec_lo, exec_lo, s6
	s_and_saveexec_b32 s6, s2
	s_cbranch_execnz .LBB199_44
.LBB199_40:                             ;   in Loop: Header=BB199_37 Depth=1
	s_or_b32 exec_lo, exec_lo, s6
	s_and_saveexec_b32 s6, s3
	s_cbranch_execnz .LBB199_45
.LBB199_41:                             ;   in Loop: Header=BB199_37 Depth=1
	s_or_b32 exec_lo, exec_lo, s6
	s_and_saveexec_b32 s3, vcc_lo
	s_cbranch_execz .LBB199_36
	s_branch .LBB199_46
.LBB199_42:                             ;   in Loop: Header=BB199_37 Depth=1
	ds_load_b32 v10, v6 offset:3072
	s_waitcnt lgkmcnt(0)
	v_add_nc_u32_e32 v9, v10, v9
	s_or_b32 exec_lo, exec_lo, s6
	s_and_saveexec_b32 s6, s1
	s_cbranch_execz .LBB199_39
.LBB199_43:                             ;   in Loop: Header=BB199_37 Depth=1
	ds_load_b32 v10, v6 offset:3076
	s_waitcnt lgkmcnt(0)
	v_add_nc_u32_e32 v9, v10, v9
	s_or_b32 exec_lo, exec_lo, s6
	s_and_saveexec_b32 s6, s2
	s_cbranch_execz .LBB199_40
.LBB199_44:                             ;   in Loop: Header=BB199_37 Depth=1
	ds_load_b32 v10, v6 offset:3080
	s_waitcnt lgkmcnt(0)
	v_add_nc_u32_e32 v9, v10, v9
	s_or_b32 exec_lo, exec_lo, s6
	s_and_saveexec_b32 s6, s3
	s_cbranch_execz .LBB199_41
.LBB199_45:                             ;   in Loop: Header=BB199_37 Depth=1
	s_delay_alu instid0(VALU_DEP_1) | instskip(NEXT) | instid1(VALU_DEP_1)
	v_add3_u32 v10, v7, -1, v9
	v_lshl_add_u32 v11, v10, 2, 0
	v_lshl_add_u32 v10, v10, 3, 0
	ds_store_b32 v11, v8
	ds_store_b64 v10, v[2:3] offset:1024
	s_or_b32 exec_lo, exec_lo, s6
	s_and_saveexec_b32 s3, vcc_lo
	s_cbranch_execz .LBB199_36
.LBB199_46:                             ;   in Loop: Header=BB199_37 Depth=1
	ds_store_b32 v6, v9 offset:3084
	s_branch .LBB199_36
.LBB199_47:                             ;   in Loop: Header=BB199_48 Depth=1
	s_or_b32 exec_lo, exec_lo, s5
	v_add_co_u32 v3, vcc_lo, 0x80, v3
	v_add_co_ci_u32_e32 v4, vcc_lo, 0, v4, vcc_lo
	s_delay_alu instid0(VALU_DEP_1) | instskip(SKIP_1) | instid1(SALU_CYCLE_1)
	v_cmp_le_i64_e32 vcc_lo, s[2:3], v[3:4]
	s_or_b32 s4, vcc_lo, s4
	s_and_not1_b32 exec_lo, exec_lo, s4
	s_cbranch_execz .LBB199_33
.LBB199_48:                             ; =>This Loop Header: Depth=1
                                        ;     Child Loop BB199_50 Depth 2
                                        ;       Child Loop BB199_56 Depth 3
                                        ;       Child Loop BB199_62 Depth 3
	v_lshlrev_b64 v[5:6], 3, v[3:4]
	v_lshlrev_b64 v[7:8], 2, v[3:4]
	s_mov_b32 s5, 0
	s_delay_alu instid0(VALU_DEP_2) | instskip(NEXT) | instid1(VALU_DEP_3)
	v_add_co_u32 v5, vcc_lo, s8, v5
	v_add_co_ci_u32_e32 v6, vcc_lo, s9, v6, vcc_lo
	s_delay_alu instid0(VALU_DEP_3) | instskip(NEXT) | instid1(VALU_DEP_4)
	v_add_co_u32 v7, vcc_lo, s6, v7
	v_add_co_ci_u32_e32 v8, vcc_lo, s7, v8, vcc_lo
	global_load_b64 v[5:6], v[5:6], off
	global_load_b32 v7, v[7:8], off
	s_waitcnt vmcnt(1)
	v_mul_f64 v[5:6], v[1:2], v[5:6]
	s_waitcnt vmcnt(0)
	v_subrev_nc_u32_e32 v9, s27, v7
	s_delay_alu instid0(VALU_DEP_1) | instskip(NEXT) | instid1(VALU_DEP_1)
	v_mul_lo_u32 v7, 0x89, v9
	v_and_b32_e32 v10, 0xff, v7
	s_branch .LBB199_50
.LBB199_49:                             ;   in Loop: Header=BB199_50 Depth=2
	s_or_b32 exec_lo, exec_lo, s13
	s_xor_b32 s13, s15, -1
	s_delay_alu instid0(SALU_CYCLE_1) | instskip(NEXT) | instid1(SALU_CYCLE_1)
	s_and_b32 s13, exec_lo, s13
	s_or_b32 s5, s13, s5
	s_delay_alu instid0(SALU_CYCLE_1)
	s_and_not1_b32 exec_lo, exec_lo, s5
	s_cbranch_execz .LBB199_47
.LBB199_50:                             ;   Parent Loop BB199_48 Depth=1
                                        ; =>  This Loop Header: Depth=2
                                        ;       Child Loop BB199_56 Depth 3
                                        ;       Child Loop BB199_62 Depth 3
	s_delay_alu instid0(VALU_DEP_1)
	v_lshl_add_u32 v7, v10, 2, 0
	s_mov_b32 s13, exec_lo
                                        ; implicit-def: $sgpr15
	ds_load_b32 v8, v7
	s_waitcnt lgkmcnt(0)
	v_cmpx_ne_u32_e64 v8, v9
	s_xor_b32 s13, exec_lo, s13
	s_cbranch_execz .LBB199_60
; %bb.51:                               ;   in Loop: Header=BB199_50 Depth=2
	s_mov_b32 s16, exec_lo
                                        ; implicit-def: $sgpr15
	v_cmpx_ne_u32_e64 s14, v8
	s_xor_b32 s16, exec_lo, s16
; %bb.52:                               ;   in Loop: Header=BB199_50 Depth=2
	v_add_nc_u32_e32 v7, 1, v10
	s_mov_b32 s15, -1
	s_delay_alu instid0(VALU_DEP_1)
	v_and_b32_e32 v10, 0xff, v7
                                        ; implicit-def: $vgpr7
; %bb.53:                               ;   in Loop: Header=BB199_50 Depth=2
	s_and_not1_saveexec_b32 s16, s16
	s_cbranch_execz .LBB199_59
; %bb.54:                               ;   in Loop: Header=BB199_50 Depth=2
	v_mov_b32_e32 v8, s14
	s_mov_b32 s18, -1
	s_mov_b32 s17, exec_lo
	ds_cmpstore_rtn_b32 v8, v7, v9, v8
	s_waitcnt lgkmcnt(0)
	v_cmpx_eq_u32_e64 s14, v8
	s_cbranch_execz .LBB199_58
; %bb.55:                               ;   in Loop: Header=BB199_50 Depth=2
	v_lshlrev_b32_e32 v8, 2, v10
	s_mov_b32 s18, 0
	s_delay_alu instid0(VALU_DEP_1)
	v_add_nc_u32_e32 v11, v7, v8
	ds_load_b64 v[7:8], v11 offset:1024
.LBB199_56:                             ;   Parent Loop BB199_48 Depth=1
                                        ;     Parent Loop BB199_50 Depth=2
                                        ; =>    This Inner Loop Header: Depth=3
	s_waitcnt lgkmcnt(0)
	v_add_f64 v[12:13], v[7:8], v[5:6]
	ds_cmpstore_rtn_b64 v[12:13], v11, v[12:13], v[7:8] offset:1024
	s_waitcnt lgkmcnt(0)
	v_cmp_eq_u64_e32 vcc_lo, v[12:13], v[7:8]
	v_dual_mov_b32 v7, v12 :: v_dual_mov_b32 v8, v13
	s_or_b32 s18, vcc_lo, s18
	s_delay_alu instid0(SALU_CYCLE_1)
	s_and_not1_b32 exec_lo, exec_lo, s18
	s_cbranch_execnz .LBB199_56
; %bb.57:                               ;   in Loop: Header=BB199_50 Depth=2
	s_or_b32 exec_lo, exec_lo, s18
	s_delay_alu instid0(SALU_CYCLE_1)
	s_xor_b32 s18, exec_lo, -1
.LBB199_58:                             ;   in Loop: Header=BB199_50 Depth=2
	s_or_b32 exec_lo, exec_lo, s17
	s_delay_alu instid0(SALU_CYCLE_1) | instskip(SKIP_1) | instid1(SALU_CYCLE_1)
	s_and_not1_b32 s15, s15, exec_lo
	s_and_b32 s17, s18, exec_lo
	s_or_b32 s15, s15, s17
.LBB199_59:                             ;   in Loop: Header=BB199_50 Depth=2
	s_or_b32 exec_lo, exec_lo, s16
	s_delay_alu instid0(SALU_CYCLE_1)
	s_and_b32 s15, s15, exec_lo
                                        ; implicit-def: $vgpr7
.LBB199_60:                             ;   in Loop: Header=BB199_50 Depth=2
	s_and_not1_saveexec_b32 s13, s13
	s_cbranch_execz .LBB199_49
; %bb.61:                               ;   in Loop: Header=BB199_50 Depth=2
	v_lshlrev_b32_e32 v8, 2, v10
	s_mov_b32 s16, 0
	s_delay_alu instid0(VALU_DEP_1)
	v_add_nc_u32_e32 v11, v7, v8
	ds_load_b64 v[7:8], v11 offset:1024
.LBB199_62:                             ;   Parent Loop BB199_48 Depth=1
                                        ;     Parent Loop BB199_50 Depth=2
                                        ; =>    This Inner Loop Header: Depth=3
	s_waitcnt lgkmcnt(0)
	v_add_f64 v[12:13], v[7:8], v[5:6]
	ds_cmpstore_rtn_b64 v[12:13], v11, v[12:13], v[7:8] offset:1024
	s_waitcnt lgkmcnt(0)
	v_cmp_eq_u64_e32 vcc_lo, v[12:13], v[7:8]
	v_dual_mov_b32 v7, v12 :: v_dual_mov_b32 v8, v13
	s_or_b32 s16, vcc_lo, s16
	s_delay_alu instid0(SALU_CYCLE_1)
	s_and_not1_b32 exec_lo, exec_lo, s16
	s_cbranch_execnz .LBB199_62
; %bb.63:                               ;   in Loop: Header=BB199_50 Depth=2
	s_or_b32 exec_lo, exec_lo, s16
	s_delay_alu instid0(SALU_CYCLE_1)
	s_and_not1_b32 s15, s15, exec_lo
	s_branch .LBB199_49
.LBB199_64:
	s_or_b32 exec_lo, exec_lo, s4
	s_ashr_i32 s13, s12, 31
	s_mov_b32 s4, exec_lo
	s_lshl_b64 s[0:1], s[12:13], 3
	s_delay_alu instid0(SALU_CYCLE_1) | instskip(SKIP_4) | instid1(SALU_CYCLE_1)
	s_add_u32 s0, s10, s0
	s_addc_u32 s1, s11, s1
	s_load_b128 s[0:3], s[0:1], 0x0
	s_waitcnt lgkmcnt(0)
	s_sub_i32 s3, s2, s0
	v_cmpx_gt_i32_e64 s3, v0
	s_cbranch_execz .LBB199_74
; %bb.65:
	s_sub_u32 s4, s0, s26
	s_subb_u32 s5, s1, 0
	s_sub_i32 s0, s0, s2
	s_and_b32 s1, s3, 7
	s_cmp_lt_u32 s0, -7
	s_mov_b32 s8, 0
	s_cselect_b32 s2, -1, 0
	s_and_b32 s6, s3, -8
	s_cmp_lg_u32 s1, 0
	s_cselect_b32 s7, -1, 0
	s_branch .LBB199_67
.LBB199_66:                             ;   in Loop: Header=BB199_67 Depth=1
	s_delay_alu instid0(VALU_DEP_1) | instskip(SKIP_4) | instid1(VALU_DEP_4)
	v_lshlrev_b64 v[6:7], 2, v[3:4]
	v_lshlrev_b64 v[3:4], 3, v[3:4]
	v_add_nc_u32_e32 v0, 0x80, v0
	s_waitcnt lgkmcnt(1)
	v_add_nc_u32_e32 v8, s26, v5
	v_add_co_u32 v5, vcc_lo, s28, v6
	v_add_co_ci_u32_e32 v6, vcc_lo, s29, v7, vcc_lo
	v_cmp_le_i32_e32 vcc_lo, s3, v0
	v_add_co_u32 v3, s0, s30, v3
	s_delay_alu instid0(VALU_DEP_1)
	v_add_co_ci_u32_e64 v4, s0, s31, v4, s0
	s_or_b32 s8, vcc_lo, s8
	global_store_b32 v[5:6], v8, off
	s_waitcnt lgkmcnt(0)
	global_store_b64 v[3:4], v[1:2], off
	s_and_not1_b32 exec_lo, exec_lo, s8
	s_cbranch_execz .LBB199_74
.LBB199_67:                             ; =>This Loop Header: Depth=1
                                        ;     Child Loop BB199_69 Depth 2
                                        ;     Child Loop BB199_73 Depth 2
	v_lshlrev_b32_e32 v1, 2, v0
	v_dual_mov_b32 v3, s4 :: v_dual_mov_b32 v4, s5
	s_and_not1_b32 vcc_lo, exec_lo, s2
	s_mov_b32 s0, 0
	s_delay_alu instid0(VALU_DEP_2) | instskip(NEXT) | instid1(VALU_DEP_1)
	v_add_nc_u32_e32 v2, 0, v1
	v_add_nc_u32_e32 v1, v2, v1
	ds_load_b32 v5, v2
	ds_load_b64 v[1:2], v1 offset:1024
	s_cbranch_vccnz .LBB199_71
; %bb.68:                               ;   in Loop: Header=BB199_67 Depth=1
	v_dual_mov_b32 v3, s4 :: v_dual_mov_b32 v4, s5
	s_mov_b32 s9, 0
	s_mov_b32 s10, 0
.LBB199_69:                             ;   Parent Loop BB199_67 Depth=1
                                        ; =>  This Inner Loop Header: Depth=2
	s_delay_alu instid0(SALU_CYCLE_1)
	v_mov_b32_e32 v12, s10
	s_add_i32 s9, s9, 8
	s_add_i32 s10, s10, 32
	s_cmp_eq_u32 s6, s9
	ds_load_2addr_b32 v[6:7], v12 offset1:1
	ds_load_2addr_b32 v[8:9], v12 offset0:2 offset1:3
	ds_load_2addr_b32 v[10:11], v12 offset0:4 offset1:5
	;; [unrolled: 1-line block ×3, first 2 shown]
	s_waitcnt lgkmcnt(3)
	v_cmp_gt_i32_e32 vcc_lo, v5, v6
	v_cndmask_b32_e64 v6, 0, 1, vcc_lo
	v_cmp_gt_i32_e32 vcc_lo, v5, v7
	v_cndmask_b32_e64 v7, 0, 1, vcc_lo
	s_waitcnt lgkmcnt(2)
	v_cmp_gt_i32_e32 vcc_lo, v5, v8
	v_cndmask_b32_e64 v8, 0, 1, vcc_lo
	v_cmp_gt_i32_e32 vcc_lo, v5, v9
	v_cndmask_b32_e64 v9, 0, 1, vcc_lo
	s_waitcnt lgkmcnt(1)
	v_cmp_gt_i32_e32 vcc_lo, v5, v10
	v_cndmask_b32_e64 v10, 0, 1, vcc_lo
	v_add_co_u32 v3, vcc_lo, v3, v6
	v_add_co_ci_u32_e32 v4, vcc_lo, 0, v4, vcc_lo
	v_cmp_gt_i32_e32 vcc_lo, v5, v11
	s_delay_alu instid0(VALU_DEP_3) | instskip(NEXT) | instid1(VALU_DEP_1)
	v_add_co_u32 v3, s0, v3, v7
	v_add_co_ci_u32_e64 v4, s0, 0, v4, s0
	v_cndmask_b32_e64 v6, 0, 1, vcc_lo
	s_delay_alu instid0(VALU_DEP_3) | instskip(NEXT) | instid1(VALU_DEP_3)
	v_add_co_u32 v3, vcc_lo, v3, v8
	v_add_co_ci_u32_e32 v4, vcc_lo, 0, v4, vcc_lo
	s_waitcnt lgkmcnt(0)
	v_cmp_gt_i32_e32 vcc_lo, v5, v12
	s_delay_alu instid0(VALU_DEP_3) | instskip(NEXT) | instid1(VALU_DEP_1)
	v_add_co_u32 v3, s0, v3, v9
	v_add_co_ci_u32_e64 v4, s0, 0, v4, s0
	v_cndmask_b32_e64 v7, 0, 1, vcc_lo
	s_delay_alu instid0(VALU_DEP_3) | instskip(NEXT) | instid1(VALU_DEP_3)
	v_add_co_u32 v3, vcc_lo, v3, v10
	v_add_co_ci_u32_e32 v4, vcc_lo, 0, v4, vcc_lo
	v_cmp_gt_i32_e32 vcc_lo, v5, v13
	s_delay_alu instid0(VALU_DEP_3) | instskip(NEXT) | instid1(VALU_DEP_1)
	v_add_co_u32 v3, s0, v3, v6
	v_add_co_ci_u32_e64 v4, s0, 0, v4, s0
	v_cndmask_b32_e64 v6, 0, 1, vcc_lo
	s_delay_alu instid0(VALU_DEP_3) | instskip(NEXT) | instid1(VALU_DEP_3)
	v_add_co_u32 v3, vcc_lo, v3, v7
	v_add_co_ci_u32_e32 v4, vcc_lo, 0, v4, vcc_lo
	s_delay_alu instid0(VALU_DEP_2) | instskip(NEXT) | instid1(VALU_DEP_2)
	v_add_co_u32 v3, vcc_lo, v3, v6
	v_add_co_ci_u32_e32 v4, vcc_lo, 0, v4, vcc_lo
	s_cbranch_scc0 .LBB199_69
; %bb.70:                               ;   in Loop: Header=BB199_67 Depth=1
	s_mov_b32 s0, s6
.LBB199_71:                             ;   in Loop: Header=BB199_67 Depth=1
	s_and_not1_b32 vcc_lo, exec_lo, s7
	s_cbranch_vccnz .LBB199_66
; %bb.72:                               ;   in Loop: Header=BB199_67 Depth=1
	s_lshl_b32 s0, s0, 2
	s_mov_b32 s9, s1
	s_add_i32 s0, s0, 0
.LBB199_73:                             ;   Parent Loop BB199_67 Depth=1
                                        ; =>  This Inner Loop Header: Depth=2
	s_delay_alu instid0(SALU_CYCLE_1)
	v_mov_b32_e32 v6, s0
	s_add_i32 s9, s9, -1
	s_add_i32 s0, s0, 4
	s_cmp_lg_u32 s9, 0
	ds_load_b32 v6, v6
	s_waitcnt lgkmcnt(0)
	v_cmp_gt_i32_e32 vcc_lo, v5, v6
	v_cndmask_b32_e64 v6, 0, 1, vcc_lo
	s_delay_alu instid0(VALU_DEP_1)
	v_add_co_u32 v3, vcc_lo, v3, v6
	v_add_co_ci_u32_e32 v4, vcc_lo, 0, v4, vcc_lo
	s_cbranch_scc1 .LBB199_73
	s_branch .LBB199_66
.LBB199_74:
	s_nop 0
	s_sendmsg sendmsg(MSG_DEALLOC_VGPRS)
	s_endpgm
	.section	.rodata,"a",@progbits
	.p2align	6, 0x0
	.amdhsa_kernel _ZN9rocsparseL26csrgemm_fill_block_per_rowILj128ELj16ELj256ELj137ELj32ElidEEvT5_PKS1_S3_NS_24const_host_device_scalarIT6_EEPKT4_S3_PKS5_S9_S3_SB_S6_S9_S3_SB_S9_PS1_PS5_21rocsparse_index_base_SE_SE_SE_bbb
		.amdhsa_group_segment_fixed_size 0
		.amdhsa_private_segment_fixed_size 0
		.amdhsa_kernarg_size 156
		.amdhsa_user_sgpr_count 15
		.amdhsa_user_sgpr_dispatch_ptr 0
		.amdhsa_user_sgpr_queue_ptr 0
		.amdhsa_user_sgpr_kernarg_segment_ptr 1
		.amdhsa_user_sgpr_dispatch_id 0
		.amdhsa_user_sgpr_private_segment_size 0
		.amdhsa_wavefront_size32 1
		.amdhsa_uses_dynamic_stack 0
		.amdhsa_enable_private_segment 0
		.amdhsa_system_sgpr_workgroup_id_x 1
		.amdhsa_system_sgpr_workgroup_id_y 0
		.amdhsa_system_sgpr_workgroup_id_z 0
		.amdhsa_system_sgpr_workgroup_info 0
		.amdhsa_system_vgpr_workitem_id 0
		.amdhsa_next_free_vgpr 27
		.amdhsa_next_free_sgpr 44
		.amdhsa_reserve_vcc 1
		.amdhsa_float_round_mode_32 0
		.amdhsa_float_round_mode_16_64 0
		.amdhsa_float_denorm_mode_32 3
		.amdhsa_float_denorm_mode_16_64 3
		.amdhsa_dx10_clamp 1
		.amdhsa_ieee_mode 1
		.amdhsa_fp16_overflow 0
		.amdhsa_workgroup_processor_mode 1
		.amdhsa_memory_ordered 1
		.amdhsa_forward_progress 0
		.amdhsa_shared_vgpr_count 0
		.amdhsa_exception_fp_ieee_invalid_op 0
		.amdhsa_exception_fp_denorm_src 0
		.amdhsa_exception_fp_ieee_div_zero 0
		.amdhsa_exception_fp_ieee_overflow 0
		.amdhsa_exception_fp_ieee_underflow 0
		.amdhsa_exception_fp_ieee_inexact 0
		.amdhsa_exception_int_div_zero 0
	.end_amdhsa_kernel
	.section	.text._ZN9rocsparseL26csrgemm_fill_block_per_rowILj128ELj16ELj256ELj137ELj32ElidEEvT5_PKS1_S3_NS_24const_host_device_scalarIT6_EEPKT4_S3_PKS5_S9_S3_SB_S6_S9_S3_SB_S9_PS1_PS5_21rocsparse_index_base_SE_SE_SE_bbb,"axG",@progbits,_ZN9rocsparseL26csrgemm_fill_block_per_rowILj128ELj16ELj256ELj137ELj32ElidEEvT5_PKS1_S3_NS_24const_host_device_scalarIT6_EEPKT4_S3_PKS5_S9_S3_SB_S6_S9_S3_SB_S9_PS1_PS5_21rocsparse_index_base_SE_SE_SE_bbb,comdat
.Lfunc_end199:
	.size	_ZN9rocsparseL26csrgemm_fill_block_per_rowILj128ELj16ELj256ELj137ELj32ElidEEvT5_PKS1_S3_NS_24const_host_device_scalarIT6_EEPKT4_S3_PKS5_S9_S3_SB_S6_S9_S3_SB_S9_PS1_PS5_21rocsparse_index_base_SE_SE_SE_bbb, .Lfunc_end199-_ZN9rocsparseL26csrgemm_fill_block_per_rowILj128ELj16ELj256ELj137ELj32ElidEEvT5_PKS1_S3_NS_24const_host_device_scalarIT6_EEPKT4_S3_PKS5_S9_S3_SB_S6_S9_S3_SB_S9_PS1_PS5_21rocsparse_index_base_SE_SE_SE_bbb
                                        ; -- End function
	.section	.AMDGPU.csdata,"",@progbits
; Kernel info:
; codeLenInByte = 3200
; NumSgprs: 46
; NumVgprs: 27
; ScratchSize: 0
; MemoryBound: 0
; FloatMode: 240
; IeeeMode: 1
; LDSByteSize: 0 bytes/workgroup (compile time only)
; SGPRBlocks: 5
; VGPRBlocks: 3
; NumSGPRsForWavesPerEU: 46
; NumVGPRsForWavesPerEU: 27
; Occupancy: 16
; WaveLimiterHint : 1
; COMPUTE_PGM_RSRC2:SCRATCH_EN: 0
; COMPUTE_PGM_RSRC2:USER_SGPR: 15
; COMPUTE_PGM_RSRC2:TRAP_HANDLER: 0
; COMPUTE_PGM_RSRC2:TGID_X_EN: 1
; COMPUTE_PGM_RSRC2:TGID_Y_EN: 0
; COMPUTE_PGM_RSRC2:TGID_Z_EN: 0
; COMPUTE_PGM_RSRC2:TIDIG_COMP_CNT: 0
	.section	.text._ZN9rocsparseL26csrgemm_fill_block_per_rowILj128ELj16ELj256ELj137ELj64ElidEEvT5_PKS1_S3_NS_24const_host_device_scalarIT6_EEPKT4_S3_PKS5_S9_S3_SB_S6_S9_S3_SB_S9_PS1_PS5_21rocsparse_index_base_SE_SE_SE_bbb,"axG",@progbits,_ZN9rocsparseL26csrgemm_fill_block_per_rowILj128ELj16ELj256ELj137ELj64ElidEEvT5_PKS1_S3_NS_24const_host_device_scalarIT6_EEPKT4_S3_PKS5_S9_S3_SB_S6_S9_S3_SB_S9_PS1_PS5_21rocsparse_index_base_SE_SE_SE_bbb,comdat
	.globl	_ZN9rocsparseL26csrgemm_fill_block_per_rowILj128ELj16ELj256ELj137ELj64ElidEEvT5_PKS1_S3_NS_24const_host_device_scalarIT6_EEPKT4_S3_PKS5_S9_S3_SB_S6_S9_S3_SB_S9_PS1_PS5_21rocsparse_index_base_SE_SE_SE_bbb ; -- Begin function _ZN9rocsparseL26csrgemm_fill_block_per_rowILj128ELj16ELj256ELj137ELj64ElidEEvT5_PKS1_S3_NS_24const_host_device_scalarIT6_EEPKT4_S3_PKS5_S9_S3_SB_S6_S9_S3_SB_S9_PS1_PS5_21rocsparse_index_base_SE_SE_SE_bbb
	.p2align	8
	.type	_ZN9rocsparseL26csrgemm_fill_block_per_rowILj128ELj16ELj256ELj137ELj64ElidEEvT5_PKS1_S3_NS_24const_host_device_scalarIT6_EEPKT4_S3_PKS5_S9_S3_SB_S6_S9_S3_SB_S9_PS1_PS5_21rocsparse_index_base_SE_SE_SE_bbb,@function
_ZN9rocsparseL26csrgemm_fill_block_per_rowILj128ELj16ELj256ELj137ELj64ElidEEvT5_PKS1_S3_NS_24const_host_device_scalarIT6_EEPKT4_S3_PKS5_S9_S3_SB_S6_S9_S3_SB_S9_PS1_PS5_21rocsparse_index_base_SE_SE_SE_bbb: ; @_ZN9rocsparseL26csrgemm_fill_block_per_rowILj128ELj16ELj256ELj137ELj64ElidEEvT5_PKS1_S3_NS_24const_host_device_scalarIT6_EEPKT4_S3_PKS5_S9_S3_SB_S6_S9_S3_SB_S9_PS1_PS5_21rocsparse_index_base_SE_SE_SE_bbb
; %bb.0:
	s_clause 0x2
	s_load_b32 s6, s[0:1], 0x98
	s_load_b64 s[4:5], s[0:1], 0x18
	s_load_b64 s[2:3], s[0:1], 0x50
	s_waitcnt lgkmcnt(0)
	s_and_b32 s8, 1, s6
	s_bitcmp1_b32 s6, 16
	s_cselect_b32 s7, -1, 0
	s_cmp_eq_u32 s8, 1
	s_cselect_b32 s12, -1, 0
	s_delay_alu instid0(SALU_CYCLE_1)
	s_and_b32 s8, s12, exec_lo
	s_cselect_b32 s9, s5, 0
	s_cselect_b32 s8, s4, 0
	s_xor_b32 s10, s12, -1
	v_dual_mov_b32 v3, s8 :: v_dual_mov_b32 v4, s9
	s_or_b32 s10, s10, s7
	s_delay_alu instid0(SALU_CYCLE_1)
	s_and_b32 vcc_lo, exec_lo, s10
	s_cbranch_vccnz .LBB200_2
; %bb.1:
	v_dual_mov_b32 v1, s4 :: v_dual_mov_b32 v2, s5
	flat_load_b64 v[3:4], v[1:2]
.LBB200_2:
	s_load_b128 s[24:27], s[0:1], 0x88
	s_bitcmp1_b32 s6, 8
	s_cselect_b32 s33, -1, 0
	s_delay_alu instid0(SALU_CYCLE_1)
	s_and_b32 s4, s33, exec_lo
	s_cselect_b32 s5, s3, 0
	s_cselect_b32 s4, s2, 0
	s_xor_b32 s6, s33, -1
	v_dual_mov_b32 v1, s4 :: v_dual_mov_b32 v2, s5
	s_or_b32 s6, s6, s7
	s_delay_alu instid0(SALU_CYCLE_1)
	s_and_b32 vcc_lo, exec_lo, s6
	s_cbranch_vccnz .LBB200_4
; %bb.3:
	v_dual_mov_b32 v1, s2 :: v_dual_mov_b32 v2, s3
	flat_load_b64 v[1:2], v[1:2]
.LBB200_4:
	s_clause 0x5
	s_load_b128 s[28:31], s[0:1], 0x78
	s_load_b256 s[4:11], s[0:1], 0x58
	s_load_b128 s[36:39], s[0:1], 0x40
	s_load_b256 s[16:23], s[0:1], 0x20
	s_load_b128 s[40:43], s[0:1], 0x8
	s_load_b32 s14, s[0:1], 0x0
	v_cmp_gt_u32_e64 s0, 0x100, v0
	v_lshlrev_b32_e32 v19, 3, v0
	v_or_b32_e32 v17, 0xffffff80, v0
	v_lshl_add_u32 v18, v0, 2, 0
	s_delay_alu instid0(VALU_DEP_4)
	s_and_saveexec_b32 s1, s0
	s_cbranch_execz .LBB200_7
; %bb.5:
	s_waitcnt lgkmcnt(0)
	v_dual_mov_b32 v5, 0 :: v_dual_mov_b32 v10, s14
	v_add3_u32 v7, v19, 0, 0x400
	v_or_b32_e32 v8, 0xffffff80, v0
	v_lshl_add_u32 v9, v0, 2, 0
	s_delay_alu instid0(VALU_DEP_4)
	v_mov_b32_e32 v6, v5
	s_mov_b32 s2, 0
.LBB200_6:                              ; =>This Inner Loop Header: Depth=1
	s_delay_alu instid0(VALU_DEP_3) | instskip(NEXT) | instid1(VALU_DEP_1)
	v_add_co_u32 v8, s3, 0x80, v8
	s_xor_b32 s3, s3, -1
	ds_store_b32 v9, v10
	ds_store_b64 v7, v[5:6]
	v_add_nc_u32_e32 v7, 0x400, v7
	v_add_nc_u32_e32 v9, 0x200, v9
	s_and_b32 s3, exec_lo, s3
	s_delay_alu instid0(SALU_CYCLE_1) | instskip(NEXT) | instid1(SALU_CYCLE_1)
	s_or_b32 s2, s3, s2
	s_and_not1_b32 exec_lo, exec_lo, s2
	s_cbranch_execnz .LBB200_6
.LBB200_7:
	s_or_b32 exec_lo, exec_lo, s1
	s_waitcnt vmcnt(0) lgkmcnt(0)
	s_barrier
	buffer_gl0_inv
	s_load_b32 s1, s[40:41], 0x0
	s_mov_b32 s3, 0
	v_lshrrev_b32_e32 v20, 4, v0
	s_waitcnt lgkmcnt(0)
	s_add_i32 s2, s1, s15
	s_delay_alu instid0(SALU_CYCLE_1) | instskip(NEXT) | instid1(SALU_CYCLE_1)
	s_lshl_b64 s[2:3], s[2:3], 2
	s_add_u32 s2, s42, s2
	s_addc_u32 s3, s43, s3
	s_and_b32 vcc_lo, exec_lo, s12
	s_load_b32 s2, s[2:3], 0x0
	s_cbranch_vccz .LBB200_31
; %bb.8:
	s_waitcnt lgkmcnt(0)
	s_ashr_i32 s3, s2, 31
	v_sub_co_u32 v5, s1, v20, s24
	s_lshl_b64 s[12:13], s[2:3], 3
	v_sub_co_ci_u32_e64 v6, null, 0, 0, s1
	s_add_u32 s12, s16, s12
	s_addc_u32 s13, s17, s13
	s_mov_b32 s1, exec_lo
	s_load_b128 s[40:43], s[12:13], 0x0
	s_waitcnt lgkmcnt(0)
	v_add_co_u32 v5, vcc_lo, s40, v5
	v_add_co_ci_u32_e32 v6, vcc_lo, s41, v6, vcc_lo
	s_sub_u32 s12, s42, s24
	s_subb_u32 s13, s43, 0
	s_delay_alu instid0(VALU_DEP_1) | instid1(SALU_CYCLE_1)
	v_cmpx_gt_i64_e64 s[12:13], v[5:6]
	s_cbranch_execz .LBB200_30
; %bb.9:
	v_and_b32_e32 v7, 15, v0
	s_mov_b32 s15, s25
	s_delay_alu instid0(VALU_DEP_1) | instskip(NEXT) | instid1(VALU_DEP_1)
	v_sub_co_u32 v21, s3, v7, s25
	v_sub_co_ci_u32_e64 v22, null, 0, 0, s3
	s_mov_b32 s3, 0
	s_branch .LBB200_11
.LBB200_10:                             ;   in Loop: Header=BB200_11 Depth=1
	s_or_b32 exec_lo, exec_lo, s16
	v_add_co_u32 v5, vcc_lo, v5, 8
	v_add_co_ci_u32_e32 v6, vcc_lo, 0, v6, vcc_lo
	s_delay_alu instid0(VALU_DEP_1) | instskip(SKIP_1) | instid1(SALU_CYCLE_1)
	v_cmp_le_i64_e32 vcc_lo, s[12:13], v[5:6]
	s_or_b32 s3, vcc_lo, s3
	s_and_not1_b32 exec_lo, exec_lo, s3
	s_cbranch_execz .LBB200_30
.LBB200_11:                             ; =>This Loop Header: Depth=1
                                        ;     Child Loop BB200_14 Depth 2
                                        ;       Child Loop BB200_16 Depth 3
                                        ;         Child Loop BB200_22 Depth 4
                                        ;         Child Loop BB200_28 Depth 4
	v_lshlrev_b64 v[7:8], 2, v[5:6]
	s_mov_b32 s16, exec_lo
	s_delay_alu instid0(VALU_DEP_1) | instskip(NEXT) | instid1(VALU_DEP_2)
	v_add_co_u32 v7, vcc_lo, s18, v7
	v_add_co_ci_u32_e32 v8, vcc_lo, s19, v8, vcc_lo
	global_load_b32 v7, v[7:8], off
	s_waitcnt vmcnt(0)
	v_subrev_nc_u32_e32 v7, s24, v7
	s_delay_alu instid0(VALU_DEP_1) | instskip(NEXT) | instid1(VALU_DEP_1)
	v_ashrrev_i32_e32 v8, 31, v7
	v_lshlrev_b64 v[7:8], 3, v[7:8]
	s_delay_alu instid0(VALU_DEP_1) | instskip(NEXT) | instid1(VALU_DEP_2)
	v_add_co_u32 v7, vcc_lo, s22, v7
	v_add_co_ci_u32_e32 v8, vcc_lo, s23, v8, vcc_lo
	global_load_b128 v[9:12], v[7:8], off
	s_waitcnt vmcnt(0)
	v_sub_co_u32 v7, vcc_lo, v11, s15
	v_subrev_co_ci_u32_e32 v8, vcc_lo, 0, v12, vcc_lo
	v_add_co_u32 v9, vcc_lo, v9, v21
	v_add_co_ci_u32_e32 v10, vcc_lo, v10, v22, vcc_lo
	s_delay_alu instid0(VALU_DEP_1)
	v_cmpx_lt_i64_e64 v[9:10], v[7:8]
	s_cbranch_execz .LBB200_10
; %bb.12:                               ;   in Loop: Header=BB200_11 Depth=1
	v_lshlrev_b64 v[11:12], 3, v[5:6]
	s_mov_b32 s17, 0
	s_delay_alu instid0(VALU_DEP_1) | instskip(NEXT) | instid1(VALU_DEP_2)
	v_add_co_u32 v11, vcc_lo, s20, v11
	v_add_co_ci_u32_e32 v12, vcc_lo, s21, v12, vcc_lo
	global_load_b64 v[11:12], v[11:12], off
	s_waitcnt vmcnt(0)
	v_mul_f64 v[11:12], v[3:4], v[11:12]
	s_branch .LBB200_14
.LBB200_13:                             ;   in Loop: Header=BB200_14 Depth=2
	s_or_b32 exec_lo, exec_lo, s34
	v_add_co_u32 v9, vcc_lo, v9, 16
	v_add_co_ci_u32_e32 v10, vcc_lo, 0, v10, vcc_lo
	s_delay_alu instid0(VALU_DEP_1) | instskip(SKIP_1) | instid1(SALU_CYCLE_1)
	v_cmp_ge_i64_e32 vcc_lo, v[9:10], v[7:8]
	s_or_b32 s17, vcc_lo, s17
	s_and_not1_b32 exec_lo, exec_lo, s17
	s_cbranch_execz .LBB200_10
.LBB200_14:                             ;   Parent Loop BB200_11 Depth=1
                                        ; =>  This Loop Header: Depth=2
                                        ;       Child Loop BB200_16 Depth 3
                                        ;         Child Loop BB200_22 Depth 4
                                        ;         Child Loop BB200_28 Depth 4
	v_lshlrev_b64 v[13:14], 3, v[9:10]
	v_lshlrev_b64 v[15:16], 2, v[9:10]
	s_mov_b32 s34, 0
	s_delay_alu instid0(VALU_DEP_2) | instskip(NEXT) | instid1(VALU_DEP_3)
	v_add_co_u32 v13, vcc_lo, s38, v13
	v_add_co_ci_u32_e32 v14, vcc_lo, s39, v14, vcc_lo
	s_delay_alu instid0(VALU_DEP_3) | instskip(NEXT) | instid1(VALU_DEP_4)
	v_add_co_u32 v15, vcc_lo, s36, v15
	v_add_co_ci_u32_e32 v16, vcc_lo, s37, v16, vcc_lo
	global_load_b64 v[13:14], v[13:14], off
	global_load_b32 v15, v[15:16], off
	s_waitcnt vmcnt(1)
	v_mul_f64 v[13:14], v[11:12], v[13:14]
	s_waitcnt vmcnt(0)
	v_subrev_nc_u32_e32 v23, s25, v15
	s_delay_alu instid0(VALU_DEP_1) | instskip(NEXT) | instid1(VALU_DEP_1)
	v_mul_lo_u32 v15, 0x89, v23
	v_and_b32_e32 v24, 0xff, v15
	s_branch .LBB200_16
.LBB200_15:                             ;   in Loop: Header=BB200_16 Depth=3
	s_or_b32 exec_lo, exec_lo, s35
	s_xor_b32 s35, s40, -1
	s_delay_alu instid0(SALU_CYCLE_1) | instskip(NEXT) | instid1(SALU_CYCLE_1)
	s_and_b32 s35, exec_lo, s35
	s_or_b32 s34, s35, s34
	s_delay_alu instid0(SALU_CYCLE_1)
	s_and_not1_b32 exec_lo, exec_lo, s34
	s_cbranch_execz .LBB200_13
.LBB200_16:                             ;   Parent Loop BB200_11 Depth=1
                                        ;     Parent Loop BB200_14 Depth=2
                                        ; =>    This Loop Header: Depth=3
                                        ;         Child Loop BB200_22 Depth 4
                                        ;         Child Loop BB200_28 Depth 4
	s_delay_alu instid0(VALU_DEP_1)
	v_lshl_add_u32 v15, v24, 2, 0
	s_mov_b32 s35, exec_lo
                                        ; implicit-def: $sgpr40
	ds_load_b32 v16, v15
	s_waitcnt lgkmcnt(0)
	v_cmpx_ne_u32_e64 v16, v23
	s_xor_b32 s35, exec_lo, s35
	s_cbranch_execz .LBB200_26
; %bb.17:                               ;   in Loop: Header=BB200_16 Depth=3
	s_mov_b32 s41, exec_lo
                                        ; implicit-def: $sgpr40
	v_cmpx_ne_u32_e64 s14, v16
	s_xor_b32 s41, exec_lo, s41
; %bb.18:                               ;   in Loop: Header=BB200_16 Depth=3
	v_add_nc_u32_e32 v15, 1, v24
	s_mov_b32 s40, -1
	s_delay_alu instid0(VALU_DEP_1)
	v_and_b32_e32 v24, 0xff, v15
                                        ; implicit-def: $vgpr15
; %bb.19:                               ;   in Loop: Header=BB200_16 Depth=3
	s_and_not1_saveexec_b32 s41, s41
	s_cbranch_execz .LBB200_25
; %bb.20:                               ;   in Loop: Header=BB200_16 Depth=3
	v_mov_b32_e32 v16, s14
	s_mov_b32 s43, -1
	s_mov_b32 s42, exec_lo
	ds_cmpstore_rtn_b32 v16, v15, v23, v16
	s_waitcnt lgkmcnt(0)
	v_cmpx_eq_u32_e64 s14, v16
	s_cbranch_execz .LBB200_24
; %bb.21:                               ;   in Loop: Header=BB200_16 Depth=3
	v_lshlrev_b32_e32 v16, 2, v24
	s_mov_b32 s43, 0
	s_delay_alu instid0(VALU_DEP_1)
	v_add_nc_u32_e32 v25, v15, v16
	ds_load_b64 v[15:16], v25 offset:1024
.LBB200_22:                             ;   Parent Loop BB200_11 Depth=1
                                        ;     Parent Loop BB200_14 Depth=2
                                        ;       Parent Loop BB200_16 Depth=3
                                        ; =>      This Inner Loop Header: Depth=4
	s_waitcnt lgkmcnt(0)
	v_add_f64 v[26:27], v[15:16], v[13:14]
	ds_cmpstore_rtn_b64 v[26:27], v25, v[26:27], v[15:16] offset:1024
	s_waitcnt lgkmcnt(0)
	v_cmp_eq_u64_e32 vcc_lo, v[26:27], v[15:16]
	v_dual_mov_b32 v15, v26 :: v_dual_mov_b32 v16, v27
	s_or_b32 s43, vcc_lo, s43
	s_delay_alu instid0(SALU_CYCLE_1)
	s_and_not1_b32 exec_lo, exec_lo, s43
	s_cbranch_execnz .LBB200_22
; %bb.23:                               ;   in Loop: Header=BB200_16 Depth=3
	s_or_b32 exec_lo, exec_lo, s43
	s_delay_alu instid0(SALU_CYCLE_1)
	s_xor_b32 s43, exec_lo, -1
.LBB200_24:                             ;   in Loop: Header=BB200_16 Depth=3
	s_or_b32 exec_lo, exec_lo, s42
	s_delay_alu instid0(SALU_CYCLE_1) | instskip(SKIP_1) | instid1(SALU_CYCLE_1)
	s_and_not1_b32 s40, s40, exec_lo
	s_and_b32 s42, s43, exec_lo
	s_or_b32 s40, s40, s42
.LBB200_25:                             ;   in Loop: Header=BB200_16 Depth=3
	s_or_b32 exec_lo, exec_lo, s41
	s_delay_alu instid0(SALU_CYCLE_1)
	s_and_b32 s40, s40, exec_lo
                                        ; implicit-def: $vgpr15
.LBB200_26:                             ;   in Loop: Header=BB200_16 Depth=3
	s_and_not1_saveexec_b32 s35, s35
	s_cbranch_execz .LBB200_15
; %bb.27:                               ;   in Loop: Header=BB200_16 Depth=3
	v_lshlrev_b32_e32 v16, 2, v24
	s_mov_b32 s41, 0
	s_delay_alu instid0(VALU_DEP_1)
	v_add_nc_u32_e32 v25, v15, v16
	ds_load_b64 v[15:16], v25 offset:1024
.LBB200_28:                             ;   Parent Loop BB200_11 Depth=1
                                        ;     Parent Loop BB200_14 Depth=2
                                        ;       Parent Loop BB200_16 Depth=3
                                        ; =>      This Inner Loop Header: Depth=4
	s_waitcnt lgkmcnt(0)
	v_add_f64 v[26:27], v[15:16], v[13:14]
	ds_cmpstore_rtn_b64 v[26:27], v25, v[26:27], v[15:16] offset:1024
	s_waitcnt lgkmcnt(0)
	v_cmp_eq_u64_e32 vcc_lo, v[26:27], v[15:16]
	v_dual_mov_b32 v15, v26 :: v_dual_mov_b32 v16, v27
	s_or_b32 s41, vcc_lo, s41
	s_delay_alu instid0(SALU_CYCLE_1)
	s_and_not1_b32 exec_lo, exec_lo, s41
	s_cbranch_execnz .LBB200_28
; %bb.29:                               ;   in Loop: Header=BB200_16 Depth=3
	s_or_b32 exec_lo, exec_lo, s41
	s_delay_alu instid0(SALU_CYCLE_1)
	s_and_not1_b32 s40, s40, exec_lo
	s_branch .LBB200_15
.LBB200_30:
	s_or_b32 exec_lo, exec_lo, s1
.LBB200_31:
	s_delay_alu instid0(SALU_CYCLE_1)
	s_and_not1_b32 vcc_lo, exec_lo, s33
	s_cbranch_vccnz .LBB200_34
; %bb.32:
	s_waitcnt lgkmcnt(0)
	s_ashr_i32 s3, s2, 31
	v_sub_co_u32 v3, s1, v0, s27
	s_lshl_b64 s[12:13], s[2:3], 3
	v_sub_co_ci_u32_e64 v4, null, 0, 0, s1
	s_add_u32 s4, s4, s12
	s_addc_u32 s5, s5, s13
	s_mov_b32 s3, 0
	s_load_b128 s[16:19], s[4:5], 0x0
	s_mov_b32 s1, exec_lo
	s_waitcnt lgkmcnt(0)
	v_add_co_u32 v3, vcc_lo, s16, v3
	v_add_co_ci_u32_e32 v4, vcc_lo, s17, v4, vcc_lo
	s_sub_u32 s4, s18, s27
	s_subb_u32 s5, s19, 0
	s_delay_alu instid0(VALU_DEP_1) | instid1(SALU_CYCLE_1)
	v_cmpx_gt_i64_e64 s[4:5], v[3:4]
	s_cbranch_execnz .LBB200_44
.LBB200_33:
	s_or_b32 exec_lo, exec_lo, s1
.LBB200_34:
	s_waitcnt lgkmcnt(0)
	s_barrier
	buffer_gl0_inv
	s_and_saveexec_b32 s3, s0
	s_cbranch_execz .LBB200_60
; %bb.35:
	v_mbcnt_lo_u32_b32 v1, -1, 0
	v_dual_mov_b32 v7, 0 :: v_dual_and_b32 v2, 4, v20
	v_cmp_lt_u32_e32 vcc_lo, 63, v0
	v_cmp_eq_u32_e64 s0, 0x7f, v0
	s_delay_alu instid0(VALU_DEP_4) | instskip(NEXT) | instid1(VALU_DEP_4)
	v_xor_b32_e32 v1, 63, v1
	v_dual_mov_b32 v6, 0 :: v_dual_add_nc_u32 v5, 0, v2
	v_add3_u32 v4, v19, 0, 0x400
	s_mov_b32 s4, 0
	s_delay_alu instid0(VALU_DEP_3)
	v_lshrrev_b64 v[1:2], v1, -1
	s_branch .LBB200_37
.LBB200_36:                             ;   in Loop: Header=BB200_37 Depth=1
	s_or_b32 exec_lo, exec_lo, s1
	s_waitcnt lgkmcnt(0)
	s_barrier
	buffer_gl0_inv
	ds_load_b32 v2, v6 offset:3076
	v_add_co_u32 v17, s1, 0x80, v17
	s_delay_alu instid0(VALU_DEP_1) | instskip(SKIP_3) | instid1(SALU_CYCLE_1)
	s_xor_b32 s1, s1, -1
	v_add_nc_u32_e32 v4, 0x400, v4
	v_add_nc_u32_e32 v18, 0x200, v18
	s_and_b32 s1, exec_lo, s1
	s_or_b32 s4, s1, s4
	s_waitcnt lgkmcnt(0)
	v_add_nc_u32_e32 v7, v2, v7
	s_and_not1_b32 exec_lo, exec_lo, s4
	s_cbranch_execz .LBB200_60
.LBB200_37:                             ; =>This Inner Loop Header: Depth=1
	ds_load_b32 v8, v18
	ds_load_b64 v[2:3], v4
	s_waitcnt lgkmcnt(0)
	s_barrier
	buffer_gl0_inv
	v_cmp_gt_i32_e64 s1, s14, v8
	s_delay_alu instid0(VALU_DEP_1) | instskip(NEXT) | instid1(SALU_CYCLE_1)
	s_bcnt1_i32_b32 s5, s1
	v_dual_mov_b32 v10, s5 :: v_dual_and_b32 v9, s1, v1
	s_delay_alu instid0(VALU_DEP_1)
	v_bcnt_u32_b32 v9, v9, 0
	ds_store_b32 v5, v10 offset:3072
	s_waitcnt lgkmcnt(0)
	s_barrier
	buffer_gl0_inv
	s_and_saveexec_b32 s5, vcc_lo
	s_cbranch_execnz .LBB200_40
; %bb.38:                               ;   in Loop: Header=BB200_37 Depth=1
	s_or_b32 exec_lo, exec_lo, s5
	s_and_saveexec_b32 s5, s1
	s_cbranch_execnz .LBB200_41
.LBB200_39:                             ;   in Loop: Header=BB200_37 Depth=1
	s_or_b32 exec_lo, exec_lo, s5
	s_and_saveexec_b32 s1, s0
	s_cbranch_execz .LBB200_36
	s_branch .LBB200_42
.LBB200_40:                             ;   in Loop: Header=BB200_37 Depth=1
	ds_load_b32 v10, v6 offset:3072
	s_waitcnt lgkmcnt(0)
	v_add_nc_u32_e32 v9, v10, v9
	s_or_b32 exec_lo, exec_lo, s5
	s_and_saveexec_b32 s5, s1
	s_cbranch_execz .LBB200_39
.LBB200_41:                             ;   in Loop: Header=BB200_37 Depth=1
	s_delay_alu instid0(VALU_DEP_1) | instskip(NEXT) | instid1(VALU_DEP_1)
	v_add3_u32 v10, v7, -1, v9
	v_lshl_add_u32 v11, v10, 2, 0
	v_lshl_add_u32 v10, v10, 3, 0
	ds_store_b32 v11, v8
	ds_store_b64 v10, v[2:3] offset:1024
	s_or_b32 exec_lo, exec_lo, s5
	s_and_saveexec_b32 s1, s0
	s_cbranch_execz .LBB200_36
.LBB200_42:                             ;   in Loop: Header=BB200_37 Depth=1
	ds_store_b32 v6, v9 offset:3076
	s_branch .LBB200_36
.LBB200_43:                             ;   in Loop: Header=BB200_44 Depth=1
	s_or_b32 exec_lo, exec_lo, s12
	v_add_co_u32 v3, vcc_lo, 0x80, v3
	v_add_co_ci_u32_e32 v4, vcc_lo, 0, v4, vcc_lo
	s_delay_alu instid0(VALU_DEP_1) | instskip(SKIP_1) | instid1(SALU_CYCLE_1)
	v_cmp_le_i64_e32 vcc_lo, s[4:5], v[3:4]
	s_or_b32 s3, vcc_lo, s3
	s_and_not1_b32 exec_lo, exec_lo, s3
	s_cbranch_execz .LBB200_33
.LBB200_44:                             ; =>This Loop Header: Depth=1
                                        ;     Child Loop BB200_46 Depth 2
                                        ;       Child Loop BB200_52 Depth 3
                                        ;       Child Loop BB200_58 Depth 3
	v_lshlrev_b64 v[5:6], 3, v[3:4]
	v_lshlrev_b64 v[7:8], 2, v[3:4]
	s_mov_b32 s12, 0
	s_delay_alu instid0(VALU_DEP_2) | instskip(NEXT) | instid1(VALU_DEP_3)
	v_add_co_u32 v5, vcc_lo, s8, v5
	v_add_co_ci_u32_e32 v6, vcc_lo, s9, v6, vcc_lo
	s_delay_alu instid0(VALU_DEP_3) | instskip(NEXT) | instid1(VALU_DEP_4)
	v_add_co_u32 v7, vcc_lo, s6, v7
	v_add_co_ci_u32_e32 v8, vcc_lo, s7, v8, vcc_lo
	global_load_b64 v[5:6], v[5:6], off
	global_load_b32 v7, v[7:8], off
	s_waitcnt vmcnt(1)
	v_mul_f64 v[5:6], v[1:2], v[5:6]
	s_waitcnt vmcnt(0)
	v_subrev_nc_u32_e32 v9, s27, v7
	s_delay_alu instid0(VALU_DEP_1) | instskip(NEXT) | instid1(VALU_DEP_1)
	v_mul_lo_u32 v7, 0x89, v9
	v_and_b32_e32 v10, 0xff, v7
	s_branch .LBB200_46
.LBB200_45:                             ;   in Loop: Header=BB200_46 Depth=2
	s_or_b32 exec_lo, exec_lo, s13
	s_xor_b32 s13, s15, -1
	s_delay_alu instid0(SALU_CYCLE_1) | instskip(NEXT) | instid1(SALU_CYCLE_1)
	s_and_b32 s13, exec_lo, s13
	s_or_b32 s12, s13, s12
	s_delay_alu instid0(SALU_CYCLE_1)
	s_and_not1_b32 exec_lo, exec_lo, s12
	s_cbranch_execz .LBB200_43
.LBB200_46:                             ;   Parent Loop BB200_44 Depth=1
                                        ; =>  This Loop Header: Depth=2
                                        ;       Child Loop BB200_52 Depth 3
                                        ;       Child Loop BB200_58 Depth 3
	s_delay_alu instid0(VALU_DEP_1)
	v_lshl_add_u32 v7, v10, 2, 0
	s_mov_b32 s13, exec_lo
                                        ; implicit-def: $sgpr15
	ds_load_b32 v8, v7
	s_waitcnt lgkmcnt(0)
	v_cmpx_ne_u32_e64 v8, v9
	s_xor_b32 s13, exec_lo, s13
	s_cbranch_execz .LBB200_56
; %bb.47:                               ;   in Loop: Header=BB200_46 Depth=2
	s_mov_b32 s16, exec_lo
                                        ; implicit-def: $sgpr15
	v_cmpx_ne_u32_e64 s14, v8
	s_xor_b32 s16, exec_lo, s16
; %bb.48:                               ;   in Loop: Header=BB200_46 Depth=2
	v_add_nc_u32_e32 v7, 1, v10
	s_mov_b32 s15, -1
	s_delay_alu instid0(VALU_DEP_1)
	v_and_b32_e32 v10, 0xff, v7
                                        ; implicit-def: $vgpr7
; %bb.49:                               ;   in Loop: Header=BB200_46 Depth=2
	s_and_not1_saveexec_b32 s16, s16
	s_cbranch_execz .LBB200_55
; %bb.50:                               ;   in Loop: Header=BB200_46 Depth=2
	v_mov_b32_e32 v8, s14
	s_mov_b32 s18, -1
	s_mov_b32 s17, exec_lo
	ds_cmpstore_rtn_b32 v8, v7, v9, v8
	s_waitcnt lgkmcnt(0)
	v_cmpx_eq_u32_e64 s14, v8
	s_cbranch_execz .LBB200_54
; %bb.51:                               ;   in Loop: Header=BB200_46 Depth=2
	v_lshlrev_b32_e32 v8, 2, v10
	s_mov_b32 s18, 0
	s_delay_alu instid0(VALU_DEP_1)
	v_add_nc_u32_e32 v11, v7, v8
	ds_load_b64 v[7:8], v11 offset:1024
.LBB200_52:                             ;   Parent Loop BB200_44 Depth=1
                                        ;     Parent Loop BB200_46 Depth=2
                                        ; =>    This Inner Loop Header: Depth=3
	s_waitcnt lgkmcnt(0)
	v_add_f64 v[12:13], v[7:8], v[5:6]
	ds_cmpstore_rtn_b64 v[12:13], v11, v[12:13], v[7:8] offset:1024
	s_waitcnt lgkmcnt(0)
	v_cmp_eq_u64_e32 vcc_lo, v[12:13], v[7:8]
	v_dual_mov_b32 v7, v12 :: v_dual_mov_b32 v8, v13
	s_or_b32 s18, vcc_lo, s18
	s_delay_alu instid0(SALU_CYCLE_1)
	s_and_not1_b32 exec_lo, exec_lo, s18
	s_cbranch_execnz .LBB200_52
; %bb.53:                               ;   in Loop: Header=BB200_46 Depth=2
	s_or_b32 exec_lo, exec_lo, s18
	s_delay_alu instid0(SALU_CYCLE_1)
	s_xor_b32 s18, exec_lo, -1
.LBB200_54:                             ;   in Loop: Header=BB200_46 Depth=2
	s_or_b32 exec_lo, exec_lo, s17
	s_delay_alu instid0(SALU_CYCLE_1) | instskip(SKIP_1) | instid1(SALU_CYCLE_1)
	s_and_not1_b32 s15, s15, exec_lo
	s_and_b32 s17, s18, exec_lo
	s_or_b32 s15, s15, s17
.LBB200_55:                             ;   in Loop: Header=BB200_46 Depth=2
	s_or_b32 exec_lo, exec_lo, s16
	s_delay_alu instid0(SALU_CYCLE_1)
	s_and_b32 s15, s15, exec_lo
                                        ; implicit-def: $vgpr7
.LBB200_56:                             ;   in Loop: Header=BB200_46 Depth=2
	s_and_not1_saveexec_b32 s13, s13
	s_cbranch_execz .LBB200_45
; %bb.57:                               ;   in Loop: Header=BB200_46 Depth=2
	v_lshlrev_b32_e32 v8, 2, v10
	s_mov_b32 s16, 0
	s_delay_alu instid0(VALU_DEP_1)
	v_add_nc_u32_e32 v11, v7, v8
	ds_load_b64 v[7:8], v11 offset:1024
.LBB200_58:                             ;   Parent Loop BB200_44 Depth=1
                                        ;     Parent Loop BB200_46 Depth=2
                                        ; =>    This Inner Loop Header: Depth=3
	s_waitcnt lgkmcnt(0)
	v_add_f64 v[12:13], v[7:8], v[5:6]
	ds_cmpstore_rtn_b64 v[12:13], v11, v[12:13], v[7:8] offset:1024
	s_waitcnt lgkmcnt(0)
	v_cmp_eq_u64_e32 vcc_lo, v[12:13], v[7:8]
	v_dual_mov_b32 v7, v12 :: v_dual_mov_b32 v8, v13
	s_or_b32 s16, vcc_lo, s16
	s_delay_alu instid0(SALU_CYCLE_1)
	s_and_not1_b32 exec_lo, exec_lo, s16
	s_cbranch_execnz .LBB200_58
; %bb.59:                               ;   in Loop: Header=BB200_46 Depth=2
	s_or_b32 exec_lo, exec_lo, s16
	s_delay_alu instid0(SALU_CYCLE_1)
	s_and_not1_b32 s15, s15, exec_lo
	s_branch .LBB200_45
.LBB200_60:
	s_or_b32 exec_lo, exec_lo, s3
	s_ashr_i32 s3, s2, 31
	s_mov_b32 s4, exec_lo
	s_lshl_b64 s[0:1], s[2:3], 3
	s_delay_alu instid0(SALU_CYCLE_1) | instskip(SKIP_4) | instid1(SALU_CYCLE_1)
	s_add_u32 s0, s10, s0
	s_addc_u32 s1, s11, s1
	s_load_b128 s[0:3], s[0:1], 0x0
	s_waitcnt lgkmcnt(0)
	s_sub_i32 s3, s2, s0
	v_cmpx_gt_i32_e64 s3, v0
	s_cbranch_execz .LBB200_70
; %bb.61:
	s_sub_u32 s4, s0, s26
	s_subb_u32 s5, s1, 0
	s_sub_i32 s0, s0, s2
	s_and_b32 s1, s3, 7
	s_cmp_lt_u32 s0, -7
	s_mov_b32 s8, 0
	s_cselect_b32 s2, -1, 0
	s_and_b32 s6, s3, -8
	s_cmp_lg_u32 s1, 0
	s_cselect_b32 s7, -1, 0
	s_branch .LBB200_63
.LBB200_62:                             ;   in Loop: Header=BB200_63 Depth=1
	s_delay_alu instid0(VALU_DEP_1) | instskip(SKIP_4) | instid1(VALU_DEP_4)
	v_lshlrev_b64 v[6:7], 2, v[3:4]
	v_lshlrev_b64 v[3:4], 3, v[3:4]
	v_add_nc_u32_e32 v0, 0x80, v0
	s_waitcnt lgkmcnt(1)
	v_add_nc_u32_e32 v8, s26, v5
	v_add_co_u32 v5, vcc_lo, s28, v6
	v_add_co_ci_u32_e32 v6, vcc_lo, s29, v7, vcc_lo
	v_cmp_le_i32_e32 vcc_lo, s3, v0
	v_add_co_u32 v3, s0, s30, v3
	s_delay_alu instid0(VALU_DEP_1)
	v_add_co_ci_u32_e64 v4, s0, s31, v4, s0
	s_or_b32 s8, vcc_lo, s8
	global_store_b32 v[5:6], v8, off
	s_waitcnt lgkmcnt(0)
	global_store_b64 v[3:4], v[1:2], off
	s_and_not1_b32 exec_lo, exec_lo, s8
	s_cbranch_execz .LBB200_70
.LBB200_63:                             ; =>This Loop Header: Depth=1
                                        ;     Child Loop BB200_65 Depth 2
                                        ;     Child Loop BB200_69 Depth 2
	v_lshlrev_b32_e32 v1, 2, v0
	v_dual_mov_b32 v3, s4 :: v_dual_mov_b32 v4, s5
	s_and_not1_b32 vcc_lo, exec_lo, s2
	s_mov_b32 s0, 0
	s_delay_alu instid0(VALU_DEP_2) | instskip(NEXT) | instid1(VALU_DEP_1)
	v_add_nc_u32_e32 v2, 0, v1
	v_add_nc_u32_e32 v1, v2, v1
	ds_load_b32 v5, v2
	ds_load_b64 v[1:2], v1 offset:1024
	s_cbranch_vccnz .LBB200_67
; %bb.64:                               ;   in Loop: Header=BB200_63 Depth=1
	v_dual_mov_b32 v3, s4 :: v_dual_mov_b32 v4, s5
	s_mov_b32 s9, 0
	s_mov_b32 s10, 0
.LBB200_65:                             ;   Parent Loop BB200_63 Depth=1
                                        ; =>  This Inner Loop Header: Depth=2
	s_delay_alu instid0(SALU_CYCLE_1)
	v_mov_b32_e32 v12, s10
	s_add_i32 s9, s9, 8
	s_add_i32 s10, s10, 32
	s_cmp_eq_u32 s6, s9
	ds_load_2addr_b32 v[6:7], v12 offset1:1
	ds_load_2addr_b32 v[8:9], v12 offset0:2 offset1:3
	ds_load_2addr_b32 v[10:11], v12 offset0:4 offset1:5
	;; [unrolled: 1-line block ×3, first 2 shown]
	s_waitcnt lgkmcnt(3)
	v_cmp_gt_i32_e32 vcc_lo, v5, v6
	v_cndmask_b32_e64 v6, 0, 1, vcc_lo
	v_cmp_gt_i32_e32 vcc_lo, v5, v7
	v_cndmask_b32_e64 v7, 0, 1, vcc_lo
	s_waitcnt lgkmcnt(2)
	v_cmp_gt_i32_e32 vcc_lo, v5, v8
	v_cndmask_b32_e64 v8, 0, 1, vcc_lo
	v_cmp_gt_i32_e32 vcc_lo, v5, v9
	v_cndmask_b32_e64 v9, 0, 1, vcc_lo
	s_waitcnt lgkmcnt(1)
	v_cmp_gt_i32_e32 vcc_lo, v5, v10
	v_cndmask_b32_e64 v10, 0, 1, vcc_lo
	v_add_co_u32 v3, vcc_lo, v3, v6
	v_add_co_ci_u32_e32 v4, vcc_lo, 0, v4, vcc_lo
	v_cmp_gt_i32_e32 vcc_lo, v5, v11
	s_delay_alu instid0(VALU_DEP_3) | instskip(NEXT) | instid1(VALU_DEP_1)
	v_add_co_u32 v3, s0, v3, v7
	v_add_co_ci_u32_e64 v4, s0, 0, v4, s0
	v_cndmask_b32_e64 v6, 0, 1, vcc_lo
	s_delay_alu instid0(VALU_DEP_3) | instskip(NEXT) | instid1(VALU_DEP_3)
	v_add_co_u32 v3, vcc_lo, v3, v8
	v_add_co_ci_u32_e32 v4, vcc_lo, 0, v4, vcc_lo
	s_waitcnt lgkmcnt(0)
	v_cmp_gt_i32_e32 vcc_lo, v5, v12
	s_delay_alu instid0(VALU_DEP_3) | instskip(NEXT) | instid1(VALU_DEP_1)
	v_add_co_u32 v3, s0, v3, v9
	v_add_co_ci_u32_e64 v4, s0, 0, v4, s0
	v_cndmask_b32_e64 v7, 0, 1, vcc_lo
	s_delay_alu instid0(VALU_DEP_3) | instskip(NEXT) | instid1(VALU_DEP_3)
	v_add_co_u32 v3, vcc_lo, v3, v10
	v_add_co_ci_u32_e32 v4, vcc_lo, 0, v4, vcc_lo
	v_cmp_gt_i32_e32 vcc_lo, v5, v13
	s_delay_alu instid0(VALU_DEP_3) | instskip(NEXT) | instid1(VALU_DEP_1)
	v_add_co_u32 v3, s0, v3, v6
	v_add_co_ci_u32_e64 v4, s0, 0, v4, s0
	v_cndmask_b32_e64 v6, 0, 1, vcc_lo
	s_delay_alu instid0(VALU_DEP_3) | instskip(NEXT) | instid1(VALU_DEP_3)
	v_add_co_u32 v3, vcc_lo, v3, v7
	v_add_co_ci_u32_e32 v4, vcc_lo, 0, v4, vcc_lo
	s_delay_alu instid0(VALU_DEP_2) | instskip(NEXT) | instid1(VALU_DEP_2)
	v_add_co_u32 v3, vcc_lo, v3, v6
	v_add_co_ci_u32_e32 v4, vcc_lo, 0, v4, vcc_lo
	s_cbranch_scc0 .LBB200_65
; %bb.66:                               ;   in Loop: Header=BB200_63 Depth=1
	s_mov_b32 s0, s6
.LBB200_67:                             ;   in Loop: Header=BB200_63 Depth=1
	s_and_not1_b32 vcc_lo, exec_lo, s7
	s_cbranch_vccnz .LBB200_62
; %bb.68:                               ;   in Loop: Header=BB200_63 Depth=1
	s_lshl_b32 s0, s0, 2
	s_mov_b32 s9, s1
	s_add_i32 s0, s0, 0
.LBB200_69:                             ;   Parent Loop BB200_63 Depth=1
                                        ; =>  This Inner Loop Header: Depth=2
	s_delay_alu instid0(SALU_CYCLE_1)
	v_mov_b32_e32 v6, s0
	s_add_i32 s9, s9, -1
	s_add_i32 s0, s0, 4
	s_cmp_lg_u32 s9, 0
	ds_load_b32 v6, v6
	s_waitcnt lgkmcnt(0)
	v_cmp_gt_i32_e32 vcc_lo, v5, v6
	v_cndmask_b32_e64 v6, 0, 1, vcc_lo
	s_delay_alu instid0(VALU_DEP_1)
	v_add_co_u32 v3, vcc_lo, v3, v6
	v_add_co_ci_u32_e32 v4, vcc_lo, 0, v4, vcc_lo
	s_cbranch_scc1 .LBB200_69
	s_branch .LBB200_62
.LBB200_70:
	s_nop 0
	s_sendmsg sendmsg(MSG_DEALLOC_VGPRS)
	s_endpgm
	.section	.rodata,"a",@progbits
	.p2align	6, 0x0
	.amdhsa_kernel _ZN9rocsparseL26csrgemm_fill_block_per_rowILj128ELj16ELj256ELj137ELj64ElidEEvT5_PKS1_S3_NS_24const_host_device_scalarIT6_EEPKT4_S3_PKS5_S9_S3_SB_S6_S9_S3_SB_S9_PS1_PS5_21rocsparse_index_base_SE_SE_SE_bbb
		.amdhsa_group_segment_fixed_size 0
		.amdhsa_private_segment_fixed_size 0
		.amdhsa_kernarg_size 156
		.amdhsa_user_sgpr_count 15
		.amdhsa_user_sgpr_dispatch_ptr 0
		.amdhsa_user_sgpr_queue_ptr 0
		.amdhsa_user_sgpr_kernarg_segment_ptr 1
		.amdhsa_user_sgpr_dispatch_id 0
		.amdhsa_user_sgpr_private_segment_size 0
		.amdhsa_wavefront_size32 1
		.amdhsa_uses_dynamic_stack 0
		.amdhsa_enable_private_segment 0
		.amdhsa_system_sgpr_workgroup_id_x 1
		.amdhsa_system_sgpr_workgroup_id_y 0
		.amdhsa_system_sgpr_workgroup_id_z 0
		.amdhsa_system_sgpr_workgroup_info 0
		.amdhsa_system_vgpr_workitem_id 0
		.amdhsa_next_free_vgpr 28
		.amdhsa_next_free_sgpr 44
		.amdhsa_reserve_vcc 1
		.amdhsa_float_round_mode_32 0
		.amdhsa_float_round_mode_16_64 0
		.amdhsa_float_denorm_mode_32 3
		.amdhsa_float_denorm_mode_16_64 3
		.amdhsa_dx10_clamp 1
		.amdhsa_ieee_mode 1
		.amdhsa_fp16_overflow 0
		.amdhsa_workgroup_processor_mode 1
		.amdhsa_memory_ordered 1
		.amdhsa_forward_progress 0
		.amdhsa_shared_vgpr_count 0
		.amdhsa_exception_fp_ieee_invalid_op 0
		.amdhsa_exception_fp_denorm_src 0
		.amdhsa_exception_fp_ieee_div_zero 0
		.amdhsa_exception_fp_ieee_overflow 0
		.amdhsa_exception_fp_ieee_underflow 0
		.amdhsa_exception_fp_ieee_inexact 0
		.amdhsa_exception_int_div_zero 0
	.end_amdhsa_kernel
	.section	.text._ZN9rocsparseL26csrgemm_fill_block_per_rowILj128ELj16ELj256ELj137ELj64ElidEEvT5_PKS1_S3_NS_24const_host_device_scalarIT6_EEPKT4_S3_PKS5_S9_S3_SB_S6_S9_S3_SB_S9_PS1_PS5_21rocsparse_index_base_SE_SE_SE_bbb,"axG",@progbits,_ZN9rocsparseL26csrgemm_fill_block_per_rowILj128ELj16ELj256ELj137ELj64ElidEEvT5_PKS1_S3_NS_24const_host_device_scalarIT6_EEPKT4_S3_PKS5_S9_S3_SB_S6_S9_S3_SB_S9_PS1_PS5_21rocsparse_index_base_SE_SE_SE_bbb,comdat
.Lfunc_end200:
	.size	_ZN9rocsparseL26csrgemm_fill_block_per_rowILj128ELj16ELj256ELj137ELj64ElidEEvT5_PKS1_S3_NS_24const_host_device_scalarIT6_EEPKT4_S3_PKS5_S9_S3_SB_S6_S9_S3_SB_S9_PS1_PS5_21rocsparse_index_base_SE_SE_SE_bbb, .Lfunc_end200-_ZN9rocsparseL26csrgemm_fill_block_per_rowILj128ELj16ELj256ELj137ELj64ElidEEvT5_PKS1_S3_NS_24const_host_device_scalarIT6_EEPKT4_S3_PKS5_S9_S3_SB_S6_S9_S3_SB_S9_PS1_PS5_21rocsparse_index_base_SE_SE_SE_bbb
                                        ; -- End function
	.section	.AMDGPU.csdata,"",@progbits
; Kernel info:
; codeLenInByte = 3092
; NumSgprs: 46
; NumVgprs: 28
; ScratchSize: 0
; MemoryBound: 0
; FloatMode: 240
; IeeeMode: 1
; LDSByteSize: 0 bytes/workgroup (compile time only)
; SGPRBlocks: 5
; VGPRBlocks: 3
; NumSGPRsForWavesPerEU: 46
; NumVGPRsForWavesPerEU: 28
; Occupancy: 16
; WaveLimiterHint : 1
; COMPUTE_PGM_RSRC2:SCRATCH_EN: 0
; COMPUTE_PGM_RSRC2:USER_SGPR: 15
; COMPUTE_PGM_RSRC2:TRAP_HANDLER: 0
; COMPUTE_PGM_RSRC2:TGID_X_EN: 1
; COMPUTE_PGM_RSRC2:TGID_Y_EN: 0
; COMPUTE_PGM_RSRC2:TGID_Z_EN: 0
; COMPUTE_PGM_RSRC2:TIDIG_COMP_CNT: 0
	.section	.text._ZN9rocsparseL26csrgemm_fill_block_per_rowILj256ELj32ELj512ELj137ELj32ElidEEvT5_PKS1_S3_NS_24const_host_device_scalarIT6_EEPKT4_S3_PKS5_S9_S3_SB_S6_S9_S3_SB_S9_PS1_PS5_21rocsparse_index_base_SE_SE_SE_bbb,"axG",@progbits,_ZN9rocsparseL26csrgemm_fill_block_per_rowILj256ELj32ELj512ELj137ELj32ElidEEvT5_PKS1_S3_NS_24const_host_device_scalarIT6_EEPKT4_S3_PKS5_S9_S3_SB_S6_S9_S3_SB_S9_PS1_PS5_21rocsparse_index_base_SE_SE_SE_bbb,comdat
	.globl	_ZN9rocsparseL26csrgemm_fill_block_per_rowILj256ELj32ELj512ELj137ELj32ElidEEvT5_PKS1_S3_NS_24const_host_device_scalarIT6_EEPKT4_S3_PKS5_S9_S3_SB_S6_S9_S3_SB_S9_PS1_PS5_21rocsparse_index_base_SE_SE_SE_bbb ; -- Begin function _ZN9rocsparseL26csrgemm_fill_block_per_rowILj256ELj32ELj512ELj137ELj32ElidEEvT5_PKS1_S3_NS_24const_host_device_scalarIT6_EEPKT4_S3_PKS5_S9_S3_SB_S6_S9_S3_SB_S9_PS1_PS5_21rocsparse_index_base_SE_SE_SE_bbb
	.p2align	8
	.type	_ZN9rocsparseL26csrgemm_fill_block_per_rowILj256ELj32ELj512ELj137ELj32ElidEEvT5_PKS1_S3_NS_24const_host_device_scalarIT6_EEPKT4_S3_PKS5_S9_S3_SB_S6_S9_S3_SB_S9_PS1_PS5_21rocsparse_index_base_SE_SE_SE_bbb,@function
_ZN9rocsparseL26csrgemm_fill_block_per_rowILj256ELj32ELj512ELj137ELj32ElidEEvT5_PKS1_S3_NS_24const_host_device_scalarIT6_EEPKT4_S3_PKS5_S9_S3_SB_S6_S9_S3_SB_S9_PS1_PS5_21rocsparse_index_base_SE_SE_SE_bbb: ; @_ZN9rocsparseL26csrgemm_fill_block_per_rowILj256ELj32ELj512ELj137ELj32ElidEEvT5_PKS1_S3_NS_24const_host_device_scalarIT6_EEPKT4_S3_PKS5_S9_S3_SB_S6_S9_S3_SB_S9_PS1_PS5_21rocsparse_index_base_SE_SE_SE_bbb
; %bb.0:
	s_clause 0x2
	s_load_b32 s6, s[0:1], 0x98
	s_load_b64 s[4:5], s[0:1], 0x18
	s_load_b64 s[2:3], s[0:1], 0x50
	s_waitcnt lgkmcnt(0)
	s_and_b32 s8, 1, s6
	s_bitcmp1_b32 s6, 16
	s_cselect_b32 s7, -1, 0
	s_cmp_eq_u32 s8, 1
	s_cselect_b32 s13, -1, 0
	s_delay_alu instid0(SALU_CYCLE_1)
	s_and_b32 s8, s13, exec_lo
	s_cselect_b32 s9, s5, 0
	s_cselect_b32 s8, s4, 0
	s_xor_b32 s10, s13, -1
	v_dual_mov_b32 v3, s8 :: v_dual_mov_b32 v4, s9
	s_or_b32 s10, s10, s7
	s_delay_alu instid0(SALU_CYCLE_1)
	s_and_b32 vcc_lo, exec_lo, s10
	s_cbranch_vccnz .LBB201_2
; %bb.1:
	v_dual_mov_b32 v1, s4 :: v_dual_mov_b32 v2, s5
	flat_load_b64 v[3:4], v[1:2]
.LBB201_2:
	s_load_b128 s[24:27], s[0:1], 0x88
	s_bitcmp1_b32 s6, 8
	s_cselect_b32 s33, -1, 0
	s_delay_alu instid0(SALU_CYCLE_1)
	s_and_b32 s4, s33, exec_lo
	s_cselect_b32 s5, s3, 0
	s_cselect_b32 s4, s2, 0
	s_xor_b32 s6, s33, -1
	v_dual_mov_b32 v1, s4 :: v_dual_mov_b32 v2, s5
	s_or_b32 s6, s6, s7
	s_delay_alu instid0(SALU_CYCLE_1)
	s_and_b32 vcc_lo, exec_lo, s6
	s_cbranch_vccnz .LBB201_4
; %bb.3:
	v_dual_mov_b32 v1, s2 :: v_dual_mov_b32 v2, s3
	flat_load_b64 v[1:2], v[1:2]
.LBB201_4:
	s_clause 0x5
	s_load_b128 s[28:31], s[0:1], 0x78
	s_load_b256 s[4:11], s[0:1], 0x58
	s_load_b128 s[36:39], s[0:1], 0x40
	s_load_b256 s[16:23], s[0:1], 0x20
	s_load_b128 s[40:43], s[0:1], 0x8
	s_load_b32 s14, s[0:1], 0x0
	v_cmp_gt_u32_e64 s0, 0x200, v0
	v_lshlrev_b32_e32 v19, 3, v0
	v_or_b32_e32 v17, 0xffffff00, v0
	v_lshl_add_u32 v18, v0, 2, 0
	s_delay_alu instid0(VALU_DEP_4)
	s_and_saveexec_b32 s1, s0
	s_cbranch_execz .LBB201_7
; %bb.5:
	s_waitcnt lgkmcnt(0)
	v_dual_mov_b32 v5, 0 :: v_dual_mov_b32 v10, s14
	v_add3_u32 v7, v19, 0, 0x800
	v_or_b32_e32 v8, 0xffffff00, v0
	v_lshl_add_u32 v9, v0, 2, 0
	s_delay_alu instid0(VALU_DEP_4)
	v_mov_b32_e32 v6, v5
	s_mov_b32 s2, 0
.LBB201_6:                              ; =>This Inner Loop Header: Depth=1
	s_delay_alu instid0(VALU_DEP_3) | instskip(NEXT) | instid1(VALU_DEP_1)
	v_add_co_u32 v8, s3, 0x100, v8
	s_xor_b32 s3, s3, -1
	ds_store_b32 v9, v10
	ds_store_b64 v7, v[5:6]
	v_add_nc_u32_e32 v7, 0x800, v7
	v_add_nc_u32_e32 v9, 0x400, v9
	s_and_b32 s3, exec_lo, s3
	s_delay_alu instid0(SALU_CYCLE_1) | instskip(NEXT) | instid1(SALU_CYCLE_1)
	s_or_b32 s2, s3, s2
	s_and_not1_b32 exec_lo, exec_lo, s2
	s_cbranch_execnz .LBB201_6
.LBB201_7:
	s_or_b32 exec_lo, exec_lo, s1
	s_waitcnt vmcnt(0) lgkmcnt(0)
	s_barrier
	buffer_gl0_inv
	s_load_b32 s1, s[40:41], 0x0
	s_mov_b32 s3, 0
	v_lshrrev_b32_e32 v20, 5, v0
	s_waitcnt lgkmcnt(0)
	s_add_i32 s2, s1, s15
	s_delay_alu instid0(SALU_CYCLE_1) | instskip(NEXT) | instid1(SALU_CYCLE_1)
	s_lshl_b64 s[2:3], s[2:3], 2
	s_add_u32 s2, s42, s2
	s_addc_u32 s3, s43, s3
	s_and_b32 vcc_lo, exec_lo, s13
	s_load_b32 s12, s[2:3], 0x0
	s_cbranch_vccz .LBB201_31
; %bb.8:
	s_waitcnt lgkmcnt(0)
	s_ashr_i32 s13, s12, 31
	v_sub_co_u32 v5, s1, v20, s24
	s_lshl_b64 s[2:3], s[12:13], 3
	v_sub_co_ci_u32_e64 v6, null, 0, 0, s1
	s_add_u32 s2, s16, s2
	s_addc_u32 s3, s17, s3
	s_mov_b32 s1, exec_lo
	s_load_b128 s[40:43], s[2:3], 0x0
	s_waitcnt lgkmcnt(0)
	v_add_co_u32 v5, vcc_lo, s40, v5
	v_add_co_ci_u32_e32 v6, vcc_lo, s41, v6, vcc_lo
	s_sub_u32 s2, s42, s24
	s_subb_u32 s3, s43, 0
	s_delay_alu instid0(VALU_DEP_1) | instid1(SALU_CYCLE_1)
	v_cmpx_gt_i64_e64 s[2:3], v[5:6]
	s_cbranch_execz .LBB201_30
; %bb.9:
	v_and_b32_e32 v7, 31, v0
	s_mov_b32 s15, s25
	s_delay_alu instid0(VALU_DEP_1) | instskip(NEXT) | instid1(VALU_DEP_1)
	v_sub_co_u32 v21, s13, v7, s25
	v_sub_co_ci_u32_e64 v22, null, 0, 0, s13
	s_mov_b32 s13, 0
	s_branch .LBB201_11
.LBB201_10:                             ;   in Loop: Header=BB201_11 Depth=1
	s_or_b32 exec_lo, exec_lo, s16
	v_add_co_u32 v5, vcc_lo, v5, 8
	v_add_co_ci_u32_e32 v6, vcc_lo, 0, v6, vcc_lo
	s_delay_alu instid0(VALU_DEP_1) | instskip(SKIP_1) | instid1(SALU_CYCLE_1)
	v_cmp_le_i64_e32 vcc_lo, s[2:3], v[5:6]
	s_or_b32 s13, vcc_lo, s13
	s_and_not1_b32 exec_lo, exec_lo, s13
	s_cbranch_execz .LBB201_30
.LBB201_11:                             ; =>This Loop Header: Depth=1
                                        ;     Child Loop BB201_14 Depth 2
                                        ;       Child Loop BB201_16 Depth 3
                                        ;         Child Loop BB201_22 Depth 4
                                        ;         Child Loop BB201_28 Depth 4
	v_lshlrev_b64 v[7:8], 2, v[5:6]
	s_mov_b32 s16, exec_lo
	s_delay_alu instid0(VALU_DEP_1) | instskip(NEXT) | instid1(VALU_DEP_2)
	v_add_co_u32 v7, vcc_lo, s18, v7
	v_add_co_ci_u32_e32 v8, vcc_lo, s19, v8, vcc_lo
	global_load_b32 v7, v[7:8], off
	s_waitcnt vmcnt(0)
	v_subrev_nc_u32_e32 v7, s24, v7
	s_delay_alu instid0(VALU_DEP_1) | instskip(NEXT) | instid1(VALU_DEP_1)
	v_ashrrev_i32_e32 v8, 31, v7
	v_lshlrev_b64 v[7:8], 3, v[7:8]
	s_delay_alu instid0(VALU_DEP_1) | instskip(NEXT) | instid1(VALU_DEP_2)
	v_add_co_u32 v7, vcc_lo, s22, v7
	v_add_co_ci_u32_e32 v8, vcc_lo, s23, v8, vcc_lo
	global_load_b128 v[9:12], v[7:8], off
	s_waitcnt vmcnt(0)
	v_sub_co_u32 v7, vcc_lo, v11, s15
	v_subrev_co_ci_u32_e32 v8, vcc_lo, 0, v12, vcc_lo
	v_add_co_u32 v9, vcc_lo, v9, v21
	v_add_co_ci_u32_e32 v10, vcc_lo, v10, v22, vcc_lo
	s_delay_alu instid0(VALU_DEP_1)
	v_cmpx_lt_i64_e64 v[9:10], v[7:8]
	s_cbranch_execz .LBB201_10
; %bb.12:                               ;   in Loop: Header=BB201_11 Depth=1
	v_lshlrev_b64 v[11:12], 3, v[5:6]
	s_mov_b32 s17, 0
	s_delay_alu instid0(VALU_DEP_1) | instskip(NEXT) | instid1(VALU_DEP_2)
	v_add_co_u32 v11, vcc_lo, s20, v11
	v_add_co_ci_u32_e32 v12, vcc_lo, s21, v12, vcc_lo
	global_load_b64 v[11:12], v[11:12], off
	s_waitcnt vmcnt(0)
	v_mul_f64 v[11:12], v[3:4], v[11:12]
	s_branch .LBB201_14
.LBB201_13:                             ;   in Loop: Header=BB201_14 Depth=2
	s_or_b32 exec_lo, exec_lo, s34
	v_add_co_u32 v9, vcc_lo, v9, 32
	v_add_co_ci_u32_e32 v10, vcc_lo, 0, v10, vcc_lo
	s_delay_alu instid0(VALU_DEP_1) | instskip(SKIP_1) | instid1(SALU_CYCLE_1)
	v_cmp_ge_i64_e32 vcc_lo, v[9:10], v[7:8]
	s_or_b32 s17, vcc_lo, s17
	s_and_not1_b32 exec_lo, exec_lo, s17
	s_cbranch_execz .LBB201_10
.LBB201_14:                             ;   Parent Loop BB201_11 Depth=1
                                        ; =>  This Loop Header: Depth=2
                                        ;       Child Loop BB201_16 Depth 3
                                        ;         Child Loop BB201_22 Depth 4
                                        ;         Child Loop BB201_28 Depth 4
	v_lshlrev_b64 v[13:14], 3, v[9:10]
	v_lshlrev_b64 v[15:16], 2, v[9:10]
	s_mov_b32 s34, 0
	s_delay_alu instid0(VALU_DEP_2) | instskip(NEXT) | instid1(VALU_DEP_3)
	v_add_co_u32 v13, vcc_lo, s38, v13
	v_add_co_ci_u32_e32 v14, vcc_lo, s39, v14, vcc_lo
	s_delay_alu instid0(VALU_DEP_3) | instskip(NEXT) | instid1(VALU_DEP_4)
	v_add_co_u32 v15, vcc_lo, s36, v15
	v_add_co_ci_u32_e32 v16, vcc_lo, s37, v16, vcc_lo
	global_load_b64 v[13:14], v[13:14], off
	global_load_b32 v15, v[15:16], off
	s_waitcnt vmcnt(1)
	v_mul_f64 v[13:14], v[11:12], v[13:14]
	s_waitcnt vmcnt(0)
	v_subrev_nc_u32_e32 v23, s25, v15
	s_delay_alu instid0(VALU_DEP_1) | instskip(NEXT) | instid1(VALU_DEP_1)
	v_mul_lo_u32 v15, 0x89, v23
	v_and_b32_e32 v24, 0x1ff, v15
	s_branch .LBB201_16
.LBB201_15:                             ;   in Loop: Header=BB201_16 Depth=3
	s_or_b32 exec_lo, exec_lo, s35
	s_xor_b32 s35, s40, -1
	s_delay_alu instid0(SALU_CYCLE_1) | instskip(NEXT) | instid1(SALU_CYCLE_1)
	s_and_b32 s35, exec_lo, s35
	s_or_b32 s34, s35, s34
	s_delay_alu instid0(SALU_CYCLE_1)
	s_and_not1_b32 exec_lo, exec_lo, s34
	s_cbranch_execz .LBB201_13
.LBB201_16:                             ;   Parent Loop BB201_11 Depth=1
                                        ;     Parent Loop BB201_14 Depth=2
                                        ; =>    This Loop Header: Depth=3
                                        ;         Child Loop BB201_22 Depth 4
                                        ;         Child Loop BB201_28 Depth 4
	s_delay_alu instid0(VALU_DEP_1)
	v_lshl_add_u32 v15, v24, 2, 0
	s_mov_b32 s35, exec_lo
                                        ; implicit-def: $sgpr40
	ds_load_b32 v16, v15
	s_waitcnt lgkmcnt(0)
	v_cmpx_ne_u32_e64 v16, v23
	s_xor_b32 s35, exec_lo, s35
	s_cbranch_execz .LBB201_26
; %bb.17:                               ;   in Loop: Header=BB201_16 Depth=3
	s_mov_b32 s41, exec_lo
                                        ; implicit-def: $sgpr40
	v_cmpx_ne_u32_e64 s14, v16
	s_xor_b32 s41, exec_lo, s41
; %bb.18:                               ;   in Loop: Header=BB201_16 Depth=3
	v_add_nc_u32_e32 v15, 1, v24
	s_mov_b32 s40, -1
	s_delay_alu instid0(VALU_DEP_1)
	v_and_b32_e32 v24, 0x1ff, v15
                                        ; implicit-def: $vgpr15
; %bb.19:                               ;   in Loop: Header=BB201_16 Depth=3
	s_and_not1_saveexec_b32 s41, s41
	s_cbranch_execz .LBB201_25
; %bb.20:                               ;   in Loop: Header=BB201_16 Depth=3
	v_mov_b32_e32 v16, s14
	s_mov_b32 s43, -1
	s_mov_b32 s42, exec_lo
	ds_cmpstore_rtn_b32 v16, v15, v23, v16
	s_waitcnt lgkmcnt(0)
	v_cmpx_eq_u32_e64 s14, v16
	s_cbranch_execz .LBB201_24
; %bb.21:                               ;   in Loop: Header=BB201_16 Depth=3
	v_lshlrev_b32_e32 v16, 2, v24
	s_mov_b32 s43, 0
	s_delay_alu instid0(VALU_DEP_1)
	v_add_nc_u32_e32 v25, v15, v16
	ds_load_b64 v[15:16], v25 offset:2048
.LBB201_22:                             ;   Parent Loop BB201_11 Depth=1
                                        ;     Parent Loop BB201_14 Depth=2
                                        ;       Parent Loop BB201_16 Depth=3
                                        ; =>      This Inner Loop Header: Depth=4
	s_waitcnt lgkmcnt(0)
	v_add_f64 v[26:27], v[15:16], v[13:14]
	ds_cmpstore_rtn_b64 v[26:27], v25, v[26:27], v[15:16] offset:2048
	s_waitcnt lgkmcnt(0)
	v_cmp_eq_u64_e32 vcc_lo, v[26:27], v[15:16]
	v_dual_mov_b32 v15, v26 :: v_dual_mov_b32 v16, v27
	s_or_b32 s43, vcc_lo, s43
	s_delay_alu instid0(SALU_CYCLE_1)
	s_and_not1_b32 exec_lo, exec_lo, s43
	s_cbranch_execnz .LBB201_22
; %bb.23:                               ;   in Loop: Header=BB201_16 Depth=3
	s_or_b32 exec_lo, exec_lo, s43
	s_delay_alu instid0(SALU_CYCLE_1)
	s_xor_b32 s43, exec_lo, -1
.LBB201_24:                             ;   in Loop: Header=BB201_16 Depth=3
	s_or_b32 exec_lo, exec_lo, s42
	s_delay_alu instid0(SALU_CYCLE_1) | instskip(SKIP_1) | instid1(SALU_CYCLE_1)
	s_and_not1_b32 s40, s40, exec_lo
	s_and_b32 s42, s43, exec_lo
	s_or_b32 s40, s40, s42
.LBB201_25:                             ;   in Loop: Header=BB201_16 Depth=3
	s_or_b32 exec_lo, exec_lo, s41
	s_delay_alu instid0(SALU_CYCLE_1)
	s_and_b32 s40, s40, exec_lo
                                        ; implicit-def: $vgpr15
.LBB201_26:                             ;   in Loop: Header=BB201_16 Depth=3
	s_and_not1_saveexec_b32 s35, s35
	s_cbranch_execz .LBB201_15
; %bb.27:                               ;   in Loop: Header=BB201_16 Depth=3
	v_lshlrev_b32_e32 v16, 2, v24
	s_mov_b32 s41, 0
	s_delay_alu instid0(VALU_DEP_1)
	v_add_nc_u32_e32 v25, v15, v16
	ds_load_b64 v[15:16], v25 offset:2048
.LBB201_28:                             ;   Parent Loop BB201_11 Depth=1
                                        ;     Parent Loop BB201_14 Depth=2
                                        ;       Parent Loop BB201_16 Depth=3
                                        ; =>      This Inner Loop Header: Depth=4
	s_waitcnt lgkmcnt(0)
	v_add_f64 v[26:27], v[15:16], v[13:14]
	ds_cmpstore_rtn_b64 v[26:27], v25, v[26:27], v[15:16] offset:2048
	s_waitcnt lgkmcnt(0)
	v_cmp_eq_u64_e32 vcc_lo, v[26:27], v[15:16]
	v_dual_mov_b32 v15, v26 :: v_dual_mov_b32 v16, v27
	s_or_b32 s41, vcc_lo, s41
	s_delay_alu instid0(SALU_CYCLE_1)
	s_and_not1_b32 exec_lo, exec_lo, s41
	s_cbranch_execnz .LBB201_28
; %bb.29:                               ;   in Loop: Header=BB201_16 Depth=3
	s_or_b32 exec_lo, exec_lo, s41
	s_delay_alu instid0(SALU_CYCLE_1)
	s_and_not1_b32 s40, s40, exec_lo
	s_branch .LBB201_15
.LBB201_30:
	s_or_b32 exec_lo, exec_lo, s1
.LBB201_31:
	s_delay_alu instid0(SALU_CYCLE_1)
	s_and_not1_b32 vcc_lo, exec_lo, s33
	s_cbranch_vccnz .LBB201_34
; %bb.32:
	s_waitcnt lgkmcnt(0)
	s_ashr_i32 s13, s12, 31
	v_sub_co_u32 v3, s1, v0, s27
	s_lshl_b64 s[2:3], s[12:13], 3
	v_sub_co_ci_u32_e64 v4, null, 0, 0, s1
	s_add_u32 s2, s4, s2
	s_addc_u32 s3, s5, s3
	s_mov_b32 s4, 0
	s_load_b128 s[16:19], s[2:3], 0x0
	s_mov_b32 s1, exec_lo
	s_waitcnt lgkmcnt(0)
	v_add_co_u32 v3, vcc_lo, s16, v3
	v_add_co_ci_u32_e32 v4, vcc_lo, s17, v4, vcc_lo
	s_sub_u32 s2, s18, s27
	s_subb_u32 s3, s19, 0
	s_delay_alu instid0(VALU_DEP_1) | instid1(SALU_CYCLE_1)
	v_cmpx_gt_i64_e64 s[2:3], v[3:4]
	s_cbranch_execnz .LBB201_56
.LBB201_33:
	s_or_b32 exec_lo, exec_lo, s1
.LBB201_34:
	s_waitcnt lgkmcnt(0)
	s_barrier
	buffer_gl0_inv
	s_and_saveexec_b32 s8, s0
	s_cbranch_execz .LBB201_72
; %bb.35:
	v_mbcnt_lo_u32_b32 v1, -1, 0
	v_lshl_add_u32 v4, v20, 2, 0
	v_cmp_eq_u32_e32 vcc_lo, 0xff, v0
	v_cmp_lt_u32_e64 s0, 31, v0
	v_cmp_lt_u32_e64 s1, 63, v0
	v_xor_b32_e32 v1, 63, v1
	v_cmp_lt_u32_e64 s2, 0x5f, v0
	v_cmp_lt_u32_e64 s3, 0x7f, v0
	;; [unrolled: 1-line block ×4, first 2 shown]
	v_lshrrev_b64 v[1:2], v1, -1
	v_cmp_lt_u32_e64 s6, 0xdf, v0
	v_add3_u32 v5, v19, 0, 0x800
	v_dual_mov_b32 v6, 0 :: v_dual_mov_b32 v7, 0
	s_mov_b32 s9, 0
	s_branch .LBB201_37
.LBB201_36:                             ;   in Loop: Header=BB201_37 Depth=1
	s_or_b32 exec_lo, exec_lo, s7
	s_waitcnt lgkmcnt(0)
	s_barrier
	buffer_gl0_inv
	ds_load_b32 v2, v6 offset:6172
	v_add_co_u32 v17, s7, 0x100, v17
	s_delay_alu instid0(VALU_DEP_1) | instskip(SKIP_3) | instid1(SALU_CYCLE_1)
	s_xor_b32 s7, s7, -1
	v_add_nc_u32_e32 v5, 0x800, v5
	v_add_nc_u32_e32 v18, 0x400, v18
	s_and_b32 s7, exec_lo, s7
	s_or_b32 s9, s7, s9
	s_waitcnt lgkmcnt(0)
	v_add_nc_u32_e32 v7, v2, v7
	s_and_not1_b32 exec_lo, exec_lo, s9
	s_cbranch_execz .LBB201_72
.LBB201_37:                             ; =>This Inner Loop Header: Depth=1
	ds_load_b32 v8, v18
	ds_load_b64 v[2:3], v5
	s_waitcnt lgkmcnt(0)
	s_barrier
	buffer_gl0_inv
	v_cmp_gt_i32_e64 s7, s14, v8
	s_delay_alu instid0(VALU_DEP_1) | instskip(NEXT) | instid1(SALU_CYCLE_1)
	s_bcnt1_i32_b32 s13, s7
	v_dual_mov_b32 v10, s13 :: v_dual_and_b32 v9, s7, v1
	s_delay_alu instid0(VALU_DEP_1)
	v_bcnt_u32_b32 v9, v9, 0
	ds_store_b32 v4, v10 offset:6144
	s_waitcnt lgkmcnt(0)
	s_barrier
	buffer_gl0_inv
	s_and_saveexec_b32 s13, s0
	s_cbranch_execnz .LBB201_46
; %bb.38:                               ;   in Loop: Header=BB201_37 Depth=1
	s_or_b32 exec_lo, exec_lo, s13
	s_and_saveexec_b32 s13, s1
	s_cbranch_execnz .LBB201_47
.LBB201_39:                             ;   in Loop: Header=BB201_37 Depth=1
	s_or_b32 exec_lo, exec_lo, s13
	s_and_saveexec_b32 s13, s2
	s_cbranch_execnz .LBB201_48
.LBB201_40:                             ;   in Loop: Header=BB201_37 Depth=1
	s_or_b32 exec_lo, exec_lo, s13
	s_and_saveexec_b32 s13, s3
	s_cbranch_execnz .LBB201_49
.LBB201_41:                             ;   in Loop: Header=BB201_37 Depth=1
	s_or_b32 exec_lo, exec_lo, s13
	s_and_saveexec_b32 s13, s4
	s_cbranch_execnz .LBB201_50
.LBB201_42:                             ;   in Loop: Header=BB201_37 Depth=1
	s_or_b32 exec_lo, exec_lo, s13
	s_and_saveexec_b32 s13, s5
	s_cbranch_execnz .LBB201_51
.LBB201_43:                             ;   in Loop: Header=BB201_37 Depth=1
	s_or_b32 exec_lo, exec_lo, s13
	s_and_saveexec_b32 s13, s6
	s_cbranch_execnz .LBB201_52
.LBB201_44:                             ;   in Loop: Header=BB201_37 Depth=1
	s_or_b32 exec_lo, exec_lo, s13
	s_and_saveexec_b32 s13, s7
	s_cbranch_execnz .LBB201_53
.LBB201_45:                             ;   in Loop: Header=BB201_37 Depth=1
	s_or_b32 exec_lo, exec_lo, s13
	s_and_saveexec_b32 s7, vcc_lo
	s_cbranch_execz .LBB201_36
	s_branch .LBB201_54
.LBB201_46:                             ;   in Loop: Header=BB201_37 Depth=1
	ds_load_b32 v10, v6 offset:6144
	s_waitcnt lgkmcnt(0)
	v_add_nc_u32_e32 v9, v10, v9
	s_or_b32 exec_lo, exec_lo, s13
	s_and_saveexec_b32 s13, s1
	s_cbranch_execz .LBB201_39
.LBB201_47:                             ;   in Loop: Header=BB201_37 Depth=1
	ds_load_b32 v10, v6 offset:6148
	s_waitcnt lgkmcnt(0)
	v_add_nc_u32_e32 v9, v10, v9
	s_or_b32 exec_lo, exec_lo, s13
	s_and_saveexec_b32 s13, s2
	s_cbranch_execz .LBB201_40
.LBB201_48:                             ;   in Loop: Header=BB201_37 Depth=1
	ds_load_b32 v10, v6 offset:6152
	s_waitcnt lgkmcnt(0)
	v_add_nc_u32_e32 v9, v10, v9
	s_or_b32 exec_lo, exec_lo, s13
	s_and_saveexec_b32 s13, s3
	s_cbranch_execz .LBB201_41
.LBB201_49:                             ;   in Loop: Header=BB201_37 Depth=1
	ds_load_b32 v10, v6 offset:6156
	s_waitcnt lgkmcnt(0)
	v_add_nc_u32_e32 v9, v10, v9
	s_or_b32 exec_lo, exec_lo, s13
	s_and_saveexec_b32 s13, s4
	s_cbranch_execz .LBB201_42
.LBB201_50:                             ;   in Loop: Header=BB201_37 Depth=1
	ds_load_b32 v10, v6 offset:6160
	s_waitcnt lgkmcnt(0)
	v_add_nc_u32_e32 v9, v10, v9
	s_or_b32 exec_lo, exec_lo, s13
	s_and_saveexec_b32 s13, s5
	s_cbranch_execz .LBB201_43
.LBB201_51:                             ;   in Loop: Header=BB201_37 Depth=1
	ds_load_b32 v10, v6 offset:6164
	s_waitcnt lgkmcnt(0)
	v_add_nc_u32_e32 v9, v10, v9
	s_or_b32 exec_lo, exec_lo, s13
	s_and_saveexec_b32 s13, s6
	s_cbranch_execz .LBB201_44
.LBB201_52:                             ;   in Loop: Header=BB201_37 Depth=1
	ds_load_b32 v10, v6 offset:6168
	s_waitcnt lgkmcnt(0)
	v_add_nc_u32_e32 v9, v10, v9
	s_or_b32 exec_lo, exec_lo, s13
	s_and_saveexec_b32 s13, s7
	s_cbranch_execz .LBB201_45
.LBB201_53:                             ;   in Loop: Header=BB201_37 Depth=1
	s_delay_alu instid0(VALU_DEP_1) | instskip(NEXT) | instid1(VALU_DEP_1)
	v_add3_u32 v10, v7, -1, v9
	v_lshl_add_u32 v11, v10, 2, 0
	v_lshl_add_u32 v10, v10, 3, 0
	ds_store_b32 v11, v8
	ds_store_b64 v10, v[2:3] offset:2048
	s_or_b32 exec_lo, exec_lo, s13
	s_and_saveexec_b32 s7, vcc_lo
	s_cbranch_execz .LBB201_36
.LBB201_54:                             ;   in Loop: Header=BB201_37 Depth=1
	ds_store_b32 v6, v9 offset:6172
	s_branch .LBB201_36
.LBB201_55:                             ;   in Loop: Header=BB201_56 Depth=1
	s_or_b32 exec_lo, exec_lo, s5
	v_add_co_u32 v3, vcc_lo, 0x100, v3
	v_add_co_ci_u32_e32 v4, vcc_lo, 0, v4, vcc_lo
	s_delay_alu instid0(VALU_DEP_1) | instskip(SKIP_1) | instid1(SALU_CYCLE_1)
	v_cmp_le_i64_e32 vcc_lo, s[2:3], v[3:4]
	s_or_b32 s4, vcc_lo, s4
	s_and_not1_b32 exec_lo, exec_lo, s4
	s_cbranch_execz .LBB201_33
.LBB201_56:                             ; =>This Loop Header: Depth=1
                                        ;     Child Loop BB201_58 Depth 2
                                        ;       Child Loop BB201_64 Depth 3
                                        ;       Child Loop BB201_70 Depth 3
	v_lshlrev_b64 v[5:6], 3, v[3:4]
	v_lshlrev_b64 v[7:8], 2, v[3:4]
	s_mov_b32 s5, 0
	s_delay_alu instid0(VALU_DEP_2) | instskip(NEXT) | instid1(VALU_DEP_3)
	v_add_co_u32 v5, vcc_lo, s8, v5
	v_add_co_ci_u32_e32 v6, vcc_lo, s9, v6, vcc_lo
	s_delay_alu instid0(VALU_DEP_3) | instskip(NEXT) | instid1(VALU_DEP_4)
	v_add_co_u32 v7, vcc_lo, s6, v7
	v_add_co_ci_u32_e32 v8, vcc_lo, s7, v8, vcc_lo
	global_load_b64 v[5:6], v[5:6], off
	global_load_b32 v7, v[7:8], off
	s_waitcnt vmcnt(1)
	v_mul_f64 v[5:6], v[1:2], v[5:6]
	s_waitcnt vmcnt(0)
	v_subrev_nc_u32_e32 v9, s27, v7
	s_delay_alu instid0(VALU_DEP_1) | instskip(NEXT) | instid1(VALU_DEP_1)
	v_mul_lo_u32 v7, 0x89, v9
	v_and_b32_e32 v10, 0x1ff, v7
	s_branch .LBB201_58
.LBB201_57:                             ;   in Loop: Header=BB201_58 Depth=2
	s_or_b32 exec_lo, exec_lo, s13
	s_xor_b32 s13, s15, -1
	s_delay_alu instid0(SALU_CYCLE_1) | instskip(NEXT) | instid1(SALU_CYCLE_1)
	s_and_b32 s13, exec_lo, s13
	s_or_b32 s5, s13, s5
	s_delay_alu instid0(SALU_CYCLE_1)
	s_and_not1_b32 exec_lo, exec_lo, s5
	s_cbranch_execz .LBB201_55
.LBB201_58:                             ;   Parent Loop BB201_56 Depth=1
                                        ; =>  This Loop Header: Depth=2
                                        ;       Child Loop BB201_64 Depth 3
                                        ;       Child Loop BB201_70 Depth 3
	s_delay_alu instid0(VALU_DEP_1)
	v_lshl_add_u32 v7, v10, 2, 0
	s_mov_b32 s13, exec_lo
                                        ; implicit-def: $sgpr15
	ds_load_b32 v8, v7
	s_waitcnt lgkmcnt(0)
	v_cmpx_ne_u32_e64 v8, v9
	s_xor_b32 s13, exec_lo, s13
	s_cbranch_execz .LBB201_68
; %bb.59:                               ;   in Loop: Header=BB201_58 Depth=2
	s_mov_b32 s16, exec_lo
                                        ; implicit-def: $sgpr15
	v_cmpx_ne_u32_e64 s14, v8
	s_xor_b32 s16, exec_lo, s16
; %bb.60:                               ;   in Loop: Header=BB201_58 Depth=2
	v_add_nc_u32_e32 v7, 1, v10
	s_mov_b32 s15, -1
	s_delay_alu instid0(VALU_DEP_1)
	v_and_b32_e32 v10, 0x1ff, v7
                                        ; implicit-def: $vgpr7
; %bb.61:                               ;   in Loop: Header=BB201_58 Depth=2
	s_and_not1_saveexec_b32 s16, s16
	s_cbranch_execz .LBB201_67
; %bb.62:                               ;   in Loop: Header=BB201_58 Depth=2
	v_mov_b32_e32 v8, s14
	s_mov_b32 s18, -1
	s_mov_b32 s17, exec_lo
	ds_cmpstore_rtn_b32 v8, v7, v9, v8
	s_waitcnt lgkmcnt(0)
	v_cmpx_eq_u32_e64 s14, v8
	s_cbranch_execz .LBB201_66
; %bb.63:                               ;   in Loop: Header=BB201_58 Depth=2
	v_lshlrev_b32_e32 v8, 2, v10
	s_mov_b32 s18, 0
	s_delay_alu instid0(VALU_DEP_1)
	v_add_nc_u32_e32 v11, v7, v8
	ds_load_b64 v[7:8], v11 offset:2048
.LBB201_64:                             ;   Parent Loop BB201_56 Depth=1
                                        ;     Parent Loop BB201_58 Depth=2
                                        ; =>    This Inner Loop Header: Depth=3
	s_waitcnt lgkmcnt(0)
	v_add_f64 v[12:13], v[7:8], v[5:6]
	ds_cmpstore_rtn_b64 v[12:13], v11, v[12:13], v[7:8] offset:2048
	s_waitcnt lgkmcnt(0)
	v_cmp_eq_u64_e32 vcc_lo, v[12:13], v[7:8]
	v_dual_mov_b32 v7, v12 :: v_dual_mov_b32 v8, v13
	s_or_b32 s18, vcc_lo, s18
	s_delay_alu instid0(SALU_CYCLE_1)
	s_and_not1_b32 exec_lo, exec_lo, s18
	s_cbranch_execnz .LBB201_64
; %bb.65:                               ;   in Loop: Header=BB201_58 Depth=2
	s_or_b32 exec_lo, exec_lo, s18
	s_delay_alu instid0(SALU_CYCLE_1)
	s_xor_b32 s18, exec_lo, -1
.LBB201_66:                             ;   in Loop: Header=BB201_58 Depth=2
	s_or_b32 exec_lo, exec_lo, s17
	s_delay_alu instid0(SALU_CYCLE_1) | instskip(SKIP_1) | instid1(SALU_CYCLE_1)
	s_and_not1_b32 s15, s15, exec_lo
	s_and_b32 s17, s18, exec_lo
	s_or_b32 s15, s15, s17
.LBB201_67:                             ;   in Loop: Header=BB201_58 Depth=2
	s_or_b32 exec_lo, exec_lo, s16
	s_delay_alu instid0(SALU_CYCLE_1)
	s_and_b32 s15, s15, exec_lo
                                        ; implicit-def: $vgpr7
.LBB201_68:                             ;   in Loop: Header=BB201_58 Depth=2
	s_and_not1_saveexec_b32 s13, s13
	s_cbranch_execz .LBB201_57
; %bb.69:                               ;   in Loop: Header=BB201_58 Depth=2
	v_lshlrev_b32_e32 v8, 2, v10
	s_mov_b32 s16, 0
	s_delay_alu instid0(VALU_DEP_1)
	v_add_nc_u32_e32 v11, v7, v8
	ds_load_b64 v[7:8], v11 offset:2048
.LBB201_70:                             ;   Parent Loop BB201_56 Depth=1
                                        ;     Parent Loop BB201_58 Depth=2
                                        ; =>    This Inner Loop Header: Depth=3
	s_waitcnt lgkmcnt(0)
	v_add_f64 v[12:13], v[7:8], v[5:6]
	ds_cmpstore_rtn_b64 v[12:13], v11, v[12:13], v[7:8] offset:2048
	s_waitcnt lgkmcnt(0)
	v_cmp_eq_u64_e32 vcc_lo, v[12:13], v[7:8]
	v_dual_mov_b32 v7, v12 :: v_dual_mov_b32 v8, v13
	s_or_b32 s16, vcc_lo, s16
	s_delay_alu instid0(SALU_CYCLE_1)
	s_and_not1_b32 exec_lo, exec_lo, s16
	s_cbranch_execnz .LBB201_70
; %bb.71:                               ;   in Loop: Header=BB201_58 Depth=2
	s_or_b32 exec_lo, exec_lo, s16
	s_delay_alu instid0(SALU_CYCLE_1)
	s_and_not1_b32 s15, s15, exec_lo
	s_branch .LBB201_57
.LBB201_72:
	s_or_b32 exec_lo, exec_lo, s8
	s_ashr_i32 s13, s12, 31
	s_mov_b32 s4, exec_lo
	s_lshl_b64 s[0:1], s[12:13], 3
	s_delay_alu instid0(SALU_CYCLE_1) | instskip(SKIP_4) | instid1(SALU_CYCLE_1)
	s_add_u32 s0, s10, s0
	s_addc_u32 s1, s11, s1
	s_load_b128 s[0:3], s[0:1], 0x0
	s_waitcnt lgkmcnt(0)
	s_sub_i32 s3, s2, s0
	v_cmpx_gt_i32_e64 s3, v0
	s_cbranch_execz .LBB201_82
; %bb.73:
	s_sub_u32 s4, s0, s26
	s_subb_u32 s5, s1, 0
	s_sub_i32 s0, s0, s2
	s_and_b32 s1, s3, 7
	s_cmp_lt_u32 s0, -7
	s_mov_b32 s8, 0
	s_cselect_b32 s2, -1, 0
	s_and_b32 s6, s3, -8
	s_cmp_lg_u32 s1, 0
	s_cselect_b32 s7, -1, 0
	s_branch .LBB201_75
.LBB201_74:                             ;   in Loop: Header=BB201_75 Depth=1
	s_delay_alu instid0(VALU_DEP_1) | instskip(SKIP_4) | instid1(VALU_DEP_4)
	v_lshlrev_b64 v[6:7], 2, v[3:4]
	v_lshlrev_b64 v[3:4], 3, v[3:4]
	v_add_nc_u32_e32 v0, 0x100, v0
	s_waitcnt lgkmcnt(1)
	v_add_nc_u32_e32 v8, s26, v5
	v_add_co_u32 v5, vcc_lo, s28, v6
	v_add_co_ci_u32_e32 v6, vcc_lo, s29, v7, vcc_lo
	v_cmp_le_i32_e32 vcc_lo, s3, v0
	v_add_co_u32 v3, s0, s30, v3
	s_delay_alu instid0(VALU_DEP_1)
	v_add_co_ci_u32_e64 v4, s0, s31, v4, s0
	s_or_b32 s8, vcc_lo, s8
	global_store_b32 v[5:6], v8, off
	s_waitcnt lgkmcnt(0)
	global_store_b64 v[3:4], v[1:2], off
	s_and_not1_b32 exec_lo, exec_lo, s8
	s_cbranch_execz .LBB201_82
.LBB201_75:                             ; =>This Loop Header: Depth=1
                                        ;     Child Loop BB201_77 Depth 2
                                        ;     Child Loop BB201_81 Depth 2
	v_lshlrev_b32_e32 v1, 2, v0
	v_dual_mov_b32 v3, s4 :: v_dual_mov_b32 v4, s5
	s_and_not1_b32 vcc_lo, exec_lo, s2
	s_mov_b32 s0, 0
	s_delay_alu instid0(VALU_DEP_2) | instskip(NEXT) | instid1(VALU_DEP_1)
	v_add_nc_u32_e32 v2, 0, v1
	v_add_nc_u32_e32 v1, v2, v1
	ds_load_b32 v5, v2
	ds_load_b64 v[1:2], v1 offset:2048
	s_cbranch_vccnz .LBB201_79
; %bb.76:                               ;   in Loop: Header=BB201_75 Depth=1
	v_dual_mov_b32 v3, s4 :: v_dual_mov_b32 v4, s5
	s_mov_b32 s9, 0
	s_mov_b32 s10, 0
.LBB201_77:                             ;   Parent Loop BB201_75 Depth=1
                                        ; =>  This Inner Loop Header: Depth=2
	s_delay_alu instid0(SALU_CYCLE_1)
	v_mov_b32_e32 v12, s10
	s_add_i32 s9, s9, 8
	s_add_i32 s10, s10, 32
	s_cmp_eq_u32 s6, s9
	ds_load_2addr_b32 v[6:7], v12 offset1:1
	ds_load_2addr_b32 v[8:9], v12 offset0:2 offset1:3
	ds_load_2addr_b32 v[10:11], v12 offset0:4 offset1:5
	;; [unrolled: 1-line block ×3, first 2 shown]
	s_waitcnt lgkmcnt(3)
	v_cmp_gt_i32_e32 vcc_lo, v5, v6
	v_cndmask_b32_e64 v6, 0, 1, vcc_lo
	v_cmp_gt_i32_e32 vcc_lo, v5, v7
	v_cndmask_b32_e64 v7, 0, 1, vcc_lo
	s_waitcnt lgkmcnt(2)
	v_cmp_gt_i32_e32 vcc_lo, v5, v8
	v_cndmask_b32_e64 v8, 0, 1, vcc_lo
	v_cmp_gt_i32_e32 vcc_lo, v5, v9
	v_cndmask_b32_e64 v9, 0, 1, vcc_lo
	s_waitcnt lgkmcnt(1)
	v_cmp_gt_i32_e32 vcc_lo, v5, v10
	v_cndmask_b32_e64 v10, 0, 1, vcc_lo
	v_add_co_u32 v3, vcc_lo, v3, v6
	v_add_co_ci_u32_e32 v4, vcc_lo, 0, v4, vcc_lo
	v_cmp_gt_i32_e32 vcc_lo, v5, v11
	s_delay_alu instid0(VALU_DEP_3) | instskip(NEXT) | instid1(VALU_DEP_1)
	v_add_co_u32 v3, s0, v3, v7
	v_add_co_ci_u32_e64 v4, s0, 0, v4, s0
	v_cndmask_b32_e64 v6, 0, 1, vcc_lo
	s_delay_alu instid0(VALU_DEP_3) | instskip(NEXT) | instid1(VALU_DEP_3)
	v_add_co_u32 v3, vcc_lo, v3, v8
	v_add_co_ci_u32_e32 v4, vcc_lo, 0, v4, vcc_lo
	s_waitcnt lgkmcnt(0)
	v_cmp_gt_i32_e32 vcc_lo, v5, v12
	s_delay_alu instid0(VALU_DEP_3) | instskip(NEXT) | instid1(VALU_DEP_1)
	v_add_co_u32 v3, s0, v3, v9
	v_add_co_ci_u32_e64 v4, s0, 0, v4, s0
	v_cndmask_b32_e64 v7, 0, 1, vcc_lo
	s_delay_alu instid0(VALU_DEP_3) | instskip(NEXT) | instid1(VALU_DEP_3)
	v_add_co_u32 v3, vcc_lo, v3, v10
	v_add_co_ci_u32_e32 v4, vcc_lo, 0, v4, vcc_lo
	v_cmp_gt_i32_e32 vcc_lo, v5, v13
	s_delay_alu instid0(VALU_DEP_3) | instskip(NEXT) | instid1(VALU_DEP_1)
	v_add_co_u32 v3, s0, v3, v6
	v_add_co_ci_u32_e64 v4, s0, 0, v4, s0
	v_cndmask_b32_e64 v6, 0, 1, vcc_lo
	s_delay_alu instid0(VALU_DEP_3) | instskip(NEXT) | instid1(VALU_DEP_3)
	v_add_co_u32 v3, vcc_lo, v3, v7
	v_add_co_ci_u32_e32 v4, vcc_lo, 0, v4, vcc_lo
	s_delay_alu instid0(VALU_DEP_2) | instskip(NEXT) | instid1(VALU_DEP_2)
	v_add_co_u32 v3, vcc_lo, v3, v6
	v_add_co_ci_u32_e32 v4, vcc_lo, 0, v4, vcc_lo
	s_cbranch_scc0 .LBB201_77
; %bb.78:                               ;   in Loop: Header=BB201_75 Depth=1
	s_mov_b32 s0, s6
.LBB201_79:                             ;   in Loop: Header=BB201_75 Depth=1
	s_and_not1_b32 vcc_lo, exec_lo, s7
	s_cbranch_vccnz .LBB201_74
; %bb.80:                               ;   in Loop: Header=BB201_75 Depth=1
	s_lshl_b32 s0, s0, 2
	s_mov_b32 s9, s1
	s_add_i32 s0, s0, 0
.LBB201_81:                             ;   Parent Loop BB201_75 Depth=1
                                        ; =>  This Inner Loop Header: Depth=2
	s_delay_alu instid0(SALU_CYCLE_1)
	v_mov_b32_e32 v6, s0
	s_add_i32 s9, s9, -1
	s_add_i32 s0, s0, 4
	s_cmp_lg_u32 s9, 0
	ds_load_b32 v6, v6
	s_waitcnt lgkmcnt(0)
	v_cmp_gt_i32_e32 vcc_lo, v5, v6
	v_cndmask_b32_e64 v6, 0, 1, vcc_lo
	s_delay_alu instid0(VALU_DEP_1)
	v_add_co_u32 v3, vcc_lo, v3, v6
	v_add_co_ci_u32_e32 v4, vcc_lo, 0, v4, vcc_lo
	s_cbranch_scc1 .LBB201_81
	s_branch .LBB201_74
.LBB201_82:
	s_nop 0
	s_sendmsg sendmsg(MSG_DEALLOC_VGPRS)
	s_endpgm
	.section	.rodata,"a",@progbits
	.p2align	6, 0x0
	.amdhsa_kernel _ZN9rocsparseL26csrgemm_fill_block_per_rowILj256ELj32ELj512ELj137ELj32ElidEEvT5_PKS1_S3_NS_24const_host_device_scalarIT6_EEPKT4_S3_PKS5_S9_S3_SB_S6_S9_S3_SB_S9_PS1_PS5_21rocsparse_index_base_SE_SE_SE_bbb
		.amdhsa_group_segment_fixed_size 0
		.amdhsa_private_segment_fixed_size 0
		.amdhsa_kernarg_size 156
		.amdhsa_user_sgpr_count 15
		.amdhsa_user_sgpr_dispatch_ptr 0
		.amdhsa_user_sgpr_queue_ptr 0
		.amdhsa_user_sgpr_kernarg_segment_ptr 1
		.amdhsa_user_sgpr_dispatch_id 0
		.amdhsa_user_sgpr_private_segment_size 0
		.amdhsa_wavefront_size32 1
		.amdhsa_uses_dynamic_stack 0
		.amdhsa_enable_private_segment 0
		.amdhsa_system_sgpr_workgroup_id_x 1
		.amdhsa_system_sgpr_workgroup_id_y 0
		.amdhsa_system_sgpr_workgroup_id_z 0
		.amdhsa_system_sgpr_workgroup_info 0
		.amdhsa_system_vgpr_workitem_id 0
		.amdhsa_next_free_vgpr 28
		.amdhsa_next_free_sgpr 44
		.amdhsa_reserve_vcc 1
		.amdhsa_float_round_mode_32 0
		.amdhsa_float_round_mode_16_64 0
		.amdhsa_float_denorm_mode_32 3
		.amdhsa_float_denorm_mode_16_64 3
		.amdhsa_dx10_clamp 1
		.amdhsa_ieee_mode 1
		.amdhsa_fp16_overflow 0
		.amdhsa_workgroup_processor_mode 1
		.amdhsa_memory_ordered 1
		.amdhsa_forward_progress 0
		.amdhsa_shared_vgpr_count 0
		.amdhsa_exception_fp_ieee_invalid_op 0
		.amdhsa_exception_fp_denorm_src 0
		.amdhsa_exception_fp_ieee_div_zero 0
		.amdhsa_exception_fp_ieee_overflow 0
		.amdhsa_exception_fp_ieee_underflow 0
		.amdhsa_exception_fp_ieee_inexact 0
		.amdhsa_exception_int_div_zero 0
	.end_amdhsa_kernel
	.section	.text._ZN9rocsparseL26csrgemm_fill_block_per_rowILj256ELj32ELj512ELj137ELj32ElidEEvT5_PKS1_S3_NS_24const_host_device_scalarIT6_EEPKT4_S3_PKS5_S9_S3_SB_S6_S9_S3_SB_S9_PS1_PS5_21rocsparse_index_base_SE_SE_SE_bbb,"axG",@progbits,_ZN9rocsparseL26csrgemm_fill_block_per_rowILj256ELj32ELj512ELj137ELj32ElidEEvT5_PKS1_S3_NS_24const_host_device_scalarIT6_EEPKT4_S3_PKS5_S9_S3_SB_S6_S9_S3_SB_S9_PS1_PS5_21rocsparse_index_base_SE_SE_SE_bbb,comdat
.Lfunc_end201:
	.size	_ZN9rocsparseL26csrgemm_fill_block_per_rowILj256ELj32ELj512ELj137ELj32ElidEEvT5_PKS1_S3_NS_24const_host_device_scalarIT6_EEPKT4_S3_PKS5_S9_S3_SB_S6_S9_S3_SB_S9_PS1_PS5_21rocsparse_index_base_SE_SE_SE_bbb, .Lfunc_end201-_ZN9rocsparseL26csrgemm_fill_block_per_rowILj256ELj32ELj512ELj137ELj32ElidEEvT5_PKS1_S3_NS_24const_host_device_scalarIT6_EEPKT4_S3_PKS5_S9_S3_SB_S6_S9_S3_SB_S9_PS1_PS5_21rocsparse_index_base_SE_SE_SE_bbb
                                        ; -- End function
	.section	.AMDGPU.csdata,"",@progbits
; Kernel info:
; codeLenInByte = 3392
; NumSgprs: 46
; NumVgprs: 28
; ScratchSize: 0
; MemoryBound: 0
; FloatMode: 240
; IeeeMode: 1
; LDSByteSize: 0 bytes/workgroup (compile time only)
; SGPRBlocks: 5
; VGPRBlocks: 3
; NumSGPRsForWavesPerEU: 46
; NumVGPRsForWavesPerEU: 28
; Occupancy: 16
; WaveLimiterHint : 1
; COMPUTE_PGM_RSRC2:SCRATCH_EN: 0
; COMPUTE_PGM_RSRC2:USER_SGPR: 15
; COMPUTE_PGM_RSRC2:TRAP_HANDLER: 0
; COMPUTE_PGM_RSRC2:TGID_X_EN: 1
; COMPUTE_PGM_RSRC2:TGID_Y_EN: 0
; COMPUTE_PGM_RSRC2:TGID_Z_EN: 0
; COMPUTE_PGM_RSRC2:TIDIG_COMP_CNT: 0
	.section	.text._ZN9rocsparseL26csrgemm_fill_block_per_rowILj256ELj32ELj512ELj137ELj64ElidEEvT5_PKS1_S3_NS_24const_host_device_scalarIT6_EEPKT4_S3_PKS5_S9_S3_SB_S6_S9_S3_SB_S9_PS1_PS5_21rocsparse_index_base_SE_SE_SE_bbb,"axG",@progbits,_ZN9rocsparseL26csrgemm_fill_block_per_rowILj256ELj32ELj512ELj137ELj64ElidEEvT5_PKS1_S3_NS_24const_host_device_scalarIT6_EEPKT4_S3_PKS5_S9_S3_SB_S6_S9_S3_SB_S9_PS1_PS5_21rocsparse_index_base_SE_SE_SE_bbb,comdat
	.globl	_ZN9rocsparseL26csrgemm_fill_block_per_rowILj256ELj32ELj512ELj137ELj64ElidEEvT5_PKS1_S3_NS_24const_host_device_scalarIT6_EEPKT4_S3_PKS5_S9_S3_SB_S6_S9_S3_SB_S9_PS1_PS5_21rocsparse_index_base_SE_SE_SE_bbb ; -- Begin function _ZN9rocsparseL26csrgemm_fill_block_per_rowILj256ELj32ELj512ELj137ELj64ElidEEvT5_PKS1_S3_NS_24const_host_device_scalarIT6_EEPKT4_S3_PKS5_S9_S3_SB_S6_S9_S3_SB_S9_PS1_PS5_21rocsparse_index_base_SE_SE_SE_bbb
	.p2align	8
	.type	_ZN9rocsparseL26csrgemm_fill_block_per_rowILj256ELj32ELj512ELj137ELj64ElidEEvT5_PKS1_S3_NS_24const_host_device_scalarIT6_EEPKT4_S3_PKS5_S9_S3_SB_S6_S9_S3_SB_S9_PS1_PS5_21rocsparse_index_base_SE_SE_SE_bbb,@function
_ZN9rocsparseL26csrgemm_fill_block_per_rowILj256ELj32ELj512ELj137ELj64ElidEEvT5_PKS1_S3_NS_24const_host_device_scalarIT6_EEPKT4_S3_PKS5_S9_S3_SB_S6_S9_S3_SB_S9_PS1_PS5_21rocsparse_index_base_SE_SE_SE_bbb: ; @_ZN9rocsparseL26csrgemm_fill_block_per_rowILj256ELj32ELj512ELj137ELj64ElidEEvT5_PKS1_S3_NS_24const_host_device_scalarIT6_EEPKT4_S3_PKS5_S9_S3_SB_S6_S9_S3_SB_S9_PS1_PS5_21rocsparse_index_base_SE_SE_SE_bbb
; %bb.0:
	s_clause 0x2
	s_load_b32 s6, s[0:1], 0x98
	s_load_b64 s[4:5], s[0:1], 0x18
	s_load_b64 s[2:3], s[0:1], 0x50
	s_waitcnt lgkmcnt(0)
	s_and_b32 s8, 1, s6
	s_bitcmp1_b32 s6, 16
	s_cselect_b32 s7, -1, 0
	s_cmp_eq_u32 s8, 1
	s_cselect_b32 s13, -1, 0
	s_delay_alu instid0(SALU_CYCLE_1)
	s_and_b32 s8, s13, exec_lo
	s_cselect_b32 s9, s5, 0
	s_cselect_b32 s8, s4, 0
	s_xor_b32 s10, s13, -1
	v_dual_mov_b32 v3, s8 :: v_dual_mov_b32 v4, s9
	s_or_b32 s10, s10, s7
	s_delay_alu instid0(SALU_CYCLE_1)
	s_and_b32 vcc_lo, exec_lo, s10
	s_cbranch_vccnz .LBB202_2
; %bb.1:
	v_dual_mov_b32 v1, s4 :: v_dual_mov_b32 v2, s5
	flat_load_b64 v[3:4], v[1:2]
.LBB202_2:
	s_load_b128 s[24:27], s[0:1], 0x88
	s_bitcmp1_b32 s6, 8
	s_cselect_b32 s33, -1, 0
	s_delay_alu instid0(SALU_CYCLE_1)
	s_and_b32 s4, s33, exec_lo
	s_cselect_b32 s5, s3, 0
	s_cselect_b32 s4, s2, 0
	s_xor_b32 s6, s33, -1
	v_dual_mov_b32 v1, s4 :: v_dual_mov_b32 v2, s5
	s_or_b32 s6, s6, s7
	s_delay_alu instid0(SALU_CYCLE_1)
	s_and_b32 vcc_lo, exec_lo, s6
	s_cbranch_vccnz .LBB202_4
; %bb.3:
	v_dual_mov_b32 v1, s2 :: v_dual_mov_b32 v2, s3
	flat_load_b64 v[1:2], v[1:2]
.LBB202_4:
	s_clause 0x5
	s_load_b128 s[28:31], s[0:1], 0x78
	s_load_b256 s[4:11], s[0:1], 0x58
	s_load_b128 s[36:39], s[0:1], 0x40
	s_load_b256 s[16:23], s[0:1], 0x20
	s_load_b128 s[40:43], s[0:1], 0x8
	s_load_b32 s14, s[0:1], 0x0
	v_cmp_gt_u32_e64 s0, 0x200, v0
	v_lshlrev_b32_e32 v19, 3, v0
	v_or_b32_e32 v17, 0xffffff00, v0
	v_lshl_add_u32 v18, v0, 2, 0
	s_delay_alu instid0(VALU_DEP_4)
	s_and_saveexec_b32 s1, s0
	s_cbranch_execz .LBB202_7
; %bb.5:
	s_waitcnt lgkmcnt(0)
	v_dual_mov_b32 v5, 0 :: v_dual_mov_b32 v10, s14
	v_add3_u32 v7, v19, 0, 0x800
	v_or_b32_e32 v8, 0xffffff00, v0
	v_lshl_add_u32 v9, v0, 2, 0
	s_delay_alu instid0(VALU_DEP_4)
	v_mov_b32_e32 v6, v5
	s_mov_b32 s2, 0
.LBB202_6:                              ; =>This Inner Loop Header: Depth=1
	s_delay_alu instid0(VALU_DEP_3) | instskip(NEXT) | instid1(VALU_DEP_1)
	v_add_co_u32 v8, s3, 0x100, v8
	s_xor_b32 s3, s3, -1
	ds_store_b32 v9, v10
	ds_store_b64 v7, v[5:6]
	v_add_nc_u32_e32 v7, 0x800, v7
	v_add_nc_u32_e32 v9, 0x400, v9
	s_and_b32 s3, exec_lo, s3
	s_delay_alu instid0(SALU_CYCLE_1) | instskip(NEXT) | instid1(SALU_CYCLE_1)
	s_or_b32 s2, s3, s2
	s_and_not1_b32 exec_lo, exec_lo, s2
	s_cbranch_execnz .LBB202_6
.LBB202_7:
	s_or_b32 exec_lo, exec_lo, s1
	s_waitcnt vmcnt(0) lgkmcnt(0)
	s_barrier
	buffer_gl0_inv
	s_load_b32 s1, s[40:41], 0x0
	s_mov_b32 s3, 0
	s_waitcnt lgkmcnt(0)
	s_add_i32 s2, s1, s15
	s_delay_alu instid0(SALU_CYCLE_1) | instskip(NEXT) | instid1(SALU_CYCLE_1)
	s_lshl_b64 s[2:3], s[2:3], 2
	s_add_u32 s2, s42, s2
	s_addc_u32 s3, s43, s3
	s_and_b32 vcc_lo, exec_lo, s13
	s_load_b32 s12, s[2:3], 0x0
	s_cbranch_vccz .LBB202_31
; %bb.8:
	s_waitcnt lgkmcnt(0)
	s_ashr_i32 s13, s12, 31
	v_lshrrev_b32_e32 v5, 5, v0
	s_lshl_b64 s[2:3], s[12:13], 3
	s_delay_alu instid0(SALU_CYCLE_1) | instskip(SKIP_1) | instid1(VALU_DEP_1)
	s_add_u32 s2, s16, s2
	s_addc_u32 s3, s17, s3
	v_sub_co_u32 v5, s1, v5, s24
	s_load_b128 s[40:43], s[2:3], 0x0
	v_sub_co_ci_u32_e64 v6, null, 0, 0, s1
	s_mov_b32 s1, exec_lo
	s_waitcnt lgkmcnt(0)
	v_add_co_u32 v5, vcc_lo, s40, v5
	s_delay_alu instid0(VALU_DEP_2)
	v_add_co_ci_u32_e32 v6, vcc_lo, s41, v6, vcc_lo
	s_sub_u32 s2, s42, s24
	s_subb_u32 s3, s43, 0
	s_delay_alu instid0(VALU_DEP_1) | instid1(SALU_CYCLE_1)
	v_cmpx_gt_i64_e64 s[2:3], v[5:6]
	s_cbranch_execz .LBB202_30
; %bb.9:
	v_and_b32_e32 v7, 31, v0
	s_mov_b32 s15, s25
	s_delay_alu instid0(VALU_DEP_1) | instskip(NEXT) | instid1(VALU_DEP_1)
	v_sub_co_u32 v20, s13, v7, s25
	v_sub_co_ci_u32_e64 v21, null, 0, 0, s13
	s_mov_b32 s13, 0
	s_branch .LBB202_11
.LBB202_10:                             ;   in Loop: Header=BB202_11 Depth=1
	s_or_b32 exec_lo, exec_lo, s16
	v_add_co_u32 v5, vcc_lo, v5, 8
	v_add_co_ci_u32_e32 v6, vcc_lo, 0, v6, vcc_lo
	s_delay_alu instid0(VALU_DEP_1) | instskip(SKIP_1) | instid1(SALU_CYCLE_1)
	v_cmp_le_i64_e32 vcc_lo, s[2:3], v[5:6]
	s_or_b32 s13, vcc_lo, s13
	s_and_not1_b32 exec_lo, exec_lo, s13
	s_cbranch_execz .LBB202_30
.LBB202_11:                             ; =>This Loop Header: Depth=1
                                        ;     Child Loop BB202_14 Depth 2
                                        ;       Child Loop BB202_16 Depth 3
                                        ;         Child Loop BB202_22 Depth 4
                                        ;         Child Loop BB202_28 Depth 4
	v_lshlrev_b64 v[7:8], 2, v[5:6]
	s_mov_b32 s16, exec_lo
	s_delay_alu instid0(VALU_DEP_1) | instskip(NEXT) | instid1(VALU_DEP_2)
	v_add_co_u32 v7, vcc_lo, s18, v7
	v_add_co_ci_u32_e32 v8, vcc_lo, s19, v8, vcc_lo
	global_load_b32 v7, v[7:8], off
	s_waitcnt vmcnt(0)
	v_subrev_nc_u32_e32 v7, s24, v7
	s_delay_alu instid0(VALU_DEP_1) | instskip(NEXT) | instid1(VALU_DEP_1)
	v_ashrrev_i32_e32 v8, 31, v7
	v_lshlrev_b64 v[7:8], 3, v[7:8]
	s_delay_alu instid0(VALU_DEP_1) | instskip(NEXT) | instid1(VALU_DEP_2)
	v_add_co_u32 v7, vcc_lo, s22, v7
	v_add_co_ci_u32_e32 v8, vcc_lo, s23, v8, vcc_lo
	global_load_b128 v[9:12], v[7:8], off
	s_waitcnt vmcnt(0)
	v_sub_co_u32 v7, vcc_lo, v11, s15
	v_subrev_co_ci_u32_e32 v8, vcc_lo, 0, v12, vcc_lo
	v_add_co_u32 v9, vcc_lo, v9, v20
	v_add_co_ci_u32_e32 v10, vcc_lo, v10, v21, vcc_lo
	s_delay_alu instid0(VALU_DEP_1)
	v_cmpx_lt_i64_e64 v[9:10], v[7:8]
	s_cbranch_execz .LBB202_10
; %bb.12:                               ;   in Loop: Header=BB202_11 Depth=1
	v_lshlrev_b64 v[11:12], 3, v[5:6]
	s_mov_b32 s17, 0
	s_delay_alu instid0(VALU_DEP_1) | instskip(NEXT) | instid1(VALU_DEP_2)
	v_add_co_u32 v11, vcc_lo, s20, v11
	v_add_co_ci_u32_e32 v12, vcc_lo, s21, v12, vcc_lo
	global_load_b64 v[11:12], v[11:12], off
	s_waitcnt vmcnt(0)
	v_mul_f64 v[11:12], v[3:4], v[11:12]
	s_branch .LBB202_14
.LBB202_13:                             ;   in Loop: Header=BB202_14 Depth=2
	s_or_b32 exec_lo, exec_lo, s34
	v_add_co_u32 v9, vcc_lo, v9, 32
	v_add_co_ci_u32_e32 v10, vcc_lo, 0, v10, vcc_lo
	s_delay_alu instid0(VALU_DEP_1) | instskip(SKIP_1) | instid1(SALU_CYCLE_1)
	v_cmp_ge_i64_e32 vcc_lo, v[9:10], v[7:8]
	s_or_b32 s17, vcc_lo, s17
	s_and_not1_b32 exec_lo, exec_lo, s17
	s_cbranch_execz .LBB202_10
.LBB202_14:                             ;   Parent Loop BB202_11 Depth=1
                                        ; =>  This Loop Header: Depth=2
                                        ;       Child Loop BB202_16 Depth 3
                                        ;         Child Loop BB202_22 Depth 4
                                        ;         Child Loop BB202_28 Depth 4
	v_lshlrev_b64 v[13:14], 3, v[9:10]
	v_lshlrev_b64 v[15:16], 2, v[9:10]
	s_mov_b32 s34, 0
	s_delay_alu instid0(VALU_DEP_2) | instskip(NEXT) | instid1(VALU_DEP_3)
	v_add_co_u32 v13, vcc_lo, s38, v13
	v_add_co_ci_u32_e32 v14, vcc_lo, s39, v14, vcc_lo
	s_delay_alu instid0(VALU_DEP_3) | instskip(NEXT) | instid1(VALU_DEP_4)
	v_add_co_u32 v15, vcc_lo, s36, v15
	v_add_co_ci_u32_e32 v16, vcc_lo, s37, v16, vcc_lo
	global_load_b64 v[13:14], v[13:14], off
	global_load_b32 v15, v[15:16], off
	s_waitcnt vmcnt(1)
	v_mul_f64 v[13:14], v[11:12], v[13:14]
	s_waitcnt vmcnt(0)
	v_subrev_nc_u32_e32 v22, s25, v15
	s_delay_alu instid0(VALU_DEP_1) | instskip(NEXT) | instid1(VALU_DEP_1)
	v_mul_lo_u32 v15, 0x89, v22
	v_and_b32_e32 v23, 0x1ff, v15
	s_branch .LBB202_16
.LBB202_15:                             ;   in Loop: Header=BB202_16 Depth=3
	s_or_b32 exec_lo, exec_lo, s35
	s_xor_b32 s35, s40, -1
	s_delay_alu instid0(SALU_CYCLE_1) | instskip(NEXT) | instid1(SALU_CYCLE_1)
	s_and_b32 s35, exec_lo, s35
	s_or_b32 s34, s35, s34
	s_delay_alu instid0(SALU_CYCLE_1)
	s_and_not1_b32 exec_lo, exec_lo, s34
	s_cbranch_execz .LBB202_13
.LBB202_16:                             ;   Parent Loop BB202_11 Depth=1
                                        ;     Parent Loop BB202_14 Depth=2
                                        ; =>    This Loop Header: Depth=3
                                        ;         Child Loop BB202_22 Depth 4
                                        ;         Child Loop BB202_28 Depth 4
	s_delay_alu instid0(VALU_DEP_1)
	v_lshl_add_u32 v15, v23, 2, 0
	s_mov_b32 s35, exec_lo
                                        ; implicit-def: $sgpr40
	ds_load_b32 v16, v15
	s_waitcnt lgkmcnt(0)
	v_cmpx_ne_u32_e64 v16, v22
	s_xor_b32 s35, exec_lo, s35
	s_cbranch_execz .LBB202_26
; %bb.17:                               ;   in Loop: Header=BB202_16 Depth=3
	s_mov_b32 s41, exec_lo
                                        ; implicit-def: $sgpr40
	v_cmpx_ne_u32_e64 s14, v16
	s_xor_b32 s41, exec_lo, s41
; %bb.18:                               ;   in Loop: Header=BB202_16 Depth=3
	v_add_nc_u32_e32 v15, 1, v23
	s_mov_b32 s40, -1
	s_delay_alu instid0(VALU_DEP_1)
	v_and_b32_e32 v23, 0x1ff, v15
                                        ; implicit-def: $vgpr15
; %bb.19:                               ;   in Loop: Header=BB202_16 Depth=3
	s_and_not1_saveexec_b32 s41, s41
	s_cbranch_execz .LBB202_25
; %bb.20:                               ;   in Loop: Header=BB202_16 Depth=3
	v_mov_b32_e32 v16, s14
	s_mov_b32 s43, -1
	s_mov_b32 s42, exec_lo
	ds_cmpstore_rtn_b32 v16, v15, v22, v16
	s_waitcnt lgkmcnt(0)
	v_cmpx_eq_u32_e64 s14, v16
	s_cbranch_execz .LBB202_24
; %bb.21:                               ;   in Loop: Header=BB202_16 Depth=3
	v_lshlrev_b32_e32 v16, 2, v23
	s_mov_b32 s43, 0
	s_delay_alu instid0(VALU_DEP_1)
	v_add_nc_u32_e32 v24, v15, v16
	ds_load_b64 v[15:16], v24 offset:2048
.LBB202_22:                             ;   Parent Loop BB202_11 Depth=1
                                        ;     Parent Loop BB202_14 Depth=2
                                        ;       Parent Loop BB202_16 Depth=3
                                        ; =>      This Inner Loop Header: Depth=4
	s_waitcnt lgkmcnt(0)
	v_add_f64 v[25:26], v[15:16], v[13:14]
	ds_cmpstore_rtn_b64 v[25:26], v24, v[25:26], v[15:16] offset:2048
	s_waitcnt lgkmcnt(0)
	v_cmp_eq_u64_e32 vcc_lo, v[25:26], v[15:16]
	v_dual_mov_b32 v15, v25 :: v_dual_mov_b32 v16, v26
	s_or_b32 s43, vcc_lo, s43
	s_delay_alu instid0(SALU_CYCLE_1)
	s_and_not1_b32 exec_lo, exec_lo, s43
	s_cbranch_execnz .LBB202_22
; %bb.23:                               ;   in Loop: Header=BB202_16 Depth=3
	s_or_b32 exec_lo, exec_lo, s43
	s_delay_alu instid0(SALU_CYCLE_1)
	s_xor_b32 s43, exec_lo, -1
.LBB202_24:                             ;   in Loop: Header=BB202_16 Depth=3
	s_or_b32 exec_lo, exec_lo, s42
	s_delay_alu instid0(SALU_CYCLE_1) | instskip(SKIP_1) | instid1(SALU_CYCLE_1)
	s_and_not1_b32 s40, s40, exec_lo
	s_and_b32 s42, s43, exec_lo
	s_or_b32 s40, s40, s42
.LBB202_25:                             ;   in Loop: Header=BB202_16 Depth=3
	s_or_b32 exec_lo, exec_lo, s41
	s_delay_alu instid0(SALU_CYCLE_1)
	s_and_b32 s40, s40, exec_lo
                                        ; implicit-def: $vgpr15
.LBB202_26:                             ;   in Loop: Header=BB202_16 Depth=3
	s_and_not1_saveexec_b32 s35, s35
	s_cbranch_execz .LBB202_15
; %bb.27:                               ;   in Loop: Header=BB202_16 Depth=3
	v_lshlrev_b32_e32 v16, 2, v23
	s_mov_b32 s41, 0
	s_delay_alu instid0(VALU_DEP_1)
	v_add_nc_u32_e32 v24, v15, v16
	ds_load_b64 v[15:16], v24 offset:2048
.LBB202_28:                             ;   Parent Loop BB202_11 Depth=1
                                        ;     Parent Loop BB202_14 Depth=2
                                        ;       Parent Loop BB202_16 Depth=3
                                        ; =>      This Inner Loop Header: Depth=4
	s_waitcnt lgkmcnt(0)
	v_add_f64 v[25:26], v[15:16], v[13:14]
	ds_cmpstore_rtn_b64 v[25:26], v24, v[25:26], v[15:16] offset:2048
	s_waitcnt lgkmcnt(0)
	v_cmp_eq_u64_e32 vcc_lo, v[25:26], v[15:16]
	v_dual_mov_b32 v15, v25 :: v_dual_mov_b32 v16, v26
	s_or_b32 s41, vcc_lo, s41
	s_delay_alu instid0(SALU_CYCLE_1)
	s_and_not1_b32 exec_lo, exec_lo, s41
	s_cbranch_execnz .LBB202_28
; %bb.29:                               ;   in Loop: Header=BB202_16 Depth=3
	s_or_b32 exec_lo, exec_lo, s41
	s_delay_alu instid0(SALU_CYCLE_1)
	s_and_not1_b32 s40, s40, exec_lo
	s_branch .LBB202_15
.LBB202_30:
	s_or_b32 exec_lo, exec_lo, s1
.LBB202_31:
	s_delay_alu instid0(SALU_CYCLE_1)
	s_and_not1_b32 vcc_lo, exec_lo, s33
	s_cbranch_vccnz .LBB202_34
; %bb.32:
	s_waitcnt lgkmcnt(0)
	s_ashr_i32 s13, s12, 31
	v_sub_co_u32 v3, s1, v0, s27
	s_lshl_b64 s[2:3], s[12:13], 3
	v_sub_co_ci_u32_e64 v4, null, 0, 0, s1
	s_add_u32 s2, s4, s2
	s_addc_u32 s3, s5, s3
	s_mov_b32 s4, 0
	s_load_b128 s[16:19], s[2:3], 0x0
	s_mov_b32 s1, exec_lo
	s_waitcnt lgkmcnt(0)
	v_add_co_u32 v3, vcc_lo, s16, v3
	v_add_co_ci_u32_e32 v4, vcc_lo, s17, v4, vcc_lo
	s_sub_u32 s2, s18, s27
	s_subb_u32 s3, s19, 0
	s_delay_alu instid0(VALU_DEP_1) | instid1(SALU_CYCLE_1)
	v_cmpx_gt_i64_e64 s[2:3], v[3:4]
	s_cbranch_execnz .LBB202_48
.LBB202_33:
	s_or_b32 exec_lo, exec_lo, s1
.LBB202_34:
	s_waitcnt lgkmcnt(0)
	s_barrier
	buffer_gl0_inv
	s_and_saveexec_b32 s4, s0
	s_cbranch_execz .LBB202_64
; %bb.35:
	v_mbcnt_lo_u32_b32 v1, -1, 0
	v_lshrrev_b32_e32 v2, 4, v0
	v_cmp_eq_u32_e32 vcc_lo, 0xff, v0
	v_cmp_lt_u32_e64 s0, 63, v0
	v_cmp_lt_u32_e64 s1, 0x7f, v0
	v_xor_b32_e32 v1, 63, v1
	v_dual_mov_b32 v6, 0 :: v_dual_and_b32 v3, 12, v2
	v_cmp_lt_u32_e64 s2, 0xbf, v0
	v_add3_u32 v4, v19, 0, 0x800
	s_delay_alu instid0(VALU_DEP_4) | instskip(NEXT) | instid1(VALU_DEP_4)
	v_lshrrev_b64 v[1:2], v1, -1
	v_add_nc_u32_e32 v5, 0, v3
	v_mov_b32_e32 v7, 0
	s_mov_b32 s5, 0
	s_branch .LBB202_37
.LBB202_36:                             ;   in Loop: Header=BB202_37 Depth=1
	s_or_b32 exec_lo, exec_lo, s3
	s_waitcnt lgkmcnt(0)
	s_barrier
	buffer_gl0_inv
	ds_load_b32 v2, v6 offset:6156
	v_add_co_u32 v17, s3, 0x100, v17
	s_delay_alu instid0(VALU_DEP_1) | instskip(SKIP_3) | instid1(SALU_CYCLE_1)
	s_xor_b32 s3, s3, -1
	v_add_nc_u32_e32 v4, 0x800, v4
	v_add_nc_u32_e32 v18, 0x400, v18
	s_and_b32 s3, exec_lo, s3
	s_or_b32 s5, s3, s5
	s_waitcnt lgkmcnt(0)
	v_add_nc_u32_e32 v7, v2, v7
	s_and_not1_b32 exec_lo, exec_lo, s5
	s_cbranch_execz .LBB202_64
.LBB202_37:                             ; =>This Inner Loop Header: Depth=1
	ds_load_b32 v8, v18
	ds_load_b64 v[2:3], v4
	s_waitcnt lgkmcnt(0)
	s_barrier
	buffer_gl0_inv
	v_cmp_gt_i32_e64 s3, s14, v8
	s_delay_alu instid0(VALU_DEP_1) | instskip(NEXT) | instid1(SALU_CYCLE_1)
	s_bcnt1_i32_b32 s6, s3
	v_dual_mov_b32 v10, s6 :: v_dual_and_b32 v9, s3, v1
	s_delay_alu instid0(VALU_DEP_1)
	v_bcnt_u32_b32 v9, v9, 0
	ds_store_b32 v5, v10 offset:6144
	s_waitcnt lgkmcnt(0)
	s_barrier
	buffer_gl0_inv
	s_and_saveexec_b32 s6, s0
	s_cbranch_execnz .LBB202_42
; %bb.38:                               ;   in Loop: Header=BB202_37 Depth=1
	s_or_b32 exec_lo, exec_lo, s6
	s_and_saveexec_b32 s6, s1
	s_cbranch_execnz .LBB202_43
.LBB202_39:                             ;   in Loop: Header=BB202_37 Depth=1
	s_or_b32 exec_lo, exec_lo, s6
	s_and_saveexec_b32 s6, s2
	s_cbranch_execnz .LBB202_44
.LBB202_40:                             ;   in Loop: Header=BB202_37 Depth=1
	s_or_b32 exec_lo, exec_lo, s6
	s_and_saveexec_b32 s6, s3
	s_cbranch_execnz .LBB202_45
.LBB202_41:                             ;   in Loop: Header=BB202_37 Depth=1
	s_or_b32 exec_lo, exec_lo, s6
	s_and_saveexec_b32 s3, vcc_lo
	s_cbranch_execz .LBB202_36
	s_branch .LBB202_46
.LBB202_42:                             ;   in Loop: Header=BB202_37 Depth=1
	ds_load_b32 v10, v6 offset:6144
	s_waitcnt lgkmcnt(0)
	v_add_nc_u32_e32 v9, v10, v9
	s_or_b32 exec_lo, exec_lo, s6
	s_and_saveexec_b32 s6, s1
	s_cbranch_execz .LBB202_39
.LBB202_43:                             ;   in Loop: Header=BB202_37 Depth=1
	ds_load_b32 v10, v6 offset:6148
	s_waitcnt lgkmcnt(0)
	v_add_nc_u32_e32 v9, v10, v9
	s_or_b32 exec_lo, exec_lo, s6
	s_and_saveexec_b32 s6, s2
	s_cbranch_execz .LBB202_40
.LBB202_44:                             ;   in Loop: Header=BB202_37 Depth=1
	ds_load_b32 v10, v6 offset:6152
	s_waitcnt lgkmcnt(0)
	v_add_nc_u32_e32 v9, v10, v9
	s_or_b32 exec_lo, exec_lo, s6
	s_and_saveexec_b32 s6, s3
	s_cbranch_execz .LBB202_41
.LBB202_45:                             ;   in Loop: Header=BB202_37 Depth=1
	s_delay_alu instid0(VALU_DEP_1) | instskip(NEXT) | instid1(VALU_DEP_1)
	v_add3_u32 v10, v7, -1, v9
	v_lshl_add_u32 v11, v10, 2, 0
	v_lshl_add_u32 v10, v10, 3, 0
	ds_store_b32 v11, v8
	ds_store_b64 v10, v[2:3] offset:2048
	s_or_b32 exec_lo, exec_lo, s6
	s_and_saveexec_b32 s3, vcc_lo
	s_cbranch_execz .LBB202_36
.LBB202_46:                             ;   in Loop: Header=BB202_37 Depth=1
	ds_store_b32 v6, v9 offset:6156
	s_branch .LBB202_36
.LBB202_47:                             ;   in Loop: Header=BB202_48 Depth=1
	s_or_b32 exec_lo, exec_lo, s5
	v_add_co_u32 v3, vcc_lo, 0x100, v3
	v_add_co_ci_u32_e32 v4, vcc_lo, 0, v4, vcc_lo
	s_delay_alu instid0(VALU_DEP_1) | instskip(SKIP_1) | instid1(SALU_CYCLE_1)
	v_cmp_le_i64_e32 vcc_lo, s[2:3], v[3:4]
	s_or_b32 s4, vcc_lo, s4
	s_and_not1_b32 exec_lo, exec_lo, s4
	s_cbranch_execz .LBB202_33
.LBB202_48:                             ; =>This Loop Header: Depth=1
                                        ;     Child Loop BB202_50 Depth 2
                                        ;       Child Loop BB202_56 Depth 3
                                        ;       Child Loop BB202_62 Depth 3
	v_lshlrev_b64 v[5:6], 3, v[3:4]
	v_lshlrev_b64 v[7:8], 2, v[3:4]
	s_mov_b32 s5, 0
	s_delay_alu instid0(VALU_DEP_2) | instskip(NEXT) | instid1(VALU_DEP_3)
	v_add_co_u32 v5, vcc_lo, s8, v5
	v_add_co_ci_u32_e32 v6, vcc_lo, s9, v6, vcc_lo
	s_delay_alu instid0(VALU_DEP_3) | instskip(NEXT) | instid1(VALU_DEP_4)
	v_add_co_u32 v7, vcc_lo, s6, v7
	v_add_co_ci_u32_e32 v8, vcc_lo, s7, v8, vcc_lo
	global_load_b64 v[5:6], v[5:6], off
	global_load_b32 v7, v[7:8], off
	s_waitcnt vmcnt(1)
	v_mul_f64 v[5:6], v[1:2], v[5:6]
	s_waitcnt vmcnt(0)
	v_subrev_nc_u32_e32 v9, s27, v7
	s_delay_alu instid0(VALU_DEP_1) | instskip(NEXT) | instid1(VALU_DEP_1)
	v_mul_lo_u32 v7, 0x89, v9
	v_and_b32_e32 v10, 0x1ff, v7
	s_branch .LBB202_50
.LBB202_49:                             ;   in Loop: Header=BB202_50 Depth=2
	s_or_b32 exec_lo, exec_lo, s13
	s_xor_b32 s13, s15, -1
	s_delay_alu instid0(SALU_CYCLE_1) | instskip(NEXT) | instid1(SALU_CYCLE_1)
	s_and_b32 s13, exec_lo, s13
	s_or_b32 s5, s13, s5
	s_delay_alu instid0(SALU_CYCLE_1)
	s_and_not1_b32 exec_lo, exec_lo, s5
	s_cbranch_execz .LBB202_47
.LBB202_50:                             ;   Parent Loop BB202_48 Depth=1
                                        ; =>  This Loop Header: Depth=2
                                        ;       Child Loop BB202_56 Depth 3
                                        ;       Child Loop BB202_62 Depth 3
	s_delay_alu instid0(VALU_DEP_1)
	v_lshl_add_u32 v7, v10, 2, 0
	s_mov_b32 s13, exec_lo
                                        ; implicit-def: $sgpr15
	ds_load_b32 v8, v7
	s_waitcnt lgkmcnt(0)
	v_cmpx_ne_u32_e64 v8, v9
	s_xor_b32 s13, exec_lo, s13
	s_cbranch_execz .LBB202_60
; %bb.51:                               ;   in Loop: Header=BB202_50 Depth=2
	s_mov_b32 s16, exec_lo
                                        ; implicit-def: $sgpr15
	v_cmpx_ne_u32_e64 s14, v8
	s_xor_b32 s16, exec_lo, s16
; %bb.52:                               ;   in Loop: Header=BB202_50 Depth=2
	v_add_nc_u32_e32 v7, 1, v10
	s_mov_b32 s15, -1
	s_delay_alu instid0(VALU_DEP_1)
	v_and_b32_e32 v10, 0x1ff, v7
                                        ; implicit-def: $vgpr7
; %bb.53:                               ;   in Loop: Header=BB202_50 Depth=2
	s_and_not1_saveexec_b32 s16, s16
	s_cbranch_execz .LBB202_59
; %bb.54:                               ;   in Loop: Header=BB202_50 Depth=2
	v_mov_b32_e32 v8, s14
	s_mov_b32 s18, -1
	s_mov_b32 s17, exec_lo
	ds_cmpstore_rtn_b32 v8, v7, v9, v8
	s_waitcnt lgkmcnt(0)
	v_cmpx_eq_u32_e64 s14, v8
	s_cbranch_execz .LBB202_58
; %bb.55:                               ;   in Loop: Header=BB202_50 Depth=2
	v_lshlrev_b32_e32 v8, 2, v10
	s_mov_b32 s18, 0
	s_delay_alu instid0(VALU_DEP_1)
	v_add_nc_u32_e32 v11, v7, v8
	ds_load_b64 v[7:8], v11 offset:2048
.LBB202_56:                             ;   Parent Loop BB202_48 Depth=1
                                        ;     Parent Loop BB202_50 Depth=2
                                        ; =>    This Inner Loop Header: Depth=3
	s_waitcnt lgkmcnt(0)
	v_add_f64 v[12:13], v[7:8], v[5:6]
	ds_cmpstore_rtn_b64 v[12:13], v11, v[12:13], v[7:8] offset:2048
	s_waitcnt lgkmcnt(0)
	v_cmp_eq_u64_e32 vcc_lo, v[12:13], v[7:8]
	v_dual_mov_b32 v7, v12 :: v_dual_mov_b32 v8, v13
	s_or_b32 s18, vcc_lo, s18
	s_delay_alu instid0(SALU_CYCLE_1)
	s_and_not1_b32 exec_lo, exec_lo, s18
	s_cbranch_execnz .LBB202_56
; %bb.57:                               ;   in Loop: Header=BB202_50 Depth=2
	s_or_b32 exec_lo, exec_lo, s18
	s_delay_alu instid0(SALU_CYCLE_1)
	s_xor_b32 s18, exec_lo, -1
.LBB202_58:                             ;   in Loop: Header=BB202_50 Depth=2
	s_or_b32 exec_lo, exec_lo, s17
	s_delay_alu instid0(SALU_CYCLE_1) | instskip(SKIP_1) | instid1(SALU_CYCLE_1)
	s_and_not1_b32 s15, s15, exec_lo
	s_and_b32 s17, s18, exec_lo
	s_or_b32 s15, s15, s17
.LBB202_59:                             ;   in Loop: Header=BB202_50 Depth=2
	s_or_b32 exec_lo, exec_lo, s16
	s_delay_alu instid0(SALU_CYCLE_1)
	s_and_b32 s15, s15, exec_lo
                                        ; implicit-def: $vgpr7
.LBB202_60:                             ;   in Loop: Header=BB202_50 Depth=2
	s_and_not1_saveexec_b32 s13, s13
	s_cbranch_execz .LBB202_49
; %bb.61:                               ;   in Loop: Header=BB202_50 Depth=2
	v_lshlrev_b32_e32 v8, 2, v10
	s_mov_b32 s16, 0
	s_delay_alu instid0(VALU_DEP_1)
	v_add_nc_u32_e32 v11, v7, v8
	ds_load_b64 v[7:8], v11 offset:2048
.LBB202_62:                             ;   Parent Loop BB202_48 Depth=1
                                        ;     Parent Loop BB202_50 Depth=2
                                        ; =>    This Inner Loop Header: Depth=3
	s_waitcnt lgkmcnt(0)
	v_add_f64 v[12:13], v[7:8], v[5:6]
	ds_cmpstore_rtn_b64 v[12:13], v11, v[12:13], v[7:8] offset:2048
	s_waitcnt lgkmcnt(0)
	v_cmp_eq_u64_e32 vcc_lo, v[12:13], v[7:8]
	v_dual_mov_b32 v7, v12 :: v_dual_mov_b32 v8, v13
	s_or_b32 s16, vcc_lo, s16
	s_delay_alu instid0(SALU_CYCLE_1)
	s_and_not1_b32 exec_lo, exec_lo, s16
	s_cbranch_execnz .LBB202_62
; %bb.63:                               ;   in Loop: Header=BB202_50 Depth=2
	s_or_b32 exec_lo, exec_lo, s16
	s_delay_alu instid0(SALU_CYCLE_1)
	s_and_not1_b32 s15, s15, exec_lo
	s_branch .LBB202_49
.LBB202_64:
	s_or_b32 exec_lo, exec_lo, s4
	s_ashr_i32 s13, s12, 31
	s_mov_b32 s4, exec_lo
	s_lshl_b64 s[0:1], s[12:13], 3
	s_delay_alu instid0(SALU_CYCLE_1) | instskip(SKIP_4) | instid1(SALU_CYCLE_1)
	s_add_u32 s0, s10, s0
	s_addc_u32 s1, s11, s1
	s_load_b128 s[0:3], s[0:1], 0x0
	s_waitcnt lgkmcnt(0)
	s_sub_i32 s3, s2, s0
	v_cmpx_gt_i32_e64 s3, v0
	s_cbranch_execz .LBB202_74
; %bb.65:
	s_sub_u32 s4, s0, s26
	s_subb_u32 s5, s1, 0
	s_sub_i32 s0, s0, s2
	s_and_b32 s1, s3, 7
	s_cmp_lt_u32 s0, -7
	s_mov_b32 s8, 0
	s_cselect_b32 s2, -1, 0
	s_and_b32 s6, s3, -8
	s_cmp_lg_u32 s1, 0
	s_cselect_b32 s7, -1, 0
	s_branch .LBB202_67
.LBB202_66:                             ;   in Loop: Header=BB202_67 Depth=1
	s_delay_alu instid0(VALU_DEP_1) | instskip(SKIP_4) | instid1(VALU_DEP_4)
	v_lshlrev_b64 v[6:7], 2, v[3:4]
	v_lshlrev_b64 v[3:4], 3, v[3:4]
	v_add_nc_u32_e32 v0, 0x100, v0
	s_waitcnt lgkmcnt(1)
	v_add_nc_u32_e32 v8, s26, v5
	v_add_co_u32 v5, vcc_lo, s28, v6
	v_add_co_ci_u32_e32 v6, vcc_lo, s29, v7, vcc_lo
	v_cmp_le_i32_e32 vcc_lo, s3, v0
	v_add_co_u32 v3, s0, s30, v3
	s_delay_alu instid0(VALU_DEP_1)
	v_add_co_ci_u32_e64 v4, s0, s31, v4, s0
	s_or_b32 s8, vcc_lo, s8
	global_store_b32 v[5:6], v8, off
	s_waitcnt lgkmcnt(0)
	global_store_b64 v[3:4], v[1:2], off
	s_and_not1_b32 exec_lo, exec_lo, s8
	s_cbranch_execz .LBB202_74
.LBB202_67:                             ; =>This Loop Header: Depth=1
                                        ;     Child Loop BB202_69 Depth 2
                                        ;     Child Loop BB202_73 Depth 2
	v_lshlrev_b32_e32 v1, 2, v0
	v_dual_mov_b32 v3, s4 :: v_dual_mov_b32 v4, s5
	s_and_not1_b32 vcc_lo, exec_lo, s2
	s_mov_b32 s0, 0
	s_delay_alu instid0(VALU_DEP_2) | instskip(NEXT) | instid1(VALU_DEP_1)
	v_add_nc_u32_e32 v2, 0, v1
	v_add_nc_u32_e32 v1, v2, v1
	ds_load_b32 v5, v2
	ds_load_b64 v[1:2], v1 offset:2048
	s_cbranch_vccnz .LBB202_71
; %bb.68:                               ;   in Loop: Header=BB202_67 Depth=1
	v_dual_mov_b32 v3, s4 :: v_dual_mov_b32 v4, s5
	s_mov_b32 s9, 0
	s_mov_b32 s10, 0
.LBB202_69:                             ;   Parent Loop BB202_67 Depth=1
                                        ; =>  This Inner Loop Header: Depth=2
	s_delay_alu instid0(SALU_CYCLE_1)
	v_mov_b32_e32 v12, s10
	s_add_i32 s9, s9, 8
	s_add_i32 s10, s10, 32
	s_cmp_eq_u32 s6, s9
	ds_load_2addr_b32 v[6:7], v12 offset1:1
	ds_load_2addr_b32 v[8:9], v12 offset0:2 offset1:3
	ds_load_2addr_b32 v[10:11], v12 offset0:4 offset1:5
	;; [unrolled: 1-line block ×3, first 2 shown]
	s_waitcnt lgkmcnt(3)
	v_cmp_gt_i32_e32 vcc_lo, v5, v6
	v_cndmask_b32_e64 v6, 0, 1, vcc_lo
	v_cmp_gt_i32_e32 vcc_lo, v5, v7
	v_cndmask_b32_e64 v7, 0, 1, vcc_lo
	s_waitcnt lgkmcnt(2)
	v_cmp_gt_i32_e32 vcc_lo, v5, v8
	v_cndmask_b32_e64 v8, 0, 1, vcc_lo
	v_cmp_gt_i32_e32 vcc_lo, v5, v9
	v_cndmask_b32_e64 v9, 0, 1, vcc_lo
	s_waitcnt lgkmcnt(1)
	v_cmp_gt_i32_e32 vcc_lo, v5, v10
	v_cndmask_b32_e64 v10, 0, 1, vcc_lo
	v_add_co_u32 v3, vcc_lo, v3, v6
	v_add_co_ci_u32_e32 v4, vcc_lo, 0, v4, vcc_lo
	v_cmp_gt_i32_e32 vcc_lo, v5, v11
	s_delay_alu instid0(VALU_DEP_3) | instskip(NEXT) | instid1(VALU_DEP_1)
	v_add_co_u32 v3, s0, v3, v7
	v_add_co_ci_u32_e64 v4, s0, 0, v4, s0
	v_cndmask_b32_e64 v6, 0, 1, vcc_lo
	s_delay_alu instid0(VALU_DEP_3) | instskip(NEXT) | instid1(VALU_DEP_3)
	v_add_co_u32 v3, vcc_lo, v3, v8
	v_add_co_ci_u32_e32 v4, vcc_lo, 0, v4, vcc_lo
	s_waitcnt lgkmcnt(0)
	v_cmp_gt_i32_e32 vcc_lo, v5, v12
	s_delay_alu instid0(VALU_DEP_3) | instskip(NEXT) | instid1(VALU_DEP_1)
	v_add_co_u32 v3, s0, v3, v9
	v_add_co_ci_u32_e64 v4, s0, 0, v4, s0
	v_cndmask_b32_e64 v7, 0, 1, vcc_lo
	s_delay_alu instid0(VALU_DEP_3) | instskip(NEXT) | instid1(VALU_DEP_3)
	v_add_co_u32 v3, vcc_lo, v3, v10
	v_add_co_ci_u32_e32 v4, vcc_lo, 0, v4, vcc_lo
	v_cmp_gt_i32_e32 vcc_lo, v5, v13
	s_delay_alu instid0(VALU_DEP_3) | instskip(NEXT) | instid1(VALU_DEP_1)
	v_add_co_u32 v3, s0, v3, v6
	v_add_co_ci_u32_e64 v4, s0, 0, v4, s0
	v_cndmask_b32_e64 v6, 0, 1, vcc_lo
	s_delay_alu instid0(VALU_DEP_3) | instskip(NEXT) | instid1(VALU_DEP_3)
	v_add_co_u32 v3, vcc_lo, v3, v7
	v_add_co_ci_u32_e32 v4, vcc_lo, 0, v4, vcc_lo
	s_delay_alu instid0(VALU_DEP_2) | instskip(NEXT) | instid1(VALU_DEP_2)
	v_add_co_u32 v3, vcc_lo, v3, v6
	v_add_co_ci_u32_e32 v4, vcc_lo, 0, v4, vcc_lo
	s_cbranch_scc0 .LBB202_69
; %bb.70:                               ;   in Loop: Header=BB202_67 Depth=1
	s_mov_b32 s0, s6
.LBB202_71:                             ;   in Loop: Header=BB202_67 Depth=1
	s_and_not1_b32 vcc_lo, exec_lo, s7
	s_cbranch_vccnz .LBB202_66
; %bb.72:                               ;   in Loop: Header=BB202_67 Depth=1
	s_lshl_b32 s0, s0, 2
	s_mov_b32 s9, s1
	s_add_i32 s0, s0, 0
.LBB202_73:                             ;   Parent Loop BB202_67 Depth=1
                                        ; =>  This Inner Loop Header: Depth=2
	s_delay_alu instid0(SALU_CYCLE_1)
	v_mov_b32_e32 v6, s0
	s_add_i32 s9, s9, -1
	s_add_i32 s0, s0, 4
	s_cmp_lg_u32 s9, 0
	ds_load_b32 v6, v6
	s_waitcnt lgkmcnt(0)
	v_cmp_gt_i32_e32 vcc_lo, v5, v6
	v_cndmask_b32_e64 v6, 0, 1, vcc_lo
	s_delay_alu instid0(VALU_DEP_1)
	v_add_co_u32 v3, vcc_lo, v3, v6
	v_add_co_ci_u32_e32 v4, vcc_lo, 0, v4, vcc_lo
	s_cbranch_scc1 .LBB202_73
	s_branch .LBB202_66
.LBB202_74:
	s_nop 0
	s_sendmsg sendmsg(MSG_DEALLOC_VGPRS)
	s_endpgm
	.section	.rodata,"a",@progbits
	.p2align	6, 0x0
	.amdhsa_kernel _ZN9rocsparseL26csrgemm_fill_block_per_rowILj256ELj32ELj512ELj137ELj64ElidEEvT5_PKS1_S3_NS_24const_host_device_scalarIT6_EEPKT4_S3_PKS5_S9_S3_SB_S6_S9_S3_SB_S9_PS1_PS5_21rocsparse_index_base_SE_SE_SE_bbb
		.amdhsa_group_segment_fixed_size 0
		.amdhsa_private_segment_fixed_size 0
		.amdhsa_kernarg_size 156
		.amdhsa_user_sgpr_count 15
		.amdhsa_user_sgpr_dispatch_ptr 0
		.amdhsa_user_sgpr_queue_ptr 0
		.amdhsa_user_sgpr_kernarg_segment_ptr 1
		.amdhsa_user_sgpr_dispatch_id 0
		.amdhsa_user_sgpr_private_segment_size 0
		.amdhsa_wavefront_size32 1
		.amdhsa_uses_dynamic_stack 0
		.amdhsa_enable_private_segment 0
		.amdhsa_system_sgpr_workgroup_id_x 1
		.amdhsa_system_sgpr_workgroup_id_y 0
		.amdhsa_system_sgpr_workgroup_id_z 0
		.amdhsa_system_sgpr_workgroup_info 0
		.amdhsa_system_vgpr_workitem_id 0
		.amdhsa_next_free_vgpr 27
		.amdhsa_next_free_sgpr 44
		.amdhsa_reserve_vcc 1
		.amdhsa_float_round_mode_32 0
		.amdhsa_float_round_mode_16_64 0
		.amdhsa_float_denorm_mode_32 3
		.amdhsa_float_denorm_mode_16_64 3
		.amdhsa_dx10_clamp 1
		.amdhsa_ieee_mode 1
		.amdhsa_fp16_overflow 0
		.amdhsa_workgroup_processor_mode 1
		.amdhsa_memory_ordered 1
		.amdhsa_forward_progress 0
		.amdhsa_shared_vgpr_count 0
		.amdhsa_exception_fp_ieee_invalid_op 0
		.amdhsa_exception_fp_denorm_src 0
		.amdhsa_exception_fp_ieee_div_zero 0
		.amdhsa_exception_fp_ieee_overflow 0
		.amdhsa_exception_fp_ieee_underflow 0
		.amdhsa_exception_fp_ieee_inexact 0
		.amdhsa_exception_int_div_zero 0
	.end_amdhsa_kernel
	.section	.text._ZN9rocsparseL26csrgemm_fill_block_per_rowILj256ELj32ELj512ELj137ELj64ElidEEvT5_PKS1_S3_NS_24const_host_device_scalarIT6_EEPKT4_S3_PKS5_S9_S3_SB_S6_S9_S3_SB_S9_PS1_PS5_21rocsparse_index_base_SE_SE_SE_bbb,"axG",@progbits,_ZN9rocsparseL26csrgemm_fill_block_per_rowILj256ELj32ELj512ELj137ELj64ElidEEvT5_PKS1_S3_NS_24const_host_device_scalarIT6_EEPKT4_S3_PKS5_S9_S3_SB_S6_S9_S3_SB_S9_PS1_PS5_21rocsparse_index_base_SE_SE_SE_bbb,comdat
.Lfunc_end202:
	.size	_ZN9rocsparseL26csrgemm_fill_block_per_rowILj256ELj32ELj512ELj137ELj64ElidEEvT5_PKS1_S3_NS_24const_host_device_scalarIT6_EEPKT4_S3_PKS5_S9_S3_SB_S6_S9_S3_SB_S9_PS1_PS5_21rocsparse_index_base_SE_SE_SE_bbb, .Lfunc_end202-_ZN9rocsparseL26csrgemm_fill_block_per_rowILj256ELj32ELj512ELj137ELj64ElidEEvT5_PKS1_S3_NS_24const_host_device_scalarIT6_EEPKT4_S3_PKS5_S9_S3_SB_S6_S9_S3_SB_S9_PS1_PS5_21rocsparse_index_base_SE_SE_SE_bbb
                                        ; -- End function
	.section	.AMDGPU.csdata,"",@progbits
; Kernel info:
; codeLenInByte = 3204
; NumSgprs: 46
; NumVgprs: 27
; ScratchSize: 0
; MemoryBound: 0
; FloatMode: 240
; IeeeMode: 1
; LDSByteSize: 0 bytes/workgroup (compile time only)
; SGPRBlocks: 5
; VGPRBlocks: 3
; NumSGPRsForWavesPerEU: 46
; NumVGPRsForWavesPerEU: 27
; Occupancy: 16
; WaveLimiterHint : 1
; COMPUTE_PGM_RSRC2:SCRATCH_EN: 0
; COMPUTE_PGM_RSRC2:USER_SGPR: 15
; COMPUTE_PGM_RSRC2:TRAP_HANDLER: 0
; COMPUTE_PGM_RSRC2:TGID_X_EN: 1
; COMPUTE_PGM_RSRC2:TGID_Y_EN: 0
; COMPUTE_PGM_RSRC2:TGID_Z_EN: 0
; COMPUTE_PGM_RSRC2:TIDIG_COMP_CNT: 0
	.section	.text._ZN9rocsparseL26csrgemm_fill_block_per_rowILj512ELj32ELj1024ELj137ELj32ElidEEvT5_PKS1_S3_NS_24const_host_device_scalarIT6_EEPKT4_S3_PKS5_S9_S3_SB_S6_S9_S3_SB_S9_PS1_PS5_21rocsparse_index_base_SE_SE_SE_bbb,"axG",@progbits,_ZN9rocsparseL26csrgemm_fill_block_per_rowILj512ELj32ELj1024ELj137ELj32ElidEEvT5_PKS1_S3_NS_24const_host_device_scalarIT6_EEPKT4_S3_PKS5_S9_S3_SB_S6_S9_S3_SB_S9_PS1_PS5_21rocsparse_index_base_SE_SE_SE_bbb,comdat
	.globl	_ZN9rocsparseL26csrgemm_fill_block_per_rowILj512ELj32ELj1024ELj137ELj32ElidEEvT5_PKS1_S3_NS_24const_host_device_scalarIT6_EEPKT4_S3_PKS5_S9_S3_SB_S6_S9_S3_SB_S9_PS1_PS5_21rocsparse_index_base_SE_SE_SE_bbb ; -- Begin function _ZN9rocsparseL26csrgemm_fill_block_per_rowILj512ELj32ELj1024ELj137ELj32ElidEEvT5_PKS1_S3_NS_24const_host_device_scalarIT6_EEPKT4_S3_PKS5_S9_S3_SB_S6_S9_S3_SB_S9_PS1_PS5_21rocsparse_index_base_SE_SE_SE_bbb
	.p2align	8
	.type	_ZN9rocsparseL26csrgemm_fill_block_per_rowILj512ELj32ELj1024ELj137ELj32ElidEEvT5_PKS1_S3_NS_24const_host_device_scalarIT6_EEPKT4_S3_PKS5_S9_S3_SB_S6_S9_S3_SB_S9_PS1_PS5_21rocsparse_index_base_SE_SE_SE_bbb,@function
_ZN9rocsparseL26csrgemm_fill_block_per_rowILj512ELj32ELj1024ELj137ELj32ElidEEvT5_PKS1_S3_NS_24const_host_device_scalarIT6_EEPKT4_S3_PKS5_S9_S3_SB_S6_S9_S3_SB_S9_PS1_PS5_21rocsparse_index_base_SE_SE_SE_bbb: ; @_ZN9rocsparseL26csrgemm_fill_block_per_rowILj512ELj32ELj1024ELj137ELj32ElidEEvT5_PKS1_S3_NS_24const_host_device_scalarIT6_EEPKT4_S3_PKS5_S9_S3_SB_S6_S9_S3_SB_S9_PS1_PS5_21rocsparse_index_base_SE_SE_SE_bbb
; %bb.0:
	s_clause 0x3
	s_load_b32 s12, s[0:1], 0x98
	s_load_b64 s[4:5], s[0:1], 0x18
	s_load_b128 s[24:27], s[0:1], 0x88
	s_load_b64 s[2:3], s[0:1], 0x50
	s_waitcnt lgkmcnt(0)
	s_and_b32 s6, 1, s12
	s_bitcmp1_b32 s12, 16
	s_cselect_b32 s14, -1, 0
	s_cmp_eq_u32 s6, 1
	s_cselect_b32 s13, -1, 0
	s_delay_alu instid0(SALU_CYCLE_1)
	s_and_b32 s6, s13, exec_lo
	s_cselect_b32 s7, s5, 0
	s_cselect_b32 s6, s4, 0
	s_xor_b32 s8, s13, -1
	v_dual_mov_b32 v3, s6 :: v_dual_mov_b32 v4, s7
	s_or_b32 s8, s8, s14
	s_delay_alu instid0(SALU_CYCLE_1)
	s_and_b32 vcc_lo, exec_lo, s8
	s_cbranch_vccnz .LBB203_2
; %bb.1:
	v_dual_mov_b32 v1, s4 :: v_dual_mov_b32 v2, s5
	flat_load_b64 v[3:4], v[1:2]
.LBB203_2:
	s_clause 0x4
	s_load_b128 s[28:31], s[0:1], 0x78
	s_load_b256 s[16:23], s[0:1], 0x58
	s_load_b128 s[36:39], s[0:1], 0x40
	s_load_b128 s[40:43], s[0:1], 0x8
	s_load_b256 s[4:11], s[0:1], 0x20
	s_bitcmp1_b32 s12, 8
	s_cselect_b32 s12, -1, 0
	s_delay_alu instid0(SALU_CYCLE_1)
	s_and_b32 s33, s12, exec_lo
	s_cselect_b32 s35, s3, 0
	s_cselect_b32 s34, s2, 0
	s_xor_b32 s33, s12, -1
	v_dual_mov_b32 v1, s34 :: v_dual_mov_b32 v2, s35
	s_or_b32 s14, s33, s14
	s_delay_alu instid0(SALU_CYCLE_1)
	s_and_b32 vcc_lo, exec_lo, s14
	s_cbranch_vccnz .LBB203_4
; %bb.3:
	v_dual_mov_b32 v1, s2 :: v_dual_mov_b32 v2, s3
	flat_load_b64 v[1:2], v[1:2]
.LBB203_4:
	s_load_b32 s33, s[0:1], 0x0
	v_dual_mov_b32 v5, 0 :: v_dual_lshlrev_b32 v6, 3, v0
	v_lshl_add_u32 v17, v0, 2, 0
	v_or_b32_e32 v18, 0xfffffe00, v0
	s_mov_b32 s0, 0
	s_delay_alu instid0(VALU_DEP_3) | instskip(SKIP_1) | instid1(VALU_DEP_3)
	v_add3_u32 v19, v6, 0, 0x1000
	v_mov_b32_e32 v6, v5
	v_dual_mov_b32 v7, v17 :: v_dual_mov_b32 v8, v18
	s_waitcnt lgkmcnt(0)
	s_delay_alu instid0(VALU_DEP_3)
	v_dual_mov_b32 v10, v19 :: v_dual_mov_b32 v9, s33
.LBB203_5:                              ; =>This Inner Loop Header: Depth=1
	s_delay_alu instid0(VALU_DEP_2) | instskip(NEXT) | instid1(VALU_DEP_1)
	v_add_co_u32 v8, s1, 0x200, v8
	s_xor_b32 s1, s1, -1
	ds_store_b32 v7, v9
	ds_store_b64 v10, v[5:6]
	v_add_nc_u32_e32 v10, 0x1000, v10
	v_add_nc_u32_e32 v7, 0x800, v7
	s_and_b32 s1, exec_lo, s1
	s_delay_alu instid0(SALU_CYCLE_1) | instskip(NEXT) | instid1(SALU_CYCLE_1)
	s_or_b32 s0, s1, s0
	s_and_not1_b32 exec_lo, exec_lo, s0
	s_cbranch_execnz .LBB203_5
; %bb.6:
	s_or_b32 exec_lo, exec_lo, s0
	s_waitcnt vmcnt(0) lgkmcnt(0)
	s_barrier
	buffer_gl0_inv
	s_load_b32 s0, s[40:41], 0x0
	s_mov_b32 s1, 0
	v_lshrrev_b32_e32 v20, 5, v0
	s_waitcnt lgkmcnt(0)
	s_add_i32 s0, s0, s15
	s_delay_alu instid0(SALU_CYCLE_1) | instskip(NEXT) | instid1(SALU_CYCLE_1)
	s_lshl_b64 s[0:1], s[0:1], 2
	s_add_u32 s0, s42, s0
	s_addc_u32 s1, s43, s1
	s_and_b32 vcc_lo, exec_lo, s13
	s_load_b32 s34, s[0:1], 0x0
	s_cbranch_vccz .LBB203_30
; %bb.7:
	s_waitcnt lgkmcnt(0)
	s_ashr_i32 s35, s34, 31
	s_delay_alu instid0(SALU_CYCLE_1) | instskip(NEXT) | instid1(SALU_CYCLE_1)
	s_lshl_b64 s[0:1], s[34:35], 3
	s_add_u32 s0, s4, s0
	s_addc_u32 s1, s5, s1
	v_sub_co_u32 v5, s4, v20, s24
	s_load_b128 s[0:3], s[0:1], 0x0
	v_sub_co_ci_u32_e64 v6, null, 0, 0, s4
	s_waitcnt lgkmcnt(0)
	s_delay_alu instid0(VALU_DEP_2) | instskip(NEXT) | instid1(VALU_DEP_2)
	v_add_co_u32 v5, vcc_lo, s0, v5
	v_add_co_ci_u32_e32 v6, vcc_lo, s1, v6, vcc_lo
	s_sub_u32 s0, s2, s24
	s_subb_u32 s1, s3, 0
	s_mov_b32 s2, exec_lo
	s_delay_alu instid0(VALU_DEP_1)
	v_cmpx_gt_i64_e64 s[0:1], v[5:6]
	s_cbranch_execz .LBB203_29
; %bb.8:
	v_and_b32_e32 v7, 31, v0
	s_mov_b32 s4, s25
	s_delay_alu instid0(VALU_DEP_1) | instskip(NEXT) | instid1(VALU_DEP_1)
	v_sub_co_u32 v21, s3, v7, s25
	v_sub_co_ci_u32_e64 v22, null, 0, 0, s3
	s_mov_b32 s3, 0
	s_branch .LBB203_10
.LBB203_9:                              ;   in Loop: Header=BB203_10 Depth=1
	s_or_b32 exec_lo, exec_lo, s5
	v_add_co_u32 v5, vcc_lo, v5, 16
	v_add_co_ci_u32_e32 v6, vcc_lo, 0, v6, vcc_lo
	s_delay_alu instid0(VALU_DEP_1) | instskip(SKIP_1) | instid1(SALU_CYCLE_1)
	v_cmp_le_i64_e32 vcc_lo, s[0:1], v[5:6]
	s_or_b32 s3, vcc_lo, s3
	s_and_not1_b32 exec_lo, exec_lo, s3
	s_cbranch_execz .LBB203_29
.LBB203_10:                             ; =>This Loop Header: Depth=1
                                        ;     Child Loop BB203_13 Depth 2
                                        ;       Child Loop BB203_15 Depth 3
                                        ;         Child Loop BB203_21 Depth 4
                                        ;         Child Loop BB203_27 Depth 4
	v_lshlrev_b64 v[7:8], 2, v[5:6]
	s_mov_b32 s5, exec_lo
	s_delay_alu instid0(VALU_DEP_1) | instskip(NEXT) | instid1(VALU_DEP_2)
	v_add_co_u32 v7, vcc_lo, s6, v7
	v_add_co_ci_u32_e32 v8, vcc_lo, s7, v8, vcc_lo
	global_load_b32 v7, v[7:8], off
	s_waitcnt vmcnt(0)
	v_subrev_nc_u32_e32 v7, s24, v7
	s_delay_alu instid0(VALU_DEP_1) | instskip(NEXT) | instid1(VALU_DEP_1)
	v_ashrrev_i32_e32 v8, 31, v7
	v_lshlrev_b64 v[7:8], 3, v[7:8]
	s_delay_alu instid0(VALU_DEP_1) | instskip(NEXT) | instid1(VALU_DEP_2)
	v_add_co_u32 v7, vcc_lo, s10, v7
	v_add_co_ci_u32_e32 v8, vcc_lo, s11, v8, vcc_lo
	global_load_b128 v[9:12], v[7:8], off
	s_waitcnt vmcnt(0)
	v_sub_co_u32 v7, vcc_lo, v11, s4
	v_subrev_co_ci_u32_e32 v8, vcc_lo, 0, v12, vcc_lo
	v_add_co_u32 v9, vcc_lo, v9, v21
	v_add_co_ci_u32_e32 v10, vcc_lo, v10, v22, vcc_lo
	s_delay_alu instid0(VALU_DEP_1)
	v_cmpx_lt_i64_e64 v[9:10], v[7:8]
	s_cbranch_execz .LBB203_9
; %bb.11:                               ;   in Loop: Header=BB203_10 Depth=1
	v_lshlrev_b64 v[11:12], 3, v[5:6]
	s_mov_b32 s13, 0
	s_delay_alu instid0(VALU_DEP_1) | instskip(NEXT) | instid1(VALU_DEP_2)
	v_add_co_u32 v11, vcc_lo, s8, v11
	v_add_co_ci_u32_e32 v12, vcc_lo, s9, v12, vcc_lo
	global_load_b64 v[11:12], v[11:12], off
	s_waitcnt vmcnt(0)
	v_mul_f64 v[11:12], v[3:4], v[11:12]
	s_branch .LBB203_13
.LBB203_12:                             ;   in Loop: Header=BB203_13 Depth=2
	s_or_b32 exec_lo, exec_lo, s14
	v_add_co_u32 v9, vcc_lo, v9, 32
	v_add_co_ci_u32_e32 v10, vcc_lo, 0, v10, vcc_lo
	s_delay_alu instid0(VALU_DEP_1) | instskip(SKIP_1) | instid1(SALU_CYCLE_1)
	v_cmp_ge_i64_e32 vcc_lo, v[9:10], v[7:8]
	s_or_b32 s13, vcc_lo, s13
	s_and_not1_b32 exec_lo, exec_lo, s13
	s_cbranch_execz .LBB203_9
.LBB203_13:                             ;   Parent Loop BB203_10 Depth=1
                                        ; =>  This Loop Header: Depth=2
                                        ;       Child Loop BB203_15 Depth 3
                                        ;         Child Loop BB203_21 Depth 4
                                        ;         Child Loop BB203_27 Depth 4
	v_lshlrev_b64 v[13:14], 3, v[9:10]
	v_lshlrev_b64 v[15:16], 2, v[9:10]
	s_mov_b32 s14, 0
	s_delay_alu instid0(VALU_DEP_2) | instskip(NEXT) | instid1(VALU_DEP_3)
	v_add_co_u32 v13, vcc_lo, s38, v13
	v_add_co_ci_u32_e32 v14, vcc_lo, s39, v14, vcc_lo
	s_delay_alu instid0(VALU_DEP_3) | instskip(NEXT) | instid1(VALU_DEP_4)
	v_add_co_u32 v15, vcc_lo, s36, v15
	v_add_co_ci_u32_e32 v16, vcc_lo, s37, v16, vcc_lo
	global_load_b64 v[13:14], v[13:14], off
	global_load_b32 v15, v[15:16], off
	s_waitcnt vmcnt(1)
	v_mul_f64 v[13:14], v[11:12], v[13:14]
	s_waitcnt vmcnt(0)
	v_subrev_nc_u32_e32 v23, s25, v15
	s_delay_alu instid0(VALU_DEP_1) | instskip(NEXT) | instid1(VALU_DEP_1)
	v_mul_lo_u32 v15, 0x89, v23
	v_and_b32_e32 v24, 0x3ff, v15
	s_branch .LBB203_15
.LBB203_14:                             ;   in Loop: Header=BB203_15 Depth=3
	s_or_b32 exec_lo, exec_lo, s15
	s_xor_b32 s15, s35, -1
	s_delay_alu instid0(SALU_CYCLE_1) | instskip(NEXT) | instid1(SALU_CYCLE_1)
	s_and_b32 s15, exec_lo, s15
	s_or_b32 s14, s15, s14
	s_delay_alu instid0(SALU_CYCLE_1)
	s_and_not1_b32 exec_lo, exec_lo, s14
	s_cbranch_execz .LBB203_12
.LBB203_15:                             ;   Parent Loop BB203_10 Depth=1
                                        ;     Parent Loop BB203_13 Depth=2
                                        ; =>    This Loop Header: Depth=3
                                        ;         Child Loop BB203_21 Depth 4
                                        ;         Child Loop BB203_27 Depth 4
	s_delay_alu instid0(VALU_DEP_1)
	v_lshl_add_u32 v15, v24, 2, 0
	s_mov_b32 s15, exec_lo
                                        ; implicit-def: $sgpr35
	ds_load_b32 v16, v15
	s_waitcnt lgkmcnt(0)
	v_cmpx_ne_u32_e64 v16, v23
	s_xor_b32 s15, exec_lo, s15
	s_cbranch_execz .LBB203_25
; %bb.16:                               ;   in Loop: Header=BB203_15 Depth=3
	s_mov_b32 s40, exec_lo
                                        ; implicit-def: $sgpr35
	v_cmpx_ne_u32_e64 s33, v16
	s_xor_b32 s40, exec_lo, s40
; %bb.17:                               ;   in Loop: Header=BB203_15 Depth=3
	v_add_nc_u32_e32 v15, 1, v24
	s_mov_b32 s35, -1
	s_delay_alu instid0(VALU_DEP_1)
	v_and_b32_e32 v24, 0x3ff, v15
                                        ; implicit-def: $vgpr15
; %bb.18:                               ;   in Loop: Header=BB203_15 Depth=3
	s_and_not1_saveexec_b32 s40, s40
	s_cbranch_execz .LBB203_24
; %bb.19:                               ;   in Loop: Header=BB203_15 Depth=3
	v_mov_b32_e32 v16, s33
	s_mov_b32 s42, -1
	s_mov_b32 s41, exec_lo
	ds_cmpstore_rtn_b32 v16, v15, v23, v16
	s_waitcnt lgkmcnt(0)
	v_cmpx_eq_u32_e64 s33, v16
	s_cbranch_execz .LBB203_23
; %bb.20:                               ;   in Loop: Header=BB203_15 Depth=3
	v_lshlrev_b32_e32 v16, 2, v24
	s_mov_b32 s42, 0
	s_delay_alu instid0(VALU_DEP_1)
	v_add_nc_u32_e32 v25, v15, v16
	ds_load_b64 v[15:16], v25 offset:4096
.LBB203_21:                             ;   Parent Loop BB203_10 Depth=1
                                        ;     Parent Loop BB203_13 Depth=2
                                        ;       Parent Loop BB203_15 Depth=3
                                        ; =>      This Inner Loop Header: Depth=4
	s_waitcnt lgkmcnt(0)
	v_add_f64 v[26:27], v[15:16], v[13:14]
	ds_cmpstore_rtn_b64 v[26:27], v25, v[26:27], v[15:16] offset:4096
	s_waitcnt lgkmcnt(0)
	v_cmp_eq_u64_e32 vcc_lo, v[26:27], v[15:16]
	v_dual_mov_b32 v15, v26 :: v_dual_mov_b32 v16, v27
	s_or_b32 s42, vcc_lo, s42
	s_delay_alu instid0(SALU_CYCLE_1)
	s_and_not1_b32 exec_lo, exec_lo, s42
	s_cbranch_execnz .LBB203_21
; %bb.22:                               ;   in Loop: Header=BB203_15 Depth=3
	s_or_b32 exec_lo, exec_lo, s42
	s_delay_alu instid0(SALU_CYCLE_1)
	s_xor_b32 s42, exec_lo, -1
.LBB203_23:                             ;   in Loop: Header=BB203_15 Depth=3
	s_or_b32 exec_lo, exec_lo, s41
	s_delay_alu instid0(SALU_CYCLE_1) | instskip(SKIP_1) | instid1(SALU_CYCLE_1)
	s_and_not1_b32 s35, s35, exec_lo
	s_and_b32 s41, s42, exec_lo
	s_or_b32 s35, s35, s41
.LBB203_24:                             ;   in Loop: Header=BB203_15 Depth=3
	s_or_b32 exec_lo, exec_lo, s40
	s_delay_alu instid0(SALU_CYCLE_1)
	s_and_b32 s35, s35, exec_lo
                                        ; implicit-def: $vgpr15
.LBB203_25:                             ;   in Loop: Header=BB203_15 Depth=3
	s_and_not1_saveexec_b32 s15, s15
	s_cbranch_execz .LBB203_14
; %bb.26:                               ;   in Loop: Header=BB203_15 Depth=3
	v_lshlrev_b32_e32 v16, 2, v24
	s_mov_b32 s40, 0
	s_delay_alu instid0(VALU_DEP_1)
	v_add_nc_u32_e32 v25, v15, v16
	ds_load_b64 v[15:16], v25 offset:4096
.LBB203_27:                             ;   Parent Loop BB203_10 Depth=1
                                        ;     Parent Loop BB203_13 Depth=2
                                        ;       Parent Loop BB203_15 Depth=3
                                        ; =>      This Inner Loop Header: Depth=4
	s_waitcnt lgkmcnt(0)
	v_add_f64 v[26:27], v[15:16], v[13:14]
	ds_cmpstore_rtn_b64 v[26:27], v25, v[26:27], v[15:16] offset:4096
	s_waitcnt lgkmcnt(0)
	v_cmp_eq_u64_e32 vcc_lo, v[26:27], v[15:16]
	v_dual_mov_b32 v15, v26 :: v_dual_mov_b32 v16, v27
	s_or_b32 s40, vcc_lo, s40
	s_delay_alu instid0(SALU_CYCLE_1)
	s_and_not1_b32 exec_lo, exec_lo, s40
	s_cbranch_execnz .LBB203_27
; %bb.28:                               ;   in Loop: Header=BB203_15 Depth=3
	s_or_b32 exec_lo, exec_lo, s40
	s_delay_alu instid0(SALU_CYCLE_1)
	s_and_not1_b32 s35, s35, exec_lo
	s_branch .LBB203_14
.LBB203_29:
	s_or_b32 exec_lo, exec_lo, s2
.LBB203_30:
	s_delay_alu instid0(SALU_CYCLE_1)
	s_and_not1_b32 vcc_lo, exec_lo, s12
	s_cbranch_vccnz .LBB203_33
; %bb.31:
	s_waitcnt lgkmcnt(0)
	s_ashr_i32 s35, s34, 31
	v_sub_co_u32 v3, s4, v0, s27
	s_lshl_b64 s[0:1], s[34:35], 3
	v_sub_co_ci_u32_e64 v4, null, 0, 0, s4
	s_add_u32 s0, s16, s0
	s_addc_u32 s1, s17, s1
	s_load_b128 s[0:3], s[0:1], 0x0
	s_waitcnt lgkmcnt(0)
	v_add_co_u32 v3, vcc_lo, s0, v3
	v_add_co_ci_u32_e32 v4, vcc_lo, s1, v4, vcc_lo
	s_sub_u32 s0, s2, s27
	s_subb_u32 s1, s3, 0
	s_mov_b32 s3, 0
	s_mov_b32 s2, exec_lo
	v_cmpx_gt_i64_e64 s[0:1], v[3:4]
	s_cbranch_execnz .LBB203_70
.LBB203_32:
	s_or_b32 exec_lo, exec_lo, s2
.LBB203_33:
	v_mbcnt_lo_u32_b32 v1, -1, 0
	v_lshl_add_u32 v4, v20, 2, 0
	v_cmp_eq_u32_e32 vcc_lo, 0x1ff, v0
	v_cmp_lt_u32_e64 s0, 31, v0
	v_cmp_lt_u32_e64 s1, 63, v0
	v_xor_b32_e32 v1, 63, v1
	v_cmp_lt_u32_e64 s2, 0x5f, v0
	v_cmp_lt_u32_e64 s3, 0x7f, v0
	;; [unrolled: 1-line block ×4, first 2 shown]
	v_lshrrev_b64 v[1:2], v1, -1
	v_cmp_lt_u32_e64 s6, 0xdf, v0
	v_cmp_lt_u32_e64 s7, 0xff, v0
	;; [unrolled: 1-line block ×9, first 2 shown]
	v_dual_mov_b32 v5, 0 :: v_dual_mov_b32 v6, 0
	s_mov_b32 s16, 0
	s_waitcnt lgkmcnt(0)
	s_barrier
	buffer_gl0_inv
	s_branch .LBB203_35
.LBB203_34:                             ;   in Loop: Header=BB203_35 Depth=1
	s_or_b32 exec_lo, exec_lo, s15
	s_waitcnt lgkmcnt(0)
	s_barrier
	buffer_gl0_inv
	ds_load_b32 v2, v5 offset:12348
	v_add_co_u32 v18, s15, 0x200, v18
	s_delay_alu instid0(VALU_DEP_1) | instskip(SKIP_3) | instid1(SALU_CYCLE_1)
	s_xor_b32 s15, s15, -1
	v_add_nc_u32_e32 v19, 0x1000, v19
	v_add_nc_u32_e32 v17, 0x800, v17
	s_and_b32 s15, exec_lo, s15
	s_or_b32 s16, s15, s16
	s_waitcnt lgkmcnt(0)
	v_add_nc_u32_e32 v6, v2, v6
	s_and_not1_b32 exec_lo, exec_lo, s16
	s_cbranch_execz .LBB203_86
.LBB203_35:                             ; =>This Inner Loop Header: Depth=1
	ds_load_b32 v7, v17
	ds_load_b64 v[2:3], v19
	s_waitcnt lgkmcnt(0)
	s_barrier
	buffer_gl0_inv
	v_cmp_gt_i32_e64 s15, s33, v7
	s_delay_alu instid0(VALU_DEP_1) | instskip(NEXT) | instid1(SALU_CYCLE_1)
	s_bcnt1_i32_b32 s17, s15
	v_dual_mov_b32 v9, s17 :: v_dual_and_b32 v8, s15, v1
	s_delay_alu instid0(VALU_DEP_1)
	v_bcnt_u32_b32 v8, v8, 0
	ds_store_b32 v4, v9 offset:12288
	s_waitcnt lgkmcnt(0)
	s_barrier
	buffer_gl0_inv
	s_and_saveexec_b32 s17, s0
	s_cbranch_execnz .LBB203_52
; %bb.36:                               ;   in Loop: Header=BB203_35 Depth=1
	s_or_b32 exec_lo, exec_lo, s17
	s_and_saveexec_b32 s17, s1
	s_cbranch_execnz .LBB203_53
.LBB203_37:                             ;   in Loop: Header=BB203_35 Depth=1
	s_or_b32 exec_lo, exec_lo, s17
	s_and_saveexec_b32 s17, s2
	s_cbranch_execnz .LBB203_54
.LBB203_38:                             ;   in Loop: Header=BB203_35 Depth=1
	s_or_b32 exec_lo, exec_lo, s17
	s_and_saveexec_b32 s17, s3
	s_cbranch_execnz .LBB203_55
.LBB203_39:                             ;   in Loop: Header=BB203_35 Depth=1
	s_or_b32 exec_lo, exec_lo, s17
	s_and_saveexec_b32 s17, s4
	s_cbranch_execnz .LBB203_56
.LBB203_40:                             ;   in Loop: Header=BB203_35 Depth=1
	s_or_b32 exec_lo, exec_lo, s17
	s_and_saveexec_b32 s17, s5
	s_cbranch_execnz .LBB203_57
.LBB203_41:                             ;   in Loop: Header=BB203_35 Depth=1
	s_or_b32 exec_lo, exec_lo, s17
	s_and_saveexec_b32 s17, s6
	s_cbranch_execnz .LBB203_58
.LBB203_42:                             ;   in Loop: Header=BB203_35 Depth=1
	s_or_b32 exec_lo, exec_lo, s17
	s_and_saveexec_b32 s17, s7
	s_cbranch_execnz .LBB203_59
.LBB203_43:                             ;   in Loop: Header=BB203_35 Depth=1
	s_or_b32 exec_lo, exec_lo, s17
	s_and_saveexec_b32 s17, s8
	s_cbranch_execnz .LBB203_60
.LBB203_44:                             ;   in Loop: Header=BB203_35 Depth=1
	s_or_b32 exec_lo, exec_lo, s17
	s_and_saveexec_b32 s17, s9
	s_cbranch_execnz .LBB203_61
.LBB203_45:                             ;   in Loop: Header=BB203_35 Depth=1
	s_or_b32 exec_lo, exec_lo, s17
	s_and_saveexec_b32 s17, s10
	s_cbranch_execnz .LBB203_62
.LBB203_46:                             ;   in Loop: Header=BB203_35 Depth=1
	s_or_b32 exec_lo, exec_lo, s17
	s_and_saveexec_b32 s17, s11
	s_cbranch_execnz .LBB203_63
.LBB203_47:                             ;   in Loop: Header=BB203_35 Depth=1
	s_or_b32 exec_lo, exec_lo, s17
	s_and_saveexec_b32 s17, s12
	s_cbranch_execnz .LBB203_64
.LBB203_48:                             ;   in Loop: Header=BB203_35 Depth=1
	s_or_b32 exec_lo, exec_lo, s17
	s_and_saveexec_b32 s17, s13
	s_cbranch_execnz .LBB203_65
.LBB203_49:                             ;   in Loop: Header=BB203_35 Depth=1
	s_or_b32 exec_lo, exec_lo, s17
	s_and_saveexec_b32 s17, s14
	s_cbranch_execnz .LBB203_66
.LBB203_50:                             ;   in Loop: Header=BB203_35 Depth=1
	s_or_b32 exec_lo, exec_lo, s17
	s_and_saveexec_b32 s17, s15
	s_cbranch_execnz .LBB203_67
.LBB203_51:                             ;   in Loop: Header=BB203_35 Depth=1
	s_or_b32 exec_lo, exec_lo, s17
	s_and_saveexec_b32 s15, vcc_lo
	s_cbranch_execz .LBB203_34
	s_branch .LBB203_68
.LBB203_52:                             ;   in Loop: Header=BB203_35 Depth=1
	ds_load_b32 v9, v5 offset:12288
	s_waitcnt lgkmcnt(0)
	v_add_nc_u32_e32 v8, v9, v8
	s_or_b32 exec_lo, exec_lo, s17
	s_and_saveexec_b32 s17, s1
	s_cbranch_execz .LBB203_37
.LBB203_53:                             ;   in Loop: Header=BB203_35 Depth=1
	ds_load_b32 v9, v5 offset:12292
	s_waitcnt lgkmcnt(0)
	v_add_nc_u32_e32 v8, v9, v8
	s_or_b32 exec_lo, exec_lo, s17
	s_and_saveexec_b32 s17, s2
	s_cbranch_execz .LBB203_38
.LBB203_54:                             ;   in Loop: Header=BB203_35 Depth=1
	ds_load_b32 v9, v5 offset:12296
	s_waitcnt lgkmcnt(0)
	v_add_nc_u32_e32 v8, v9, v8
	s_or_b32 exec_lo, exec_lo, s17
	s_and_saveexec_b32 s17, s3
	s_cbranch_execz .LBB203_39
.LBB203_55:                             ;   in Loop: Header=BB203_35 Depth=1
	ds_load_b32 v9, v5 offset:12300
	s_waitcnt lgkmcnt(0)
	v_add_nc_u32_e32 v8, v9, v8
	s_or_b32 exec_lo, exec_lo, s17
	s_and_saveexec_b32 s17, s4
	s_cbranch_execz .LBB203_40
.LBB203_56:                             ;   in Loop: Header=BB203_35 Depth=1
	ds_load_b32 v9, v5 offset:12304
	s_waitcnt lgkmcnt(0)
	v_add_nc_u32_e32 v8, v9, v8
	s_or_b32 exec_lo, exec_lo, s17
	s_and_saveexec_b32 s17, s5
	s_cbranch_execz .LBB203_41
.LBB203_57:                             ;   in Loop: Header=BB203_35 Depth=1
	ds_load_b32 v9, v5 offset:12308
	s_waitcnt lgkmcnt(0)
	v_add_nc_u32_e32 v8, v9, v8
	s_or_b32 exec_lo, exec_lo, s17
	s_and_saveexec_b32 s17, s6
	s_cbranch_execz .LBB203_42
.LBB203_58:                             ;   in Loop: Header=BB203_35 Depth=1
	ds_load_b32 v9, v5 offset:12312
	s_waitcnt lgkmcnt(0)
	v_add_nc_u32_e32 v8, v9, v8
	s_or_b32 exec_lo, exec_lo, s17
	s_and_saveexec_b32 s17, s7
	s_cbranch_execz .LBB203_43
.LBB203_59:                             ;   in Loop: Header=BB203_35 Depth=1
	ds_load_b32 v9, v5 offset:12316
	s_waitcnt lgkmcnt(0)
	v_add_nc_u32_e32 v8, v9, v8
	s_or_b32 exec_lo, exec_lo, s17
	s_and_saveexec_b32 s17, s8
	s_cbranch_execz .LBB203_44
.LBB203_60:                             ;   in Loop: Header=BB203_35 Depth=1
	ds_load_b32 v9, v5 offset:12320
	s_waitcnt lgkmcnt(0)
	v_add_nc_u32_e32 v8, v9, v8
	s_or_b32 exec_lo, exec_lo, s17
	s_and_saveexec_b32 s17, s9
	s_cbranch_execz .LBB203_45
.LBB203_61:                             ;   in Loop: Header=BB203_35 Depth=1
	ds_load_b32 v9, v5 offset:12324
	s_waitcnt lgkmcnt(0)
	v_add_nc_u32_e32 v8, v9, v8
	s_or_b32 exec_lo, exec_lo, s17
	s_and_saveexec_b32 s17, s10
	s_cbranch_execz .LBB203_46
.LBB203_62:                             ;   in Loop: Header=BB203_35 Depth=1
	ds_load_b32 v9, v5 offset:12328
	s_waitcnt lgkmcnt(0)
	v_add_nc_u32_e32 v8, v9, v8
	s_or_b32 exec_lo, exec_lo, s17
	s_and_saveexec_b32 s17, s11
	s_cbranch_execz .LBB203_47
.LBB203_63:                             ;   in Loop: Header=BB203_35 Depth=1
	ds_load_b32 v9, v5 offset:12332
	s_waitcnt lgkmcnt(0)
	v_add_nc_u32_e32 v8, v9, v8
	s_or_b32 exec_lo, exec_lo, s17
	s_and_saveexec_b32 s17, s12
	s_cbranch_execz .LBB203_48
.LBB203_64:                             ;   in Loop: Header=BB203_35 Depth=1
	ds_load_b32 v9, v5 offset:12336
	s_waitcnt lgkmcnt(0)
	v_add_nc_u32_e32 v8, v9, v8
	s_or_b32 exec_lo, exec_lo, s17
	s_and_saveexec_b32 s17, s13
	s_cbranch_execz .LBB203_49
.LBB203_65:                             ;   in Loop: Header=BB203_35 Depth=1
	ds_load_b32 v9, v5 offset:12340
	s_waitcnt lgkmcnt(0)
	v_add_nc_u32_e32 v8, v9, v8
	s_or_b32 exec_lo, exec_lo, s17
	s_and_saveexec_b32 s17, s14
	s_cbranch_execz .LBB203_50
.LBB203_66:                             ;   in Loop: Header=BB203_35 Depth=1
	ds_load_b32 v9, v5 offset:12344
	s_waitcnt lgkmcnt(0)
	v_add_nc_u32_e32 v8, v9, v8
	s_or_b32 exec_lo, exec_lo, s17
	s_and_saveexec_b32 s17, s15
	s_cbranch_execz .LBB203_51
.LBB203_67:                             ;   in Loop: Header=BB203_35 Depth=1
	s_delay_alu instid0(VALU_DEP_1) | instskip(NEXT) | instid1(VALU_DEP_1)
	v_add3_u32 v9, v6, -1, v8
	v_lshl_add_u32 v10, v9, 2, 0
	v_lshl_add_u32 v9, v9, 3, 0
	ds_store_b32 v10, v7
	ds_store_b64 v9, v[2:3] offset:4096
	s_or_b32 exec_lo, exec_lo, s17
	s_and_saveexec_b32 s15, vcc_lo
	s_cbranch_execz .LBB203_34
.LBB203_68:                             ;   in Loop: Header=BB203_35 Depth=1
	ds_store_b32 v5, v8 offset:12348
	s_branch .LBB203_34
.LBB203_69:                             ;   in Loop: Header=BB203_70 Depth=1
	s_or_b32 exec_lo, exec_lo, s4
	v_add_co_u32 v3, vcc_lo, 0x200, v3
	v_add_co_ci_u32_e32 v4, vcc_lo, 0, v4, vcc_lo
	s_delay_alu instid0(VALU_DEP_1) | instskip(SKIP_1) | instid1(SALU_CYCLE_1)
	v_cmp_le_i64_e32 vcc_lo, s[0:1], v[3:4]
	s_or_b32 s3, vcc_lo, s3
	s_and_not1_b32 exec_lo, exec_lo, s3
	s_cbranch_execz .LBB203_32
.LBB203_70:                             ; =>This Loop Header: Depth=1
                                        ;     Child Loop BB203_72 Depth 2
                                        ;       Child Loop BB203_78 Depth 3
                                        ;       Child Loop BB203_84 Depth 3
	v_lshlrev_b64 v[5:6], 3, v[3:4]
	v_lshlrev_b64 v[7:8], 2, v[3:4]
	s_mov_b32 s4, 0
	s_delay_alu instid0(VALU_DEP_2) | instskip(NEXT) | instid1(VALU_DEP_3)
	v_add_co_u32 v5, vcc_lo, s20, v5
	v_add_co_ci_u32_e32 v6, vcc_lo, s21, v6, vcc_lo
	s_delay_alu instid0(VALU_DEP_3) | instskip(NEXT) | instid1(VALU_DEP_4)
	v_add_co_u32 v7, vcc_lo, s18, v7
	v_add_co_ci_u32_e32 v8, vcc_lo, s19, v8, vcc_lo
	global_load_b64 v[5:6], v[5:6], off
	global_load_b32 v7, v[7:8], off
	s_waitcnt vmcnt(1)
	v_mul_f64 v[5:6], v[1:2], v[5:6]
	s_waitcnt vmcnt(0)
	v_subrev_nc_u32_e32 v9, s27, v7
	s_delay_alu instid0(VALU_DEP_1) | instskip(NEXT) | instid1(VALU_DEP_1)
	v_mul_lo_u32 v7, 0x89, v9
	v_and_b32_e32 v10, 0x3ff, v7
	s_branch .LBB203_72
.LBB203_71:                             ;   in Loop: Header=BB203_72 Depth=2
	s_or_b32 exec_lo, exec_lo, s5
	s_xor_b32 s5, s6, -1
	s_delay_alu instid0(SALU_CYCLE_1) | instskip(NEXT) | instid1(SALU_CYCLE_1)
	s_and_b32 s5, exec_lo, s5
	s_or_b32 s4, s5, s4
	s_delay_alu instid0(SALU_CYCLE_1)
	s_and_not1_b32 exec_lo, exec_lo, s4
	s_cbranch_execz .LBB203_69
.LBB203_72:                             ;   Parent Loop BB203_70 Depth=1
                                        ; =>  This Loop Header: Depth=2
                                        ;       Child Loop BB203_78 Depth 3
                                        ;       Child Loop BB203_84 Depth 3
	s_delay_alu instid0(VALU_DEP_1)
	v_lshl_add_u32 v7, v10, 2, 0
	s_mov_b32 s5, exec_lo
                                        ; implicit-def: $sgpr6
	ds_load_b32 v8, v7
	s_waitcnt lgkmcnt(0)
	v_cmpx_ne_u32_e64 v8, v9
	s_xor_b32 s5, exec_lo, s5
	s_cbranch_execz .LBB203_82
; %bb.73:                               ;   in Loop: Header=BB203_72 Depth=2
	s_mov_b32 s7, exec_lo
                                        ; implicit-def: $sgpr6
	v_cmpx_ne_u32_e64 s33, v8
	s_xor_b32 s7, exec_lo, s7
; %bb.74:                               ;   in Loop: Header=BB203_72 Depth=2
	v_add_nc_u32_e32 v7, 1, v10
	s_mov_b32 s6, -1
	s_delay_alu instid0(VALU_DEP_1)
	v_and_b32_e32 v10, 0x3ff, v7
                                        ; implicit-def: $vgpr7
; %bb.75:                               ;   in Loop: Header=BB203_72 Depth=2
	s_and_not1_saveexec_b32 s7, s7
	s_cbranch_execz .LBB203_81
; %bb.76:                               ;   in Loop: Header=BB203_72 Depth=2
	v_mov_b32_e32 v8, s33
	s_mov_b32 s9, -1
	s_mov_b32 s8, exec_lo
	ds_cmpstore_rtn_b32 v8, v7, v9, v8
	s_waitcnt lgkmcnt(0)
	v_cmpx_eq_u32_e64 s33, v8
	s_cbranch_execz .LBB203_80
; %bb.77:                               ;   in Loop: Header=BB203_72 Depth=2
	v_lshlrev_b32_e32 v8, 2, v10
	s_mov_b32 s9, 0
	s_delay_alu instid0(VALU_DEP_1)
	v_add_nc_u32_e32 v11, v7, v8
	ds_load_b64 v[7:8], v11 offset:4096
.LBB203_78:                             ;   Parent Loop BB203_70 Depth=1
                                        ;     Parent Loop BB203_72 Depth=2
                                        ; =>    This Inner Loop Header: Depth=3
	s_waitcnt lgkmcnt(0)
	v_add_f64 v[12:13], v[7:8], v[5:6]
	ds_cmpstore_rtn_b64 v[12:13], v11, v[12:13], v[7:8] offset:4096
	s_waitcnt lgkmcnt(0)
	v_cmp_eq_u64_e32 vcc_lo, v[12:13], v[7:8]
	v_dual_mov_b32 v7, v12 :: v_dual_mov_b32 v8, v13
	s_or_b32 s9, vcc_lo, s9
	s_delay_alu instid0(SALU_CYCLE_1)
	s_and_not1_b32 exec_lo, exec_lo, s9
	s_cbranch_execnz .LBB203_78
; %bb.79:                               ;   in Loop: Header=BB203_72 Depth=2
	s_or_b32 exec_lo, exec_lo, s9
	s_delay_alu instid0(SALU_CYCLE_1)
	s_xor_b32 s9, exec_lo, -1
.LBB203_80:                             ;   in Loop: Header=BB203_72 Depth=2
	s_or_b32 exec_lo, exec_lo, s8
	s_delay_alu instid0(SALU_CYCLE_1) | instskip(SKIP_1) | instid1(SALU_CYCLE_1)
	s_and_not1_b32 s6, s6, exec_lo
	s_and_b32 s8, s9, exec_lo
	s_or_b32 s6, s6, s8
.LBB203_81:                             ;   in Loop: Header=BB203_72 Depth=2
	s_or_b32 exec_lo, exec_lo, s7
	s_delay_alu instid0(SALU_CYCLE_1)
	s_and_b32 s6, s6, exec_lo
                                        ; implicit-def: $vgpr7
.LBB203_82:                             ;   in Loop: Header=BB203_72 Depth=2
	s_and_not1_saveexec_b32 s5, s5
	s_cbranch_execz .LBB203_71
; %bb.83:                               ;   in Loop: Header=BB203_72 Depth=2
	v_lshlrev_b32_e32 v8, 2, v10
	s_mov_b32 s7, 0
	s_delay_alu instid0(VALU_DEP_1)
	v_add_nc_u32_e32 v11, v7, v8
	ds_load_b64 v[7:8], v11 offset:4096
.LBB203_84:                             ;   Parent Loop BB203_70 Depth=1
                                        ;     Parent Loop BB203_72 Depth=2
                                        ; =>    This Inner Loop Header: Depth=3
	s_waitcnt lgkmcnt(0)
	v_add_f64 v[12:13], v[7:8], v[5:6]
	ds_cmpstore_rtn_b64 v[12:13], v11, v[12:13], v[7:8] offset:4096
	s_waitcnt lgkmcnt(0)
	v_cmp_eq_u64_e32 vcc_lo, v[12:13], v[7:8]
	v_dual_mov_b32 v7, v12 :: v_dual_mov_b32 v8, v13
	s_or_b32 s7, vcc_lo, s7
	s_delay_alu instid0(SALU_CYCLE_1)
	s_and_not1_b32 exec_lo, exec_lo, s7
	s_cbranch_execnz .LBB203_84
; %bb.85:                               ;   in Loop: Header=BB203_72 Depth=2
	s_or_b32 exec_lo, exec_lo, s7
	s_delay_alu instid0(SALU_CYCLE_1)
	s_and_not1_b32 s6, s6, exec_lo
	s_branch .LBB203_71
.LBB203_86:
	s_or_b32 exec_lo, exec_lo, s16
	s_ashr_i32 s35, s34, 31
	s_mov_b32 s4, exec_lo
	s_lshl_b64 s[0:1], s[34:35], 3
	s_delay_alu instid0(SALU_CYCLE_1) | instskip(SKIP_4) | instid1(SALU_CYCLE_1)
	s_add_u32 s0, s22, s0
	s_addc_u32 s1, s23, s1
	s_load_b128 s[0:3], s[0:1], 0x0
	s_waitcnt lgkmcnt(0)
	s_sub_i32 s3, s2, s0
	v_cmpx_gt_i32_e64 s3, v0
	s_cbranch_execz .LBB203_96
; %bb.87:
	s_sub_u32 s4, s0, s26
	s_subb_u32 s5, s1, 0
	s_sub_i32 s0, s0, s2
	s_and_b32 s1, s3, 7
	s_cmp_lt_u32 s0, -7
	s_mov_b32 s8, 0
	s_cselect_b32 s2, -1, 0
	s_and_b32 s6, s3, -8
	s_cmp_lg_u32 s1, 0
	s_cselect_b32 s7, -1, 0
	s_branch .LBB203_89
.LBB203_88:                             ;   in Loop: Header=BB203_89 Depth=1
	s_delay_alu instid0(VALU_DEP_1) | instskip(SKIP_4) | instid1(VALU_DEP_4)
	v_lshlrev_b64 v[6:7], 2, v[3:4]
	v_lshlrev_b64 v[3:4], 3, v[3:4]
	v_add_nc_u32_e32 v0, 0x200, v0
	s_waitcnt lgkmcnt(1)
	v_add_nc_u32_e32 v8, s26, v5
	v_add_co_u32 v5, vcc_lo, s28, v6
	v_add_co_ci_u32_e32 v6, vcc_lo, s29, v7, vcc_lo
	v_cmp_le_i32_e32 vcc_lo, s3, v0
	v_add_co_u32 v3, s0, s30, v3
	s_delay_alu instid0(VALU_DEP_1)
	v_add_co_ci_u32_e64 v4, s0, s31, v4, s0
	s_or_b32 s8, vcc_lo, s8
	global_store_b32 v[5:6], v8, off
	s_waitcnt lgkmcnt(0)
	global_store_b64 v[3:4], v[1:2], off
	s_and_not1_b32 exec_lo, exec_lo, s8
	s_cbranch_execz .LBB203_96
.LBB203_89:                             ; =>This Loop Header: Depth=1
                                        ;     Child Loop BB203_91 Depth 2
                                        ;     Child Loop BB203_95 Depth 2
	v_lshlrev_b32_e32 v1, 2, v0
	v_dual_mov_b32 v3, s4 :: v_dual_mov_b32 v4, s5
	s_and_not1_b32 vcc_lo, exec_lo, s2
	s_mov_b32 s0, 0
	s_delay_alu instid0(VALU_DEP_2) | instskip(NEXT) | instid1(VALU_DEP_1)
	v_add_nc_u32_e32 v2, 0, v1
	v_add_nc_u32_e32 v1, v2, v1
	ds_load_b32 v5, v2
	ds_load_b64 v[1:2], v1 offset:4096
	s_cbranch_vccnz .LBB203_93
; %bb.90:                               ;   in Loop: Header=BB203_89 Depth=1
	v_dual_mov_b32 v3, s4 :: v_dual_mov_b32 v4, s5
	s_mov_b32 s9, 0
	s_mov_b32 s10, 0
.LBB203_91:                             ;   Parent Loop BB203_89 Depth=1
                                        ; =>  This Inner Loop Header: Depth=2
	s_delay_alu instid0(SALU_CYCLE_1)
	v_mov_b32_e32 v12, s10
	s_add_i32 s9, s9, 8
	s_add_i32 s10, s10, 32
	s_cmp_eq_u32 s6, s9
	ds_load_2addr_b32 v[6:7], v12 offset1:1
	ds_load_2addr_b32 v[8:9], v12 offset0:2 offset1:3
	ds_load_2addr_b32 v[10:11], v12 offset0:4 offset1:5
	;; [unrolled: 1-line block ×3, first 2 shown]
	s_waitcnt lgkmcnt(3)
	v_cmp_gt_i32_e32 vcc_lo, v5, v6
	v_cndmask_b32_e64 v6, 0, 1, vcc_lo
	v_cmp_gt_i32_e32 vcc_lo, v5, v7
	v_cndmask_b32_e64 v7, 0, 1, vcc_lo
	s_waitcnt lgkmcnt(2)
	v_cmp_gt_i32_e32 vcc_lo, v5, v8
	v_cndmask_b32_e64 v8, 0, 1, vcc_lo
	v_cmp_gt_i32_e32 vcc_lo, v5, v9
	v_cndmask_b32_e64 v9, 0, 1, vcc_lo
	s_waitcnt lgkmcnt(1)
	v_cmp_gt_i32_e32 vcc_lo, v5, v10
	v_cndmask_b32_e64 v10, 0, 1, vcc_lo
	v_add_co_u32 v3, vcc_lo, v3, v6
	v_add_co_ci_u32_e32 v4, vcc_lo, 0, v4, vcc_lo
	v_cmp_gt_i32_e32 vcc_lo, v5, v11
	s_delay_alu instid0(VALU_DEP_3) | instskip(NEXT) | instid1(VALU_DEP_1)
	v_add_co_u32 v3, s0, v3, v7
	v_add_co_ci_u32_e64 v4, s0, 0, v4, s0
	v_cndmask_b32_e64 v6, 0, 1, vcc_lo
	s_delay_alu instid0(VALU_DEP_3) | instskip(NEXT) | instid1(VALU_DEP_3)
	v_add_co_u32 v3, vcc_lo, v3, v8
	v_add_co_ci_u32_e32 v4, vcc_lo, 0, v4, vcc_lo
	s_waitcnt lgkmcnt(0)
	v_cmp_gt_i32_e32 vcc_lo, v5, v12
	s_delay_alu instid0(VALU_DEP_3) | instskip(NEXT) | instid1(VALU_DEP_1)
	v_add_co_u32 v3, s0, v3, v9
	v_add_co_ci_u32_e64 v4, s0, 0, v4, s0
	v_cndmask_b32_e64 v7, 0, 1, vcc_lo
	s_delay_alu instid0(VALU_DEP_3) | instskip(NEXT) | instid1(VALU_DEP_3)
	v_add_co_u32 v3, vcc_lo, v3, v10
	v_add_co_ci_u32_e32 v4, vcc_lo, 0, v4, vcc_lo
	v_cmp_gt_i32_e32 vcc_lo, v5, v13
	s_delay_alu instid0(VALU_DEP_3) | instskip(NEXT) | instid1(VALU_DEP_1)
	v_add_co_u32 v3, s0, v3, v6
	v_add_co_ci_u32_e64 v4, s0, 0, v4, s0
	v_cndmask_b32_e64 v6, 0, 1, vcc_lo
	s_delay_alu instid0(VALU_DEP_3) | instskip(NEXT) | instid1(VALU_DEP_3)
	v_add_co_u32 v3, vcc_lo, v3, v7
	v_add_co_ci_u32_e32 v4, vcc_lo, 0, v4, vcc_lo
	s_delay_alu instid0(VALU_DEP_2) | instskip(NEXT) | instid1(VALU_DEP_2)
	v_add_co_u32 v3, vcc_lo, v3, v6
	v_add_co_ci_u32_e32 v4, vcc_lo, 0, v4, vcc_lo
	s_cbranch_scc0 .LBB203_91
; %bb.92:                               ;   in Loop: Header=BB203_89 Depth=1
	s_mov_b32 s0, s6
.LBB203_93:                             ;   in Loop: Header=BB203_89 Depth=1
	s_and_not1_b32 vcc_lo, exec_lo, s7
	s_cbranch_vccnz .LBB203_88
; %bb.94:                               ;   in Loop: Header=BB203_89 Depth=1
	s_lshl_b32 s0, s0, 2
	s_mov_b32 s9, s1
	s_add_i32 s0, s0, 0
.LBB203_95:                             ;   Parent Loop BB203_89 Depth=1
                                        ; =>  This Inner Loop Header: Depth=2
	s_delay_alu instid0(SALU_CYCLE_1)
	v_mov_b32_e32 v6, s0
	s_add_i32 s9, s9, -1
	s_add_i32 s0, s0, 4
	s_cmp_lg_u32 s9, 0
	ds_load_b32 v6, v6
	s_waitcnt lgkmcnt(0)
	v_cmp_gt_i32_e32 vcc_lo, v5, v6
	v_cndmask_b32_e64 v6, 0, 1, vcc_lo
	s_delay_alu instid0(VALU_DEP_1)
	v_add_co_u32 v3, vcc_lo, v3, v6
	v_add_co_ci_u32_e32 v4, vcc_lo, 0, v4, vcc_lo
	s_cbranch_scc1 .LBB203_95
	s_branch .LBB203_88
.LBB203_96:
	s_nop 0
	s_sendmsg sendmsg(MSG_DEALLOC_VGPRS)
	s_endpgm
	.section	.rodata,"a",@progbits
	.p2align	6, 0x0
	.amdhsa_kernel _ZN9rocsparseL26csrgemm_fill_block_per_rowILj512ELj32ELj1024ELj137ELj32ElidEEvT5_PKS1_S3_NS_24const_host_device_scalarIT6_EEPKT4_S3_PKS5_S9_S3_SB_S6_S9_S3_SB_S9_PS1_PS5_21rocsparse_index_base_SE_SE_SE_bbb
		.amdhsa_group_segment_fixed_size 0
		.amdhsa_private_segment_fixed_size 0
		.amdhsa_kernarg_size 156
		.amdhsa_user_sgpr_count 15
		.amdhsa_user_sgpr_dispatch_ptr 0
		.amdhsa_user_sgpr_queue_ptr 0
		.amdhsa_user_sgpr_kernarg_segment_ptr 1
		.amdhsa_user_sgpr_dispatch_id 0
		.amdhsa_user_sgpr_private_segment_size 0
		.amdhsa_wavefront_size32 1
		.amdhsa_uses_dynamic_stack 0
		.amdhsa_enable_private_segment 0
		.amdhsa_system_sgpr_workgroup_id_x 1
		.amdhsa_system_sgpr_workgroup_id_y 0
		.amdhsa_system_sgpr_workgroup_id_z 0
		.amdhsa_system_sgpr_workgroup_info 0
		.amdhsa_system_vgpr_workitem_id 0
		.amdhsa_next_free_vgpr 28
		.amdhsa_next_free_sgpr 44
		.amdhsa_reserve_vcc 1
		.amdhsa_float_round_mode_32 0
		.amdhsa_float_round_mode_16_64 0
		.amdhsa_float_denorm_mode_32 3
		.amdhsa_float_denorm_mode_16_64 3
		.amdhsa_dx10_clamp 1
		.amdhsa_ieee_mode 1
		.amdhsa_fp16_overflow 0
		.amdhsa_workgroup_processor_mode 1
		.amdhsa_memory_ordered 1
		.amdhsa_forward_progress 0
		.amdhsa_shared_vgpr_count 0
		.amdhsa_exception_fp_ieee_invalid_op 0
		.amdhsa_exception_fp_denorm_src 0
		.amdhsa_exception_fp_ieee_div_zero 0
		.amdhsa_exception_fp_ieee_overflow 0
		.amdhsa_exception_fp_ieee_underflow 0
		.amdhsa_exception_fp_ieee_inexact 0
		.amdhsa_exception_int_div_zero 0
	.end_amdhsa_kernel
	.section	.text._ZN9rocsparseL26csrgemm_fill_block_per_rowILj512ELj32ELj1024ELj137ELj32ElidEEvT5_PKS1_S3_NS_24const_host_device_scalarIT6_EEPKT4_S3_PKS5_S9_S3_SB_S6_S9_S3_SB_S9_PS1_PS5_21rocsparse_index_base_SE_SE_SE_bbb,"axG",@progbits,_ZN9rocsparseL26csrgemm_fill_block_per_rowILj512ELj32ELj1024ELj137ELj32ElidEEvT5_PKS1_S3_NS_24const_host_device_scalarIT6_EEPKT4_S3_PKS5_S9_S3_SB_S6_S9_S3_SB_S9_PS1_PS5_21rocsparse_index_base_SE_SE_SE_bbb,comdat
.Lfunc_end203:
	.size	_ZN9rocsparseL26csrgemm_fill_block_per_rowILj512ELj32ELj1024ELj137ELj32ElidEEvT5_PKS1_S3_NS_24const_host_device_scalarIT6_EEPKT4_S3_PKS5_S9_S3_SB_S6_S9_S3_SB_S9_PS1_PS5_21rocsparse_index_base_SE_SE_SE_bbb, .Lfunc_end203-_ZN9rocsparseL26csrgemm_fill_block_per_rowILj512ELj32ELj1024ELj137ELj32ElidEEvT5_PKS1_S3_NS_24const_host_device_scalarIT6_EEPKT4_S3_PKS5_S9_S3_SB_S6_S9_S3_SB_S9_PS1_PS5_21rocsparse_index_base_SE_SE_SE_bbb
                                        ; -- End function
	.section	.AMDGPU.csdata,"",@progbits
; Kernel info:
; codeLenInByte = 3768
; NumSgprs: 46
; NumVgprs: 28
; ScratchSize: 0
; MemoryBound: 0
; FloatMode: 240
; IeeeMode: 1
; LDSByteSize: 0 bytes/workgroup (compile time only)
; SGPRBlocks: 5
; VGPRBlocks: 3
; NumSGPRsForWavesPerEU: 46
; NumVGPRsForWavesPerEU: 28
; Occupancy: 16
; WaveLimiterHint : 1
; COMPUTE_PGM_RSRC2:SCRATCH_EN: 0
; COMPUTE_PGM_RSRC2:USER_SGPR: 15
; COMPUTE_PGM_RSRC2:TRAP_HANDLER: 0
; COMPUTE_PGM_RSRC2:TGID_X_EN: 1
; COMPUTE_PGM_RSRC2:TGID_Y_EN: 0
; COMPUTE_PGM_RSRC2:TGID_Z_EN: 0
; COMPUTE_PGM_RSRC2:TIDIG_COMP_CNT: 0
	.section	.text._ZN9rocsparseL26csrgemm_fill_block_per_rowILj512ELj32ELj1024ELj137ELj64ElidEEvT5_PKS1_S3_NS_24const_host_device_scalarIT6_EEPKT4_S3_PKS5_S9_S3_SB_S6_S9_S3_SB_S9_PS1_PS5_21rocsparse_index_base_SE_SE_SE_bbb,"axG",@progbits,_ZN9rocsparseL26csrgemm_fill_block_per_rowILj512ELj32ELj1024ELj137ELj64ElidEEvT5_PKS1_S3_NS_24const_host_device_scalarIT6_EEPKT4_S3_PKS5_S9_S3_SB_S6_S9_S3_SB_S9_PS1_PS5_21rocsparse_index_base_SE_SE_SE_bbb,comdat
	.globl	_ZN9rocsparseL26csrgemm_fill_block_per_rowILj512ELj32ELj1024ELj137ELj64ElidEEvT5_PKS1_S3_NS_24const_host_device_scalarIT6_EEPKT4_S3_PKS5_S9_S3_SB_S6_S9_S3_SB_S9_PS1_PS5_21rocsparse_index_base_SE_SE_SE_bbb ; -- Begin function _ZN9rocsparseL26csrgemm_fill_block_per_rowILj512ELj32ELj1024ELj137ELj64ElidEEvT5_PKS1_S3_NS_24const_host_device_scalarIT6_EEPKT4_S3_PKS5_S9_S3_SB_S6_S9_S3_SB_S9_PS1_PS5_21rocsparse_index_base_SE_SE_SE_bbb
	.p2align	8
	.type	_ZN9rocsparseL26csrgemm_fill_block_per_rowILj512ELj32ELj1024ELj137ELj64ElidEEvT5_PKS1_S3_NS_24const_host_device_scalarIT6_EEPKT4_S3_PKS5_S9_S3_SB_S6_S9_S3_SB_S9_PS1_PS5_21rocsparse_index_base_SE_SE_SE_bbb,@function
_ZN9rocsparseL26csrgemm_fill_block_per_rowILj512ELj32ELj1024ELj137ELj64ElidEEvT5_PKS1_S3_NS_24const_host_device_scalarIT6_EEPKT4_S3_PKS5_S9_S3_SB_S6_S9_S3_SB_S9_PS1_PS5_21rocsparse_index_base_SE_SE_SE_bbb: ; @_ZN9rocsparseL26csrgemm_fill_block_per_rowILj512ELj32ELj1024ELj137ELj64ElidEEvT5_PKS1_S3_NS_24const_host_device_scalarIT6_EEPKT4_S3_PKS5_S9_S3_SB_S6_S9_S3_SB_S9_PS1_PS5_21rocsparse_index_base_SE_SE_SE_bbb
; %bb.0:
	s_clause 0x3
	s_load_b32 s12, s[0:1], 0x98
	s_load_b64 s[4:5], s[0:1], 0x18
	s_load_b128 s[24:27], s[0:1], 0x88
	s_load_b64 s[2:3], s[0:1], 0x50
	s_waitcnt lgkmcnt(0)
	s_and_b32 s6, 1, s12
	s_bitcmp1_b32 s12, 16
	s_cselect_b32 s14, -1, 0
	s_cmp_eq_u32 s6, 1
	s_cselect_b32 s13, -1, 0
	s_delay_alu instid0(SALU_CYCLE_1)
	s_and_b32 s6, s13, exec_lo
	s_cselect_b32 s7, s5, 0
	s_cselect_b32 s6, s4, 0
	s_xor_b32 s8, s13, -1
	v_dual_mov_b32 v3, s6 :: v_dual_mov_b32 v4, s7
	s_or_b32 s8, s8, s14
	s_delay_alu instid0(SALU_CYCLE_1)
	s_and_b32 vcc_lo, exec_lo, s8
	s_cbranch_vccnz .LBB204_2
; %bb.1:
	v_dual_mov_b32 v1, s4 :: v_dual_mov_b32 v2, s5
	flat_load_b64 v[3:4], v[1:2]
.LBB204_2:
	s_clause 0x4
	s_load_b128 s[28:31], s[0:1], 0x78
	s_load_b256 s[4:11], s[0:1], 0x58
	s_load_b128 s[36:39], s[0:1], 0x40
	s_load_b128 s[40:43], s[0:1], 0x8
	s_load_b256 s[16:23], s[0:1], 0x20
	s_bitcmp1_b32 s12, 8
	s_cselect_b32 s33, -1, 0
	s_delay_alu instid0(SALU_CYCLE_1)
	s_and_b32 s12, s33, exec_lo
	s_cselect_b32 s35, s3, 0
	s_cselect_b32 s34, s2, 0
	s_xor_b32 s12, s33, -1
	v_dual_mov_b32 v1, s34 :: v_dual_mov_b32 v2, s35
	s_or_b32 s12, s12, s14
	s_delay_alu instid0(SALU_CYCLE_1)
	s_and_b32 vcc_lo, exec_lo, s12
	s_cbranch_vccnz .LBB204_4
; %bb.3:
	v_dual_mov_b32 v1, s2 :: v_dual_mov_b32 v2, s3
	flat_load_b64 v[1:2], v[1:2]
.LBB204_4:
	s_load_b32 s14, s[0:1], 0x0
	v_dual_mov_b32 v5, 0 :: v_dual_lshlrev_b32 v6, 3, v0
	v_lshl_add_u32 v17, v0, 2, 0
	v_or_b32_e32 v18, 0xfffffe00, v0
	s_mov_b32 s0, 0
	s_delay_alu instid0(VALU_DEP_3) | instskip(SKIP_1) | instid1(VALU_DEP_3)
	v_add3_u32 v19, v6, 0, 0x1000
	v_mov_b32_e32 v6, v5
	v_dual_mov_b32 v7, v17 :: v_dual_mov_b32 v8, v18
	s_waitcnt lgkmcnt(0)
	s_delay_alu instid0(VALU_DEP_3)
	v_dual_mov_b32 v10, v19 :: v_dual_mov_b32 v9, s14
.LBB204_5:                              ; =>This Inner Loop Header: Depth=1
	s_delay_alu instid0(VALU_DEP_2) | instskip(NEXT) | instid1(VALU_DEP_1)
	v_add_co_u32 v8, s1, 0x200, v8
	s_xor_b32 s1, s1, -1
	ds_store_b32 v7, v9
	ds_store_b64 v10, v[5:6]
	v_add_nc_u32_e32 v10, 0x1000, v10
	v_add_nc_u32_e32 v7, 0x800, v7
	s_and_b32 s1, exec_lo, s1
	s_delay_alu instid0(SALU_CYCLE_1) | instskip(NEXT) | instid1(SALU_CYCLE_1)
	s_or_b32 s0, s1, s0
	s_and_not1_b32 exec_lo, exec_lo, s0
	s_cbranch_execnz .LBB204_5
; %bb.6:
	s_or_b32 exec_lo, exec_lo, s0
	s_waitcnt vmcnt(0) lgkmcnt(0)
	s_barrier
	buffer_gl0_inv
	s_load_b32 s0, s[40:41], 0x0
	s_mov_b32 s1, 0
	s_waitcnt lgkmcnt(0)
	s_add_i32 s0, s0, s15
	s_delay_alu instid0(SALU_CYCLE_1) | instskip(NEXT) | instid1(SALU_CYCLE_1)
	s_lshl_b64 s[0:1], s[0:1], 2
	s_add_u32 s0, s42, s0
	s_addc_u32 s1, s43, s1
	s_and_b32 vcc_lo, exec_lo, s13
	s_load_b32 s12, s[0:1], 0x0
	s_cbranch_vccz .LBB204_30
; %bb.7:
	s_waitcnt lgkmcnt(0)
	s_ashr_i32 s13, s12, 31
	v_lshrrev_b32_e32 v5, 5, v0
	s_lshl_b64 s[0:1], s[12:13], 3
	s_delay_alu instid0(SALU_CYCLE_1) | instskip(SKIP_1) | instid1(VALU_DEP_1)
	s_add_u32 s0, s16, s0
	s_addc_u32 s1, s17, s1
	v_sub_co_u32 v5, s13, v5, s24
	s_load_b128 s[0:3], s[0:1], 0x0
	v_sub_co_ci_u32_e64 v6, null, 0, 0, s13
	s_waitcnt lgkmcnt(0)
	s_delay_alu instid0(VALU_DEP_2) | instskip(NEXT) | instid1(VALU_DEP_2)
	v_add_co_u32 v5, vcc_lo, s0, v5
	v_add_co_ci_u32_e32 v6, vcc_lo, s1, v6, vcc_lo
	s_sub_u32 s0, s2, s24
	s_subb_u32 s1, s3, 0
	s_mov_b32 s2, exec_lo
	s_delay_alu instid0(VALU_DEP_1)
	v_cmpx_gt_i64_e64 s[0:1], v[5:6]
	s_cbranch_execz .LBB204_29
; %bb.8:
	v_and_b32_e32 v7, 31, v0
	s_mov_b32 s13, s25
	s_delay_alu instid0(VALU_DEP_1) | instskip(NEXT) | instid1(VALU_DEP_1)
	v_sub_co_u32 v20, s3, v7, s25
	v_sub_co_ci_u32_e64 v21, null, 0, 0, s3
	s_mov_b32 s3, 0
	s_branch .LBB204_10
.LBB204_9:                              ;   in Loop: Header=BB204_10 Depth=1
	s_or_b32 exec_lo, exec_lo, s15
	v_add_co_u32 v5, vcc_lo, v5, 16
	v_add_co_ci_u32_e32 v6, vcc_lo, 0, v6, vcc_lo
	s_delay_alu instid0(VALU_DEP_1) | instskip(SKIP_1) | instid1(SALU_CYCLE_1)
	v_cmp_le_i64_e32 vcc_lo, s[0:1], v[5:6]
	s_or_b32 s3, vcc_lo, s3
	s_and_not1_b32 exec_lo, exec_lo, s3
	s_cbranch_execz .LBB204_29
.LBB204_10:                             ; =>This Loop Header: Depth=1
                                        ;     Child Loop BB204_13 Depth 2
                                        ;       Child Loop BB204_15 Depth 3
                                        ;         Child Loop BB204_21 Depth 4
                                        ;         Child Loop BB204_27 Depth 4
	v_lshlrev_b64 v[7:8], 2, v[5:6]
	s_mov_b32 s15, exec_lo
	s_delay_alu instid0(VALU_DEP_1) | instskip(NEXT) | instid1(VALU_DEP_2)
	v_add_co_u32 v7, vcc_lo, s18, v7
	v_add_co_ci_u32_e32 v8, vcc_lo, s19, v8, vcc_lo
	global_load_b32 v7, v[7:8], off
	s_waitcnt vmcnt(0)
	v_subrev_nc_u32_e32 v7, s24, v7
	s_delay_alu instid0(VALU_DEP_1) | instskip(NEXT) | instid1(VALU_DEP_1)
	v_ashrrev_i32_e32 v8, 31, v7
	v_lshlrev_b64 v[7:8], 3, v[7:8]
	s_delay_alu instid0(VALU_DEP_1) | instskip(NEXT) | instid1(VALU_DEP_2)
	v_add_co_u32 v7, vcc_lo, s22, v7
	v_add_co_ci_u32_e32 v8, vcc_lo, s23, v8, vcc_lo
	global_load_b128 v[9:12], v[7:8], off
	s_waitcnt vmcnt(0)
	v_sub_co_u32 v7, vcc_lo, v11, s13
	v_subrev_co_ci_u32_e32 v8, vcc_lo, 0, v12, vcc_lo
	v_add_co_u32 v9, vcc_lo, v9, v20
	v_add_co_ci_u32_e32 v10, vcc_lo, v10, v21, vcc_lo
	s_delay_alu instid0(VALU_DEP_1)
	v_cmpx_lt_i64_e64 v[9:10], v[7:8]
	s_cbranch_execz .LBB204_9
; %bb.11:                               ;   in Loop: Header=BB204_10 Depth=1
	v_lshlrev_b64 v[11:12], 3, v[5:6]
	s_mov_b32 s16, 0
	s_delay_alu instid0(VALU_DEP_1) | instskip(NEXT) | instid1(VALU_DEP_2)
	v_add_co_u32 v11, vcc_lo, s20, v11
	v_add_co_ci_u32_e32 v12, vcc_lo, s21, v12, vcc_lo
	global_load_b64 v[11:12], v[11:12], off
	s_waitcnt vmcnt(0)
	v_mul_f64 v[11:12], v[3:4], v[11:12]
	s_branch .LBB204_13
.LBB204_12:                             ;   in Loop: Header=BB204_13 Depth=2
	s_or_b32 exec_lo, exec_lo, s17
	v_add_co_u32 v9, vcc_lo, v9, 32
	v_add_co_ci_u32_e32 v10, vcc_lo, 0, v10, vcc_lo
	s_delay_alu instid0(VALU_DEP_1) | instskip(SKIP_1) | instid1(SALU_CYCLE_1)
	v_cmp_ge_i64_e32 vcc_lo, v[9:10], v[7:8]
	s_or_b32 s16, vcc_lo, s16
	s_and_not1_b32 exec_lo, exec_lo, s16
	s_cbranch_execz .LBB204_9
.LBB204_13:                             ;   Parent Loop BB204_10 Depth=1
                                        ; =>  This Loop Header: Depth=2
                                        ;       Child Loop BB204_15 Depth 3
                                        ;         Child Loop BB204_21 Depth 4
                                        ;         Child Loop BB204_27 Depth 4
	v_lshlrev_b64 v[13:14], 3, v[9:10]
	v_lshlrev_b64 v[15:16], 2, v[9:10]
	s_mov_b32 s17, 0
	s_delay_alu instid0(VALU_DEP_2) | instskip(NEXT) | instid1(VALU_DEP_3)
	v_add_co_u32 v13, vcc_lo, s38, v13
	v_add_co_ci_u32_e32 v14, vcc_lo, s39, v14, vcc_lo
	s_delay_alu instid0(VALU_DEP_3) | instskip(NEXT) | instid1(VALU_DEP_4)
	v_add_co_u32 v15, vcc_lo, s36, v15
	v_add_co_ci_u32_e32 v16, vcc_lo, s37, v16, vcc_lo
	global_load_b64 v[13:14], v[13:14], off
	global_load_b32 v15, v[15:16], off
	s_waitcnt vmcnt(1)
	v_mul_f64 v[13:14], v[11:12], v[13:14]
	s_waitcnt vmcnt(0)
	v_subrev_nc_u32_e32 v22, s25, v15
	s_delay_alu instid0(VALU_DEP_1) | instskip(NEXT) | instid1(VALU_DEP_1)
	v_mul_lo_u32 v15, 0x89, v22
	v_and_b32_e32 v23, 0x3ff, v15
	s_branch .LBB204_15
.LBB204_14:                             ;   in Loop: Header=BB204_15 Depth=3
	s_or_b32 exec_lo, exec_lo, s34
	s_xor_b32 s34, s35, -1
	s_delay_alu instid0(SALU_CYCLE_1) | instskip(NEXT) | instid1(SALU_CYCLE_1)
	s_and_b32 s34, exec_lo, s34
	s_or_b32 s17, s34, s17
	s_delay_alu instid0(SALU_CYCLE_1)
	s_and_not1_b32 exec_lo, exec_lo, s17
	s_cbranch_execz .LBB204_12
.LBB204_15:                             ;   Parent Loop BB204_10 Depth=1
                                        ;     Parent Loop BB204_13 Depth=2
                                        ; =>    This Loop Header: Depth=3
                                        ;         Child Loop BB204_21 Depth 4
                                        ;         Child Loop BB204_27 Depth 4
	s_delay_alu instid0(VALU_DEP_1)
	v_lshl_add_u32 v15, v23, 2, 0
	s_mov_b32 s34, exec_lo
                                        ; implicit-def: $sgpr35
	ds_load_b32 v16, v15
	s_waitcnt lgkmcnt(0)
	v_cmpx_ne_u32_e64 v16, v22
	s_xor_b32 s34, exec_lo, s34
	s_cbranch_execz .LBB204_25
; %bb.16:                               ;   in Loop: Header=BB204_15 Depth=3
	s_mov_b32 s40, exec_lo
                                        ; implicit-def: $sgpr35
	v_cmpx_ne_u32_e64 s14, v16
	s_xor_b32 s40, exec_lo, s40
; %bb.17:                               ;   in Loop: Header=BB204_15 Depth=3
	v_add_nc_u32_e32 v15, 1, v23
	s_mov_b32 s35, -1
	s_delay_alu instid0(VALU_DEP_1)
	v_and_b32_e32 v23, 0x3ff, v15
                                        ; implicit-def: $vgpr15
; %bb.18:                               ;   in Loop: Header=BB204_15 Depth=3
	s_and_not1_saveexec_b32 s40, s40
	s_cbranch_execz .LBB204_24
; %bb.19:                               ;   in Loop: Header=BB204_15 Depth=3
	v_mov_b32_e32 v16, s14
	s_mov_b32 s42, -1
	s_mov_b32 s41, exec_lo
	ds_cmpstore_rtn_b32 v16, v15, v22, v16
	s_waitcnt lgkmcnt(0)
	v_cmpx_eq_u32_e64 s14, v16
	s_cbranch_execz .LBB204_23
; %bb.20:                               ;   in Loop: Header=BB204_15 Depth=3
	v_lshlrev_b32_e32 v16, 2, v23
	s_mov_b32 s42, 0
	s_delay_alu instid0(VALU_DEP_1)
	v_add_nc_u32_e32 v24, v15, v16
	ds_load_b64 v[15:16], v24 offset:4096
.LBB204_21:                             ;   Parent Loop BB204_10 Depth=1
                                        ;     Parent Loop BB204_13 Depth=2
                                        ;       Parent Loop BB204_15 Depth=3
                                        ; =>      This Inner Loop Header: Depth=4
	s_waitcnt lgkmcnt(0)
	v_add_f64 v[25:26], v[15:16], v[13:14]
	ds_cmpstore_rtn_b64 v[25:26], v24, v[25:26], v[15:16] offset:4096
	s_waitcnt lgkmcnt(0)
	v_cmp_eq_u64_e32 vcc_lo, v[25:26], v[15:16]
	v_dual_mov_b32 v15, v25 :: v_dual_mov_b32 v16, v26
	s_or_b32 s42, vcc_lo, s42
	s_delay_alu instid0(SALU_CYCLE_1)
	s_and_not1_b32 exec_lo, exec_lo, s42
	s_cbranch_execnz .LBB204_21
; %bb.22:                               ;   in Loop: Header=BB204_15 Depth=3
	s_or_b32 exec_lo, exec_lo, s42
	s_delay_alu instid0(SALU_CYCLE_1)
	s_xor_b32 s42, exec_lo, -1
.LBB204_23:                             ;   in Loop: Header=BB204_15 Depth=3
	s_or_b32 exec_lo, exec_lo, s41
	s_delay_alu instid0(SALU_CYCLE_1) | instskip(SKIP_1) | instid1(SALU_CYCLE_1)
	s_and_not1_b32 s35, s35, exec_lo
	s_and_b32 s41, s42, exec_lo
	s_or_b32 s35, s35, s41
.LBB204_24:                             ;   in Loop: Header=BB204_15 Depth=3
	s_or_b32 exec_lo, exec_lo, s40
	s_delay_alu instid0(SALU_CYCLE_1)
	s_and_b32 s35, s35, exec_lo
                                        ; implicit-def: $vgpr15
.LBB204_25:                             ;   in Loop: Header=BB204_15 Depth=3
	s_and_not1_saveexec_b32 s34, s34
	s_cbranch_execz .LBB204_14
; %bb.26:                               ;   in Loop: Header=BB204_15 Depth=3
	v_lshlrev_b32_e32 v16, 2, v23
	s_mov_b32 s40, 0
	s_delay_alu instid0(VALU_DEP_1)
	v_add_nc_u32_e32 v24, v15, v16
	ds_load_b64 v[15:16], v24 offset:4096
.LBB204_27:                             ;   Parent Loop BB204_10 Depth=1
                                        ;     Parent Loop BB204_13 Depth=2
                                        ;       Parent Loop BB204_15 Depth=3
                                        ; =>      This Inner Loop Header: Depth=4
	s_waitcnt lgkmcnt(0)
	v_add_f64 v[25:26], v[15:16], v[13:14]
	ds_cmpstore_rtn_b64 v[25:26], v24, v[25:26], v[15:16] offset:4096
	s_waitcnt lgkmcnt(0)
	v_cmp_eq_u64_e32 vcc_lo, v[25:26], v[15:16]
	v_dual_mov_b32 v15, v25 :: v_dual_mov_b32 v16, v26
	s_or_b32 s40, vcc_lo, s40
	s_delay_alu instid0(SALU_CYCLE_1)
	s_and_not1_b32 exec_lo, exec_lo, s40
	s_cbranch_execnz .LBB204_27
; %bb.28:                               ;   in Loop: Header=BB204_15 Depth=3
	s_or_b32 exec_lo, exec_lo, s40
	s_delay_alu instid0(SALU_CYCLE_1)
	s_and_not1_b32 s35, s35, exec_lo
	s_branch .LBB204_14
.LBB204_29:
	s_or_b32 exec_lo, exec_lo, s2
.LBB204_30:
	s_delay_alu instid0(SALU_CYCLE_1)
	s_and_not1_b32 vcc_lo, exec_lo, s33
	s_cbranch_vccnz .LBB204_33
; %bb.31:
	s_waitcnt lgkmcnt(0)
	s_ashr_i32 s13, s12, 31
	s_delay_alu instid0(SALU_CYCLE_1) | instskip(NEXT) | instid1(SALU_CYCLE_1)
	s_lshl_b64 s[0:1], s[12:13], 3
	s_add_u32 s0, s4, s0
	s_addc_u32 s1, s5, s1
	v_sub_co_u32 v3, s4, v0, s27
	s_load_b128 s[0:3], s[0:1], 0x0
	v_sub_co_ci_u32_e64 v4, null, 0, 0, s4
	s_waitcnt lgkmcnt(0)
	s_delay_alu instid0(VALU_DEP_2) | instskip(NEXT) | instid1(VALU_DEP_2)
	v_add_co_u32 v3, vcc_lo, s0, v3
	v_add_co_ci_u32_e32 v4, vcc_lo, s1, v4, vcc_lo
	s_sub_u32 s0, s2, s27
	s_subb_u32 s1, s3, 0
	s_mov_b32 s3, 0
	s_mov_b32 s2, exec_lo
	v_cmpx_gt_i64_e64 s[0:1], v[3:4]
	s_cbranch_execnz .LBB204_54
.LBB204_32:
	s_or_b32 exec_lo, exec_lo, s2
.LBB204_33:
	v_mbcnt_lo_u32_b32 v1, -1, 0
	v_lshrrev_b32_e32 v2, 4, v0
	v_cmp_eq_u32_e32 vcc_lo, 0x1ff, v0
	v_cmp_lt_u32_e64 s0, 63, v0
	v_cmp_lt_u32_e64 s1, 0x7f, v0
	v_xor_b32_e32 v1, 63, v1
	v_dual_mov_b32 v6, 0 :: v_dual_and_b32 v3, 28, v2
	v_cmp_lt_u32_e64 s2, 0xbf, v0
	v_cmp_lt_u32_e64 s3, 0xff, v0
	s_delay_alu instid0(VALU_DEP_4) | instskip(NEXT) | instid1(VALU_DEP_4)
	v_lshrrev_b64 v[1:2], v1, -1
	v_dual_mov_b32 v5, 0 :: v_dual_add_nc_u32 v4, 0, v3
	v_cmp_lt_u32_e64 s4, 0x13f, v0
	v_cmp_lt_u32_e64 s5, 0x17f, v0
	;; [unrolled: 1-line block ×3, first 2 shown]
	s_mov_b32 s8, 0
	s_waitcnt lgkmcnt(0)
	s_barrier
	buffer_gl0_inv
	s_branch .LBB204_35
.LBB204_34:                             ;   in Loop: Header=BB204_35 Depth=1
	s_or_b32 exec_lo, exec_lo, s7
	s_waitcnt lgkmcnt(0)
	s_barrier
	buffer_gl0_inv
	ds_load_b32 v2, v5 offset:12316
	v_add_co_u32 v18, s7, 0x200, v18
	s_delay_alu instid0(VALU_DEP_1) | instskip(SKIP_3) | instid1(SALU_CYCLE_1)
	s_xor_b32 s7, s7, -1
	v_add_nc_u32_e32 v19, 0x1000, v19
	v_add_nc_u32_e32 v17, 0x800, v17
	s_and_b32 s7, exec_lo, s7
	s_or_b32 s8, s7, s8
	s_waitcnt lgkmcnt(0)
	v_add_nc_u32_e32 v6, v2, v6
	s_and_not1_b32 exec_lo, exec_lo, s8
	s_cbranch_execz .LBB204_70
.LBB204_35:                             ; =>This Inner Loop Header: Depth=1
	ds_load_b32 v7, v17
	ds_load_b64 v[2:3], v19
	s_waitcnt lgkmcnt(0)
	s_barrier
	buffer_gl0_inv
	v_cmp_gt_i32_e64 s7, s14, v7
	s_delay_alu instid0(VALU_DEP_1) | instskip(NEXT) | instid1(SALU_CYCLE_1)
	s_bcnt1_i32_b32 s9, s7
	v_dual_mov_b32 v9, s9 :: v_dual_and_b32 v8, s7, v1
	s_delay_alu instid0(VALU_DEP_1)
	v_bcnt_u32_b32 v8, v8, 0
	ds_store_b32 v4, v9 offset:12288
	s_waitcnt lgkmcnt(0)
	s_barrier
	buffer_gl0_inv
	s_and_saveexec_b32 s9, s0
	s_cbranch_execnz .LBB204_44
; %bb.36:                               ;   in Loop: Header=BB204_35 Depth=1
	s_or_b32 exec_lo, exec_lo, s9
	s_and_saveexec_b32 s9, s1
	s_cbranch_execnz .LBB204_45
.LBB204_37:                             ;   in Loop: Header=BB204_35 Depth=1
	s_or_b32 exec_lo, exec_lo, s9
	s_and_saveexec_b32 s9, s2
	s_cbranch_execnz .LBB204_46
.LBB204_38:                             ;   in Loop: Header=BB204_35 Depth=1
	s_or_b32 exec_lo, exec_lo, s9
	s_and_saveexec_b32 s9, s3
	s_cbranch_execnz .LBB204_47
.LBB204_39:                             ;   in Loop: Header=BB204_35 Depth=1
	s_or_b32 exec_lo, exec_lo, s9
	s_and_saveexec_b32 s9, s4
	s_cbranch_execnz .LBB204_48
.LBB204_40:                             ;   in Loop: Header=BB204_35 Depth=1
	s_or_b32 exec_lo, exec_lo, s9
	s_and_saveexec_b32 s9, s5
	s_cbranch_execnz .LBB204_49
.LBB204_41:                             ;   in Loop: Header=BB204_35 Depth=1
	s_or_b32 exec_lo, exec_lo, s9
	s_and_saveexec_b32 s9, s6
	s_cbranch_execnz .LBB204_50
.LBB204_42:                             ;   in Loop: Header=BB204_35 Depth=1
	s_or_b32 exec_lo, exec_lo, s9
	s_and_saveexec_b32 s9, s7
	s_cbranch_execnz .LBB204_51
.LBB204_43:                             ;   in Loop: Header=BB204_35 Depth=1
	s_or_b32 exec_lo, exec_lo, s9
	s_and_saveexec_b32 s7, vcc_lo
	s_cbranch_execz .LBB204_34
	s_branch .LBB204_52
.LBB204_44:                             ;   in Loop: Header=BB204_35 Depth=1
	ds_load_b32 v9, v5 offset:12288
	s_waitcnt lgkmcnt(0)
	v_add_nc_u32_e32 v8, v9, v8
	s_or_b32 exec_lo, exec_lo, s9
	s_and_saveexec_b32 s9, s1
	s_cbranch_execz .LBB204_37
.LBB204_45:                             ;   in Loop: Header=BB204_35 Depth=1
	ds_load_b32 v9, v5 offset:12292
	s_waitcnt lgkmcnt(0)
	v_add_nc_u32_e32 v8, v9, v8
	s_or_b32 exec_lo, exec_lo, s9
	s_and_saveexec_b32 s9, s2
	s_cbranch_execz .LBB204_38
.LBB204_46:                             ;   in Loop: Header=BB204_35 Depth=1
	ds_load_b32 v9, v5 offset:12296
	s_waitcnt lgkmcnt(0)
	v_add_nc_u32_e32 v8, v9, v8
	s_or_b32 exec_lo, exec_lo, s9
	s_and_saveexec_b32 s9, s3
	s_cbranch_execz .LBB204_39
.LBB204_47:                             ;   in Loop: Header=BB204_35 Depth=1
	ds_load_b32 v9, v5 offset:12300
	s_waitcnt lgkmcnt(0)
	v_add_nc_u32_e32 v8, v9, v8
	s_or_b32 exec_lo, exec_lo, s9
	s_and_saveexec_b32 s9, s4
	s_cbranch_execz .LBB204_40
.LBB204_48:                             ;   in Loop: Header=BB204_35 Depth=1
	ds_load_b32 v9, v5 offset:12304
	s_waitcnt lgkmcnt(0)
	v_add_nc_u32_e32 v8, v9, v8
	s_or_b32 exec_lo, exec_lo, s9
	s_and_saveexec_b32 s9, s5
	s_cbranch_execz .LBB204_41
.LBB204_49:                             ;   in Loop: Header=BB204_35 Depth=1
	ds_load_b32 v9, v5 offset:12308
	s_waitcnt lgkmcnt(0)
	v_add_nc_u32_e32 v8, v9, v8
	s_or_b32 exec_lo, exec_lo, s9
	s_and_saveexec_b32 s9, s6
	s_cbranch_execz .LBB204_42
.LBB204_50:                             ;   in Loop: Header=BB204_35 Depth=1
	ds_load_b32 v9, v5 offset:12312
	s_waitcnt lgkmcnt(0)
	v_add_nc_u32_e32 v8, v9, v8
	s_or_b32 exec_lo, exec_lo, s9
	s_and_saveexec_b32 s9, s7
	s_cbranch_execz .LBB204_43
.LBB204_51:                             ;   in Loop: Header=BB204_35 Depth=1
	s_delay_alu instid0(VALU_DEP_1) | instskip(NEXT) | instid1(VALU_DEP_1)
	v_add3_u32 v9, v6, -1, v8
	v_lshl_add_u32 v10, v9, 2, 0
	v_lshl_add_u32 v9, v9, 3, 0
	ds_store_b32 v10, v7
	ds_store_b64 v9, v[2:3] offset:4096
	s_or_b32 exec_lo, exec_lo, s9
	s_and_saveexec_b32 s7, vcc_lo
	s_cbranch_execz .LBB204_34
.LBB204_52:                             ;   in Loop: Header=BB204_35 Depth=1
	ds_store_b32 v5, v8 offset:12316
	s_branch .LBB204_34
.LBB204_53:                             ;   in Loop: Header=BB204_54 Depth=1
	s_or_b32 exec_lo, exec_lo, s4
	v_add_co_u32 v3, vcc_lo, 0x200, v3
	v_add_co_ci_u32_e32 v4, vcc_lo, 0, v4, vcc_lo
	s_delay_alu instid0(VALU_DEP_1) | instskip(SKIP_1) | instid1(SALU_CYCLE_1)
	v_cmp_le_i64_e32 vcc_lo, s[0:1], v[3:4]
	s_or_b32 s3, vcc_lo, s3
	s_and_not1_b32 exec_lo, exec_lo, s3
	s_cbranch_execz .LBB204_32
.LBB204_54:                             ; =>This Loop Header: Depth=1
                                        ;     Child Loop BB204_56 Depth 2
                                        ;       Child Loop BB204_62 Depth 3
                                        ;       Child Loop BB204_68 Depth 3
	v_lshlrev_b64 v[5:6], 3, v[3:4]
	v_lshlrev_b64 v[7:8], 2, v[3:4]
	s_mov_b32 s4, 0
	s_delay_alu instid0(VALU_DEP_2) | instskip(NEXT) | instid1(VALU_DEP_3)
	v_add_co_u32 v5, vcc_lo, s8, v5
	v_add_co_ci_u32_e32 v6, vcc_lo, s9, v6, vcc_lo
	s_delay_alu instid0(VALU_DEP_3) | instskip(NEXT) | instid1(VALU_DEP_4)
	v_add_co_u32 v7, vcc_lo, s6, v7
	v_add_co_ci_u32_e32 v8, vcc_lo, s7, v8, vcc_lo
	global_load_b64 v[5:6], v[5:6], off
	global_load_b32 v7, v[7:8], off
	s_waitcnt vmcnt(1)
	v_mul_f64 v[5:6], v[1:2], v[5:6]
	s_waitcnt vmcnt(0)
	v_subrev_nc_u32_e32 v9, s27, v7
	s_delay_alu instid0(VALU_DEP_1) | instskip(NEXT) | instid1(VALU_DEP_1)
	v_mul_lo_u32 v7, 0x89, v9
	v_and_b32_e32 v10, 0x3ff, v7
	s_branch .LBB204_56
.LBB204_55:                             ;   in Loop: Header=BB204_56 Depth=2
	s_or_b32 exec_lo, exec_lo, s5
	s_xor_b32 s5, s13, -1
	s_delay_alu instid0(SALU_CYCLE_1) | instskip(NEXT) | instid1(SALU_CYCLE_1)
	s_and_b32 s5, exec_lo, s5
	s_or_b32 s4, s5, s4
	s_delay_alu instid0(SALU_CYCLE_1)
	s_and_not1_b32 exec_lo, exec_lo, s4
	s_cbranch_execz .LBB204_53
.LBB204_56:                             ;   Parent Loop BB204_54 Depth=1
                                        ; =>  This Loop Header: Depth=2
                                        ;       Child Loop BB204_62 Depth 3
                                        ;       Child Loop BB204_68 Depth 3
	s_delay_alu instid0(VALU_DEP_1)
	v_lshl_add_u32 v7, v10, 2, 0
	s_mov_b32 s5, exec_lo
                                        ; implicit-def: $sgpr13
	ds_load_b32 v8, v7
	s_waitcnt lgkmcnt(0)
	v_cmpx_ne_u32_e64 v8, v9
	s_xor_b32 s5, exec_lo, s5
	s_cbranch_execz .LBB204_66
; %bb.57:                               ;   in Loop: Header=BB204_56 Depth=2
	s_mov_b32 s15, exec_lo
                                        ; implicit-def: $sgpr13
	v_cmpx_ne_u32_e64 s14, v8
	s_xor_b32 s15, exec_lo, s15
; %bb.58:                               ;   in Loop: Header=BB204_56 Depth=2
	v_add_nc_u32_e32 v7, 1, v10
	s_mov_b32 s13, -1
	s_delay_alu instid0(VALU_DEP_1)
	v_and_b32_e32 v10, 0x3ff, v7
                                        ; implicit-def: $vgpr7
; %bb.59:                               ;   in Loop: Header=BB204_56 Depth=2
	s_and_not1_saveexec_b32 s15, s15
	s_cbranch_execz .LBB204_65
; %bb.60:                               ;   in Loop: Header=BB204_56 Depth=2
	v_mov_b32_e32 v8, s14
	s_mov_b32 s17, -1
	s_mov_b32 s16, exec_lo
	ds_cmpstore_rtn_b32 v8, v7, v9, v8
	s_waitcnt lgkmcnt(0)
	v_cmpx_eq_u32_e64 s14, v8
	s_cbranch_execz .LBB204_64
; %bb.61:                               ;   in Loop: Header=BB204_56 Depth=2
	v_lshlrev_b32_e32 v8, 2, v10
	s_mov_b32 s17, 0
	s_delay_alu instid0(VALU_DEP_1)
	v_add_nc_u32_e32 v11, v7, v8
	ds_load_b64 v[7:8], v11 offset:4096
.LBB204_62:                             ;   Parent Loop BB204_54 Depth=1
                                        ;     Parent Loop BB204_56 Depth=2
                                        ; =>    This Inner Loop Header: Depth=3
	s_waitcnt lgkmcnt(0)
	v_add_f64 v[12:13], v[7:8], v[5:6]
	ds_cmpstore_rtn_b64 v[12:13], v11, v[12:13], v[7:8] offset:4096
	s_waitcnt lgkmcnt(0)
	v_cmp_eq_u64_e32 vcc_lo, v[12:13], v[7:8]
	v_dual_mov_b32 v7, v12 :: v_dual_mov_b32 v8, v13
	s_or_b32 s17, vcc_lo, s17
	s_delay_alu instid0(SALU_CYCLE_1)
	s_and_not1_b32 exec_lo, exec_lo, s17
	s_cbranch_execnz .LBB204_62
; %bb.63:                               ;   in Loop: Header=BB204_56 Depth=2
	s_or_b32 exec_lo, exec_lo, s17
	s_delay_alu instid0(SALU_CYCLE_1)
	s_xor_b32 s17, exec_lo, -1
.LBB204_64:                             ;   in Loop: Header=BB204_56 Depth=2
	s_or_b32 exec_lo, exec_lo, s16
	s_delay_alu instid0(SALU_CYCLE_1) | instskip(SKIP_1) | instid1(SALU_CYCLE_1)
	s_and_not1_b32 s13, s13, exec_lo
	s_and_b32 s16, s17, exec_lo
	s_or_b32 s13, s13, s16
.LBB204_65:                             ;   in Loop: Header=BB204_56 Depth=2
	s_or_b32 exec_lo, exec_lo, s15
	s_delay_alu instid0(SALU_CYCLE_1)
	s_and_b32 s13, s13, exec_lo
                                        ; implicit-def: $vgpr7
.LBB204_66:                             ;   in Loop: Header=BB204_56 Depth=2
	s_and_not1_saveexec_b32 s5, s5
	s_cbranch_execz .LBB204_55
; %bb.67:                               ;   in Loop: Header=BB204_56 Depth=2
	v_lshlrev_b32_e32 v8, 2, v10
	s_mov_b32 s15, 0
	s_delay_alu instid0(VALU_DEP_1)
	v_add_nc_u32_e32 v11, v7, v8
	ds_load_b64 v[7:8], v11 offset:4096
.LBB204_68:                             ;   Parent Loop BB204_54 Depth=1
                                        ;     Parent Loop BB204_56 Depth=2
                                        ; =>    This Inner Loop Header: Depth=3
	s_waitcnt lgkmcnt(0)
	v_add_f64 v[12:13], v[7:8], v[5:6]
	ds_cmpstore_rtn_b64 v[12:13], v11, v[12:13], v[7:8] offset:4096
	s_waitcnt lgkmcnt(0)
	v_cmp_eq_u64_e32 vcc_lo, v[12:13], v[7:8]
	v_dual_mov_b32 v7, v12 :: v_dual_mov_b32 v8, v13
	s_or_b32 s15, vcc_lo, s15
	s_delay_alu instid0(SALU_CYCLE_1)
	s_and_not1_b32 exec_lo, exec_lo, s15
	s_cbranch_execnz .LBB204_68
; %bb.69:                               ;   in Loop: Header=BB204_56 Depth=2
	s_or_b32 exec_lo, exec_lo, s15
	s_delay_alu instid0(SALU_CYCLE_1)
	s_and_not1_b32 s13, s13, exec_lo
	s_branch .LBB204_55
.LBB204_70:
	s_or_b32 exec_lo, exec_lo, s8
	s_ashr_i32 s13, s12, 31
	s_mov_b32 s4, exec_lo
	s_lshl_b64 s[0:1], s[12:13], 3
	s_delay_alu instid0(SALU_CYCLE_1) | instskip(SKIP_4) | instid1(SALU_CYCLE_1)
	s_add_u32 s0, s10, s0
	s_addc_u32 s1, s11, s1
	s_load_b128 s[0:3], s[0:1], 0x0
	s_waitcnt lgkmcnt(0)
	s_sub_i32 s3, s2, s0
	v_cmpx_gt_i32_e64 s3, v0
	s_cbranch_execz .LBB204_80
; %bb.71:
	s_sub_u32 s4, s0, s26
	s_subb_u32 s5, s1, 0
	s_sub_i32 s0, s0, s2
	s_and_b32 s1, s3, 7
	s_cmp_lt_u32 s0, -7
	s_mov_b32 s8, 0
	s_cselect_b32 s2, -1, 0
	s_and_b32 s6, s3, -8
	s_cmp_lg_u32 s1, 0
	s_cselect_b32 s7, -1, 0
	s_branch .LBB204_73
.LBB204_72:                             ;   in Loop: Header=BB204_73 Depth=1
	s_delay_alu instid0(VALU_DEP_1) | instskip(SKIP_4) | instid1(VALU_DEP_4)
	v_lshlrev_b64 v[6:7], 2, v[3:4]
	v_lshlrev_b64 v[3:4], 3, v[3:4]
	v_add_nc_u32_e32 v0, 0x200, v0
	s_waitcnt lgkmcnt(1)
	v_add_nc_u32_e32 v8, s26, v5
	v_add_co_u32 v5, vcc_lo, s28, v6
	v_add_co_ci_u32_e32 v6, vcc_lo, s29, v7, vcc_lo
	v_cmp_le_i32_e32 vcc_lo, s3, v0
	v_add_co_u32 v3, s0, s30, v3
	s_delay_alu instid0(VALU_DEP_1)
	v_add_co_ci_u32_e64 v4, s0, s31, v4, s0
	s_or_b32 s8, vcc_lo, s8
	global_store_b32 v[5:6], v8, off
	s_waitcnt lgkmcnt(0)
	global_store_b64 v[3:4], v[1:2], off
	s_and_not1_b32 exec_lo, exec_lo, s8
	s_cbranch_execz .LBB204_80
.LBB204_73:                             ; =>This Loop Header: Depth=1
                                        ;     Child Loop BB204_75 Depth 2
                                        ;     Child Loop BB204_79 Depth 2
	v_lshlrev_b32_e32 v1, 2, v0
	v_dual_mov_b32 v3, s4 :: v_dual_mov_b32 v4, s5
	s_and_not1_b32 vcc_lo, exec_lo, s2
	s_mov_b32 s0, 0
	s_delay_alu instid0(VALU_DEP_2) | instskip(NEXT) | instid1(VALU_DEP_1)
	v_add_nc_u32_e32 v2, 0, v1
	v_add_nc_u32_e32 v1, v2, v1
	ds_load_b32 v5, v2
	ds_load_b64 v[1:2], v1 offset:4096
	s_cbranch_vccnz .LBB204_77
; %bb.74:                               ;   in Loop: Header=BB204_73 Depth=1
	v_dual_mov_b32 v3, s4 :: v_dual_mov_b32 v4, s5
	s_mov_b32 s9, 0
	s_mov_b32 s10, 0
.LBB204_75:                             ;   Parent Loop BB204_73 Depth=1
                                        ; =>  This Inner Loop Header: Depth=2
	s_delay_alu instid0(SALU_CYCLE_1)
	v_mov_b32_e32 v12, s10
	s_add_i32 s9, s9, 8
	s_add_i32 s10, s10, 32
	s_cmp_eq_u32 s6, s9
	ds_load_2addr_b32 v[6:7], v12 offset1:1
	ds_load_2addr_b32 v[8:9], v12 offset0:2 offset1:3
	ds_load_2addr_b32 v[10:11], v12 offset0:4 offset1:5
	;; [unrolled: 1-line block ×3, first 2 shown]
	s_waitcnt lgkmcnt(3)
	v_cmp_gt_i32_e32 vcc_lo, v5, v6
	v_cndmask_b32_e64 v6, 0, 1, vcc_lo
	v_cmp_gt_i32_e32 vcc_lo, v5, v7
	v_cndmask_b32_e64 v7, 0, 1, vcc_lo
	s_waitcnt lgkmcnt(2)
	v_cmp_gt_i32_e32 vcc_lo, v5, v8
	v_cndmask_b32_e64 v8, 0, 1, vcc_lo
	v_cmp_gt_i32_e32 vcc_lo, v5, v9
	v_cndmask_b32_e64 v9, 0, 1, vcc_lo
	s_waitcnt lgkmcnt(1)
	v_cmp_gt_i32_e32 vcc_lo, v5, v10
	v_cndmask_b32_e64 v10, 0, 1, vcc_lo
	v_add_co_u32 v3, vcc_lo, v3, v6
	v_add_co_ci_u32_e32 v4, vcc_lo, 0, v4, vcc_lo
	v_cmp_gt_i32_e32 vcc_lo, v5, v11
	s_delay_alu instid0(VALU_DEP_3) | instskip(NEXT) | instid1(VALU_DEP_1)
	v_add_co_u32 v3, s0, v3, v7
	v_add_co_ci_u32_e64 v4, s0, 0, v4, s0
	v_cndmask_b32_e64 v6, 0, 1, vcc_lo
	s_delay_alu instid0(VALU_DEP_3) | instskip(NEXT) | instid1(VALU_DEP_3)
	v_add_co_u32 v3, vcc_lo, v3, v8
	v_add_co_ci_u32_e32 v4, vcc_lo, 0, v4, vcc_lo
	s_waitcnt lgkmcnt(0)
	v_cmp_gt_i32_e32 vcc_lo, v5, v12
	s_delay_alu instid0(VALU_DEP_3) | instskip(NEXT) | instid1(VALU_DEP_1)
	v_add_co_u32 v3, s0, v3, v9
	v_add_co_ci_u32_e64 v4, s0, 0, v4, s0
	v_cndmask_b32_e64 v7, 0, 1, vcc_lo
	s_delay_alu instid0(VALU_DEP_3) | instskip(NEXT) | instid1(VALU_DEP_3)
	v_add_co_u32 v3, vcc_lo, v3, v10
	v_add_co_ci_u32_e32 v4, vcc_lo, 0, v4, vcc_lo
	v_cmp_gt_i32_e32 vcc_lo, v5, v13
	s_delay_alu instid0(VALU_DEP_3) | instskip(NEXT) | instid1(VALU_DEP_1)
	v_add_co_u32 v3, s0, v3, v6
	v_add_co_ci_u32_e64 v4, s0, 0, v4, s0
	v_cndmask_b32_e64 v6, 0, 1, vcc_lo
	s_delay_alu instid0(VALU_DEP_3) | instskip(NEXT) | instid1(VALU_DEP_3)
	v_add_co_u32 v3, vcc_lo, v3, v7
	v_add_co_ci_u32_e32 v4, vcc_lo, 0, v4, vcc_lo
	s_delay_alu instid0(VALU_DEP_2) | instskip(NEXT) | instid1(VALU_DEP_2)
	v_add_co_u32 v3, vcc_lo, v3, v6
	v_add_co_ci_u32_e32 v4, vcc_lo, 0, v4, vcc_lo
	s_cbranch_scc0 .LBB204_75
; %bb.76:                               ;   in Loop: Header=BB204_73 Depth=1
	s_mov_b32 s0, s6
.LBB204_77:                             ;   in Loop: Header=BB204_73 Depth=1
	s_and_not1_b32 vcc_lo, exec_lo, s7
	s_cbranch_vccnz .LBB204_72
; %bb.78:                               ;   in Loop: Header=BB204_73 Depth=1
	s_lshl_b32 s0, s0, 2
	s_mov_b32 s9, s1
	s_add_i32 s0, s0, 0
.LBB204_79:                             ;   Parent Loop BB204_73 Depth=1
                                        ; =>  This Inner Loop Header: Depth=2
	s_delay_alu instid0(SALU_CYCLE_1)
	v_mov_b32_e32 v6, s0
	s_add_i32 s9, s9, -1
	s_add_i32 s0, s0, 4
	s_cmp_lg_u32 s9, 0
	ds_load_b32 v6, v6
	s_waitcnt lgkmcnt(0)
	v_cmp_gt_i32_e32 vcc_lo, v5, v6
	v_cndmask_b32_e64 v6, 0, 1, vcc_lo
	s_delay_alu instid0(VALU_DEP_1)
	v_add_co_u32 v3, vcc_lo, v3, v6
	v_add_co_ci_u32_e32 v4, vcc_lo, 0, v4, vcc_lo
	s_cbranch_scc1 .LBB204_79
	s_branch .LBB204_72
.LBB204_80:
	s_nop 0
	s_sendmsg sendmsg(MSG_DEALLOC_VGPRS)
	s_endpgm
	.section	.rodata,"a",@progbits
	.p2align	6, 0x0
	.amdhsa_kernel _ZN9rocsparseL26csrgemm_fill_block_per_rowILj512ELj32ELj1024ELj137ELj64ElidEEvT5_PKS1_S3_NS_24const_host_device_scalarIT6_EEPKT4_S3_PKS5_S9_S3_SB_S6_S9_S3_SB_S9_PS1_PS5_21rocsparse_index_base_SE_SE_SE_bbb
		.amdhsa_group_segment_fixed_size 0
		.amdhsa_private_segment_fixed_size 0
		.amdhsa_kernarg_size 156
		.amdhsa_user_sgpr_count 15
		.amdhsa_user_sgpr_dispatch_ptr 0
		.amdhsa_user_sgpr_queue_ptr 0
		.amdhsa_user_sgpr_kernarg_segment_ptr 1
		.amdhsa_user_sgpr_dispatch_id 0
		.amdhsa_user_sgpr_private_segment_size 0
		.amdhsa_wavefront_size32 1
		.amdhsa_uses_dynamic_stack 0
		.amdhsa_enable_private_segment 0
		.amdhsa_system_sgpr_workgroup_id_x 1
		.amdhsa_system_sgpr_workgroup_id_y 0
		.amdhsa_system_sgpr_workgroup_id_z 0
		.amdhsa_system_sgpr_workgroup_info 0
		.amdhsa_system_vgpr_workitem_id 0
		.amdhsa_next_free_vgpr 27
		.amdhsa_next_free_sgpr 44
		.amdhsa_reserve_vcc 1
		.amdhsa_float_round_mode_32 0
		.amdhsa_float_round_mode_16_64 0
		.amdhsa_float_denorm_mode_32 3
		.amdhsa_float_denorm_mode_16_64 3
		.amdhsa_dx10_clamp 1
		.amdhsa_ieee_mode 1
		.amdhsa_fp16_overflow 0
		.amdhsa_workgroup_processor_mode 1
		.amdhsa_memory_ordered 1
		.amdhsa_forward_progress 0
		.amdhsa_shared_vgpr_count 0
		.amdhsa_exception_fp_ieee_invalid_op 0
		.amdhsa_exception_fp_denorm_src 0
		.amdhsa_exception_fp_ieee_div_zero 0
		.amdhsa_exception_fp_ieee_overflow 0
		.amdhsa_exception_fp_ieee_underflow 0
		.amdhsa_exception_fp_ieee_inexact 0
		.amdhsa_exception_int_div_zero 0
	.end_amdhsa_kernel
	.section	.text._ZN9rocsparseL26csrgemm_fill_block_per_rowILj512ELj32ELj1024ELj137ELj64ElidEEvT5_PKS1_S3_NS_24const_host_device_scalarIT6_EEPKT4_S3_PKS5_S9_S3_SB_S6_S9_S3_SB_S9_PS1_PS5_21rocsparse_index_base_SE_SE_SE_bbb,"axG",@progbits,_ZN9rocsparseL26csrgemm_fill_block_per_rowILj512ELj32ELj1024ELj137ELj64ElidEEvT5_PKS1_S3_NS_24const_host_device_scalarIT6_EEPKT4_S3_PKS5_S9_S3_SB_S6_S9_S3_SB_S9_PS1_PS5_21rocsparse_index_base_SE_SE_SE_bbb,comdat
.Lfunc_end204:
	.size	_ZN9rocsparseL26csrgemm_fill_block_per_rowILj512ELj32ELj1024ELj137ELj64ElidEEvT5_PKS1_S3_NS_24const_host_device_scalarIT6_EEPKT4_S3_PKS5_S9_S3_SB_S6_S9_S3_SB_S9_PS1_PS5_21rocsparse_index_base_SE_SE_SE_bbb, .Lfunc_end204-_ZN9rocsparseL26csrgemm_fill_block_per_rowILj512ELj32ELj1024ELj137ELj64ElidEEvT5_PKS1_S3_NS_24const_host_device_scalarIT6_EEPKT4_S3_PKS5_S9_S3_SB_S6_S9_S3_SB_S9_PS1_PS5_21rocsparse_index_base_SE_SE_SE_bbb
                                        ; -- End function
	.section	.AMDGPU.csdata,"",@progbits
; Kernel info:
; codeLenInByte = 3372
; NumSgprs: 46
; NumVgprs: 27
; ScratchSize: 0
; MemoryBound: 0
; FloatMode: 240
; IeeeMode: 1
; LDSByteSize: 0 bytes/workgroup (compile time only)
; SGPRBlocks: 5
; VGPRBlocks: 3
; NumSGPRsForWavesPerEU: 46
; NumVGPRsForWavesPerEU: 27
; Occupancy: 16
; WaveLimiterHint : 1
; COMPUTE_PGM_RSRC2:SCRATCH_EN: 0
; COMPUTE_PGM_RSRC2:USER_SGPR: 15
; COMPUTE_PGM_RSRC2:TRAP_HANDLER: 0
; COMPUTE_PGM_RSRC2:TGID_X_EN: 1
; COMPUTE_PGM_RSRC2:TGID_Y_EN: 0
; COMPUTE_PGM_RSRC2:TGID_Z_EN: 0
; COMPUTE_PGM_RSRC2:TIDIG_COMP_CNT: 0
	.section	.text._ZN9rocsparseL26csrgemm_fill_block_per_rowILj1024ELj32ELj2048ELj137ELj32ElidEEvT5_PKS1_S3_NS_24const_host_device_scalarIT6_EEPKT4_S3_PKS5_S9_S3_SB_S6_S9_S3_SB_S9_PS1_PS5_21rocsparse_index_base_SE_SE_SE_bbb,"axG",@progbits,_ZN9rocsparseL26csrgemm_fill_block_per_rowILj1024ELj32ELj2048ELj137ELj32ElidEEvT5_PKS1_S3_NS_24const_host_device_scalarIT6_EEPKT4_S3_PKS5_S9_S3_SB_S6_S9_S3_SB_S9_PS1_PS5_21rocsparse_index_base_SE_SE_SE_bbb,comdat
	.globl	_ZN9rocsparseL26csrgemm_fill_block_per_rowILj1024ELj32ELj2048ELj137ELj32ElidEEvT5_PKS1_S3_NS_24const_host_device_scalarIT6_EEPKT4_S3_PKS5_S9_S3_SB_S6_S9_S3_SB_S9_PS1_PS5_21rocsparse_index_base_SE_SE_SE_bbb ; -- Begin function _ZN9rocsparseL26csrgemm_fill_block_per_rowILj1024ELj32ELj2048ELj137ELj32ElidEEvT5_PKS1_S3_NS_24const_host_device_scalarIT6_EEPKT4_S3_PKS5_S9_S3_SB_S6_S9_S3_SB_S9_PS1_PS5_21rocsparse_index_base_SE_SE_SE_bbb
	.p2align	8
	.type	_ZN9rocsparseL26csrgemm_fill_block_per_rowILj1024ELj32ELj2048ELj137ELj32ElidEEvT5_PKS1_S3_NS_24const_host_device_scalarIT6_EEPKT4_S3_PKS5_S9_S3_SB_S6_S9_S3_SB_S9_PS1_PS5_21rocsparse_index_base_SE_SE_SE_bbb,@function
_ZN9rocsparseL26csrgemm_fill_block_per_rowILj1024ELj32ELj2048ELj137ELj32ElidEEvT5_PKS1_S3_NS_24const_host_device_scalarIT6_EEPKT4_S3_PKS5_S9_S3_SB_S6_S9_S3_SB_S9_PS1_PS5_21rocsparse_index_base_SE_SE_SE_bbb: ; @_ZN9rocsparseL26csrgemm_fill_block_per_rowILj1024ELj32ELj2048ELj137ELj32ElidEEvT5_PKS1_S3_NS_24const_host_device_scalarIT6_EEPKT4_S3_PKS5_S9_S3_SB_S6_S9_S3_SB_S9_PS1_PS5_21rocsparse_index_base_SE_SE_SE_bbb
; %bb.0:
	s_clause 0x3
	s_load_b32 s12, s[0:1], 0x98
	s_load_b64 s[4:5], s[0:1], 0x18
	s_load_b128 s[44:47], s[0:1], 0x88
	s_load_b64 s[2:3], s[0:1], 0x50
	s_waitcnt lgkmcnt(0)
	s_and_b32 s6, 1, s12
	s_bitcmp1_b32 s12, 16
	s_cselect_b32 s14, -1, 0
	s_cmp_eq_u32 s6, 1
	s_cselect_b32 s13, -1, 0
	s_delay_alu instid0(SALU_CYCLE_1)
	s_and_b32 s6, s13, exec_lo
	s_cselect_b32 s7, s5, 0
	s_cselect_b32 s6, s4, 0
	s_xor_b32 s8, s13, -1
	v_dual_mov_b32 v3, s6 :: v_dual_mov_b32 v4, s7
	s_or_b32 s8, s8, s14
	s_delay_alu instid0(SALU_CYCLE_1)
	s_and_b32 vcc_lo, exec_lo, s8
	s_cbranch_vccnz .LBB205_2
; %bb.1:
	v_dual_mov_b32 v1, s4 :: v_dual_mov_b32 v2, s5
	flat_load_b64 v[3:4], v[1:2]
.LBB205_2:
	s_clause 0x4
	s_load_b128 s[48:51], s[0:1], 0x78
	s_load_b256 s[36:43], s[0:1], 0x58
	s_load_b128 s[16:19], s[0:1], 0x40
	s_load_b128 s[20:23], s[0:1], 0x8
	s_load_b256 s[4:11], s[0:1], 0x20
	s_bitcmp1_b32 s12, 8
	s_cselect_b32 s12, -1, 0
	s_delay_alu instid0(SALU_CYCLE_1)
	s_and_b32 s24, s12, exec_lo
	s_cselect_b32 s25, s3, 0
	s_cselect_b32 s24, s2, 0
	s_xor_b32 s26, s12, -1
	v_dual_mov_b32 v1, s24 :: v_dual_mov_b32 v2, s25
	s_or_b32 s14, s26, s14
	s_delay_alu instid0(SALU_CYCLE_1)
	s_and_b32 vcc_lo, exec_lo, s14
	s_cbranch_vccnz .LBB205_4
; %bb.3:
	v_dual_mov_b32 v1, s2 :: v_dual_mov_b32 v2, s3
	flat_load_b64 v[1:2], v[1:2]
.LBB205_4:
	s_load_b32 s33, s[0:1], 0x0
	v_dual_mov_b32 v5, 0 :: v_dual_lshlrev_b32 v6, 3, v0
	v_lshl_add_u32 v17, v0, 2, 0
	v_or_b32_e32 v18, 0xfffffc00, v0
	s_mov_b32 s0, 0
	s_delay_alu instid0(VALU_DEP_3) | instskip(SKIP_1) | instid1(VALU_DEP_3)
	v_add3_u32 v19, v6, 0, 0x2000
	v_mov_b32_e32 v6, v5
	v_dual_mov_b32 v7, v17 :: v_dual_mov_b32 v8, v18
	s_waitcnt lgkmcnt(0)
	s_delay_alu instid0(VALU_DEP_3)
	v_dual_mov_b32 v10, v19 :: v_dual_mov_b32 v9, s33
.LBB205_5:                              ; =>This Inner Loop Header: Depth=1
	s_delay_alu instid0(VALU_DEP_2) | instskip(NEXT) | instid1(VALU_DEP_1)
	v_add_co_u32 v8, s1, 0x400, v8
	s_xor_b32 s1, s1, -1
	ds_store_b32 v7, v9
	ds_store_b64 v10, v[5:6]
	v_add_nc_u32_e32 v10, 0x2000, v10
	v_add_nc_u32_e32 v7, 0x1000, v7
	s_and_b32 s1, exec_lo, s1
	s_delay_alu instid0(SALU_CYCLE_1) | instskip(NEXT) | instid1(SALU_CYCLE_1)
	s_or_b32 s0, s1, s0
	s_and_not1_b32 exec_lo, exec_lo, s0
	s_cbranch_execnz .LBB205_5
; %bb.6:
	s_or_b32 exec_lo, exec_lo, s0
	s_waitcnt vmcnt(0) lgkmcnt(0)
	s_barrier
	buffer_gl0_inv
	s_load_b32 s0, s[20:21], 0x0
	s_mov_b32 s1, 0
	v_lshrrev_b32_e32 v20, 5, v0
	s_waitcnt lgkmcnt(0)
	s_add_i32 s0, s0, s15
	s_delay_alu instid0(SALU_CYCLE_1) | instskip(NEXT) | instid1(SALU_CYCLE_1)
	s_lshl_b64 s[0:1], s[0:1], 2
	s_add_u32 s0, s22, s0
	s_addc_u32 s1, s23, s1
	s_and_b32 vcc_lo, exec_lo, s13
	s_load_b32 s34, s[0:1], 0x0
	s_cbranch_vccz .LBB205_30
; %bb.7:
	s_waitcnt lgkmcnt(0)
	s_ashr_i32 s35, s34, 31
	s_delay_alu instid0(SALU_CYCLE_1) | instskip(NEXT) | instid1(SALU_CYCLE_1)
	s_lshl_b64 s[0:1], s[34:35], 3
	s_add_u32 s0, s4, s0
	s_addc_u32 s1, s5, s1
	v_sub_co_u32 v5, s4, v20, s44
	s_load_b128 s[0:3], s[0:1], 0x0
	v_sub_co_ci_u32_e64 v6, null, 0, 0, s4
	s_waitcnt lgkmcnt(0)
	s_delay_alu instid0(VALU_DEP_2) | instskip(NEXT) | instid1(VALU_DEP_2)
	v_add_co_u32 v5, vcc_lo, s0, v5
	v_add_co_ci_u32_e32 v6, vcc_lo, s1, v6, vcc_lo
	s_sub_u32 s0, s2, s44
	s_subb_u32 s1, s3, 0
	s_mov_b32 s2, exec_lo
	s_delay_alu instid0(VALU_DEP_1)
	v_cmpx_gt_i64_e64 s[0:1], v[5:6]
	s_cbranch_execz .LBB205_29
; %bb.8:
	v_and_b32_e32 v7, 31, v0
	s_mov_b32 s4, s45
	s_delay_alu instid0(VALU_DEP_1) | instskip(NEXT) | instid1(VALU_DEP_1)
	v_sub_co_u32 v21, s3, v7, s45
	v_sub_co_ci_u32_e64 v22, null, 0, 0, s3
	s_mov_b32 s3, 0
	s_branch .LBB205_10
.LBB205_9:                              ;   in Loop: Header=BB205_10 Depth=1
	s_or_b32 exec_lo, exec_lo, s5
	v_add_co_u32 v5, vcc_lo, v5, 32
	v_add_co_ci_u32_e32 v6, vcc_lo, 0, v6, vcc_lo
	s_delay_alu instid0(VALU_DEP_1) | instskip(SKIP_1) | instid1(SALU_CYCLE_1)
	v_cmp_le_i64_e32 vcc_lo, s[0:1], v[5:6]
	s_or_b32 s3, vcc_lo, s3
	s_and_not1_b32 exec_lo, exec_lo, s3
	s_cbranch_execz .LBB205_29
.LBB205_10:                             ; =>This Loop Header: Depth=1
                                        ;     Child Loop BB205_13 Depth 2
                                        ;       Child Loop BB205_15 Depth 3
                                        ;         Child Loop BB205_21 Depth 4
                                        ;         Child Loop BB205_27 Depth 4
	v_lshlrev_b64 v[7:8], 2, v[5:6]
	s_mov_b32 s5, exec_lo
	s_delay_alu instid0(VALU_DEP_1) | instskip(NEXT) | instid1(VALU_DEP_2)
	v_add_co_u32 v7, vcc_lo, s6, v7
	v_add_co_ci_u32_e32 v8, vcc_lo, s7, v8, vcc_lo
	global_load_b32 v7, v[7:8], off
	s_waitcnt vmcnt(0)
	v_subrev_nc_u32_e32 v7, s44, v7
	s_delay_alu instid0(VALU_DEP_1) | instskip(NEXT) | instid1(VALU_DEP_1)
	v_ashrrev_i32_e32 v8, 31, v7
	v_lshlrev_b64 v[7:8], 3, v[7:8]
	s_delay_alu instid0(VALU_DEP_1) | instskip(NEXT) | instid1(VALU_DEP_2)
	v_add_co_u32 v7, vcc_lo, s10, v7
	v_add_co_ci_u32_e32 v8, vcc_lo, s11, v8, vcc_lo
	global_load_b128 v[9:12], v[7:8], off
	s_waitcnt vmcnt(0)
	v_sub_co_u32 v7, vcc_lo, v11, s4
	v_subrev_co_ci_u32_e32 v8, vcc_lo, 0, v12, vcc_lo
	v_add_co_u32 v9, vcc_lo, v9, v21
	v_add_co_ci_u32_e32 v10, vcc_lo, v10, v22, vcc_lo
	s_delay_alu instid0(VALU_DEP_1)
	v_cmpx_lt_i64_e64 v[9:10], v[7:8]
	s_cbranch_execz .LBB205_9
; %bb.11:                               ;   in Loop: Header=BB205_10 Depth=1
	v_lshlrev_b64 v[11:12], 3, v[5:6]
	s_mov_b32 s13, 0
	s_delay_alu instid0(VALU_DEP_1) | instskip(NEXT) | instid1(VALU_DEP_2)
	v_add_co_u32 v11, vcc_lo, s8, v11
	v_add_co_ci_u32_e32 v12, vcc_lo, s9, v12, vcc_lo
	global_load_b64 v[11:12], v[11:12], off
	s_waitcnt vmcnt(0)
	v_mul_f64 v[11:12], v[3:4], v[11:12]
	s_branch .LBB205_13
.LBB205_12:                             ;   in Loop: Header=BB205_13 Depth=2
	s_or_b32 exec_lo, exec_lo, s14
	v_add_co_u32 v9, vcc_lo, v9, 32
	v_add_co_ci_u32_e32 v10, vcc_lo, 0, v10, vcc_lo
	s_delay_alu instid0(VALU_DEP_1) | instskip(SKIP_1) | instid1(SALU_CYCLE_1)
	v_cmp_ge_i64_e32 vcc_lo, v[9:10], v[7:8]
	s_or_b32 s13, vcc_lo, s13
	s_and_not1_b32 exec_lo, exec_lo, s13
	s_cbranch_execz .LBB205_9
.LBB205_13:                             ;   Parent Loop BB205_10 Depth=1
                                        ; =>  This Loop Header: Depth=2
                                        ;       Child Loop BB205_15 Depth 3
                                        ;         Child Loop BB205_21 Depth 4
                                        ;         Child Loop BB205_27 Depth 4
	v_lshlrev_b64 v[13:14], 3, v[9:10]
	v_lshlrev_b64 v[15:16], 2, v[9:10]
	s_mov_b32 s14, 0
	s_delay_alu instid0(VALU_DEP_2) | instskip(NEXT) | instid1(VALU_DEP_3)
	v_add_co_u32 v13, vcc_lo, s18, v13
	v_add_co_ci_u32_e32 v14, vcc_lo, s19, v14, vcc_lo
	s_delay_alu instid0(VALU_DEP_3) | instskip(NEXT) | instid1(VALU_DEP_4)
	v_add_co_u32 v15, vcc_lo, s16, v15
	v_add_co_ci_u32_e32 v16, vcc_lo, s17, v16, vcc_lo
	global_load_b64 v[13:14], v[13:14], off
	global_load_b32 v15, v[15:16], off
	s_waitcnt vmcnt(1)
	v_mul_f64 v[13:14], v[11:12], v[13:14]
	s_waitcnt vmcnt(0)
	v_subrev_nc_u32_e32 v23, s45, v15
	s_delay_alu instid0(VALU_DEP_1) | instskip(NEXT) | instid1(VALU_DEP_1)
	v_mul_lo_u32 v15, 0x89, v23
	v_and_b32_e32 v24, 0x7ff, v15
	s_branch .LBB205_15
.LBB205_14:                             ;   in Loop: Header=BB205_15 Depth=3
	s_or_b32 exec_lo, exec_lo, s15
	s_xor_b32 s15, s20, -1
	s_delay_alu instid0(SALU_CYCLE_1) | instskip(NEXT) | instid1(SALU_CYCLE_1)
	s_and_b32 s15, exec_lo, s15
	s_or_b32 s14, s15, s14
	s_delay_alu instid0(SALU_CYCLE_1)
	s_and_not1_b32 exec_lo, exec_lo, s14
	s_cbranch_execz .LBB205_12
.LBB205_15:                             ;   Parent Loop BB205_10 Depth=1
                                        ;     Parent Loop BB205_13 Depth=2
                                        ; =>    This Loop Header: Depth=3
                                        ;         Child Loop BB205_21 Depth 4
                                        ;         Child Loop BB205_27 Depth 4
	s_delay_alu instid0(VALU_DEP_1)
	v_lshl_add_u32 v15, v24, 2, 0
	s_mov_b32 s15, exec_lo
                                        ; implicit-def: $sgpr20
	ds_load_b32 v16, v15
	s_waitcnt lgkmcnt(0)
	v_cmpx_ne_u32_e64 v16, v23
	s_xor_b32 s15, exec_lo, s15
	s_cbranch_execz .LBB205_25
; %bb.16:                               ;   in Loop: Header=BB205_15 Depth=3
	s_mov_b32 s21, exec_lo
                                        ; implicit-def: $sgpr20
	v_cmpx_ne_u32_e64 s33, v16
	s_xor_b32 s21, exec_lo, s21
; %bb.17:                               ;   in Loop: Header=BB205_15 Depth=3
	v_add_nc_u32_e32 v15, 1, v24
	s_mov_b32 s20, -1
	s_delay_alu instid0(VALU_DEP_1)
	v_and_b32_e32 v24, 0x7ff, v15
                                        ; implicit-def: $vgpr15
; %bb.18:                               ;   in Loop: Header=BB205_15 Depth=3
	s_and_not1_saveexec_b32 s21, s21
	s_cbranch_execz .LBB205_24
; %bb.19:                               ;   in Loop: Header=BB205_15 Depth=3
	v_mov_b32_e32 v16, s33
	s_mov_b32 s23, -1
	s_mov_b32 s22, exec_lo
	ds_cmpstore_rtn_b32 v16, v15, v23, v16
	s_waitcnt lgkmcnt(0)
	v_cmpx_eq_u32_e64 s33, v16
	s_cbranch_execz .LBB205_23
; %bb.20:                               ;   in Loop: Header=BB205_15 Depth=3
	v_lshlrev_b32_e32 v16, 2, v24
	s_mov_b32 s23, 0
	s_delay_alu instid0(VALU_DEP_1)
	v_add_nc_u32_e32 v25, v15, v16
	ds_load_b64 v[15:16], v25 offset:8192
.LBB205_21:                             ;   Parent Loop BB205_10 Depth=1
                                        ;     Parent Loop BB205_13 Depth=2
                                        ;       Parent Loop BB205_15 Depth=3
                                        ; =>      This Inner Loop Header: Depth=4
	s_waitcnt lgkmcnt(0)
	v_add_f64 v[26:27], v[15:16], v[13:14]
	ds_cmpstore_rtn_b64 v[26:27], v25, v[26:27], v[15:16] offset:8192
	s_waitcnt lgkmcnt(0)
	v_cmp_eq_u64_e32 vcc_lo, v[26:27], v[15:16]
	v_dual_mov_b32 v15, v26 :: v_dual_mov_b32 v16, v27
	s_or_b32 s23, vcc_lo, s23
	s_delay_alu instid0(SALU_CYCLE_1)
	s_and_not1_b32 exec_lo, exec_lo, s23
	s_cbranch_execnz .LBB205_21
; %bb.22:                               ;   in Loop: Header=BB205_15 Depth=3
	s_or_b32 exec_lo, exec_lo, s23
	s_delay_alu instid0(SALU_CYCLE_1)
	s_xor_b32 s23, exec_lo, -1
.LBB205_23:                             ;   in Loop: Header=BB205_15 Depth=3
	s_or_b32 exec_lo, exec_lo, s22
	s_delay_alu instid0(SALU_CYCLE_1) | instskip(SKIP_1) | instid1(SALU_CYCLE_1)
	s_and_not1_b32 s20, s20, exec_lo
	s_and_b32 s22, s23, exec_lo
	s_or_b32 s20, s20, s22
.LBB205_24:                             ;   in Loop: Header=BB205_15 Depth=3
	s_or_b32 exec_lo, exec_lo, s21
	s_delay_alu instid0(SALU_CYCLE_1)
	s_and_b32 s20, s20, exec_lo
                                        ; implicit-def: $vgpr15
.LBB205_25:                             ;   in Loop: Header=BB205_15 Depth=3
	s_and_not1_saveexec_b32 s15, s15
	s_cbranch_execz .LBB205_14
; %bb.26:                               ;   in Loop: Header=BB205_15 Depth=3
	v_lshlrev_b32_e32 v16, 2, v24
	s_mov_b32 s21, 0
	s_delay_alu instid0(VALU_DEP_1)
	v_add_nc_u32_e32 v25, v15, v16
	ds_load_b64 v[15:16], v25 offset:8192
.LBB205_27:                             ;   Parent Loop BB205_10 Depth=1
                                        ;     Parent Loop BB205_13 Depth=2
                                        ;       Parent Loop BB205_15 Depth=3
                                        ; =>      This Inner Loop Header: Depth=4
	s_waitcnt lgkmcnt(0)
	v_add_f64 v[26:27], v[15:16], v[13:14]
	ds_cmpstore_rtn_b64 v[26:27], v25, v[26:27], v[15:16] offset:8192
	s_waitcnt lgkmcnt(0)
	v_cmp_eq_u64_e32 vcc_lo, v[26:27], v[15:16]
	v_dual_mov_b32 v15, v26 :: v_dual_mov_b32 v16, v27
	s_or_b32 s21, vcc_lo, s21
	s_delay_alu instid0(SALU_CYCLE_1)
	s_and_not1_b32 exec_lo, exec_lo, s21
	s_cbranch_execnz .LBB205_27
; %bb.28:                               ;   in Loop: Header=BB205_15 Depth=3
	s_or_b32 exec_lo, exec_lo, s21
	s_delay_alu instid0(SALU_CYCLE_1)
	s_and_not1_b32 s20, s20, exec_lo
	s_branch .LBB205_14
.LBB205_29:
	s_or_b32 exec_lo, exec_lo, s2
.LBB205_30:
	s_delay_alu instid0(SALU_CYCLE_1)
	s_and_not1_b32 vcc_lo, exec_lo, s12
	s_cbranch_vccnz .LBB205_33
; %bb.31:
	s_waitcnt lgkmcnt(0)
	s_ashr_i32 s35, s34, 31
	v_sub_co_u32 v3, s4, v0, s47
	s_lshl_b64 s[0:1], s[34:35], 3
	v_sub_co_ci_u32_e64 v4, null, 0, 0, s4
	s_add_u32 s0, s36, s0
	s_addc_u32 s1, s37, s1
	s_load_b128 s[0:3], s[0:1], 0x0
	s_waitcnt lgkmcnt(0)
	v_add_co_u32 v3, vcc_lo, s0, v3
	v_add_co_ci_u32_e32 v4, vcc_lo, s1, v4, vcc_lo
	s_sub_u32 s0, s2, s47
	s_subb_u32 s1, s3, 0
	s_mov_b32 s3, 0
	s_mov_b32 s2, exec_lo
	v_cmpx_gt_i64_e64 s[0:1], v[3:4]
	s_cbranch_execnz .LBB205_102
.LBB205_32:
	s_or_b32 exec_lo, exec_lo, s2
.LBB205_33:
	v_mbcnt_lo_u32_b32 v1, -1, 0
	v_lshl_add_u32 v4, v20, 2, 0
	v_cmp_eq_u32_e32 vcc_lo, 0x3ff, v0
	v_cmp_lt_u32_e64 s0, 31, v0
	v_cmp_lt_u32_e64 s1, 63, v0
	v_xor_b32_e32 v1, 63, v1
	v_cmp_lt_u32_e64 s2, 0x5f, v0
	v_cmp_lt_u32_e64 s3, 0x7f, v0
	;; [unrolled: 1-line block ×4, first 2 shown]
	v_lshrrev_b64 v[1:2], v1, -1
	v_cmp_lt_u32_e64 s6, 0xdf, v0
	v_cmp_lt_u32_e64 s7, 0xff, v0
	;; [unrolled: 1-line block ×25, first 2 shown]
	v_dual_mov_b32 v5, 0 :: v_dual_mov_b32 v6, 0
	s_mov_b32 s35, 0
	s_waitcnt lgkmcnt(0)
	s_barrier
	buffer_gl0_inv
	s_branch .LBB205_35
.LBB205_34:                             ;   in Loop: Header=BB205_35 Depth=1
	s_or_b32 exec_lo, exec_lo, s31
	s_waitcnt lgkmcnt(0)
	s_barrier
	buffer_gl0_inv
	ds_load_b32 v2, v5 offset:24700
	v_add_co_u32 v18, s31, 0x400, v18
	s_delay_alu instid0(VALU_DEP_1) | instskip(SKIP_3) | instid1(SALU_CYCLE_1)
	s_xor_b32 s31, s31, -1
	v_add_nc_u32_e32 v19, 0x2000, v19
	v_add_nc_u32_e32 v17, 0x1000, v17
	s_and_b32 s31, exec_lo, s31
	s_or_b32 s35, s31, s35
	s_waitcnt lgkmcnt(0)
	v_add_nc_u32_e32 v6, v2, v6
	s_and_not1_b32 exec_lo, exec_lo, s35
	s_cbranch_execz .LBB205_118
.LBB205_35:                             ; =>This Inner Loop Header: Depth=1
	ds_load_b32 v7, v17
	ds_load_b64 v[2:3], v19
	s_waitcnt lgkmcnt(0)
	s_barrier
	buffer_gl0_inv
	v_cmp_gt_i32_e64 s31, s33, v7
	s_delay_alu instid0(VALU_DEP_1) | instskip(NEXT) | instid1(SALU_CYCLE_1)
	s_bcnt1_i32_b32 s36, s31
	v_dual_mov_b32 v9, s36 :: v_dual_and_b32 v8, s31, v1
	s_delay_alu instid0(VALU_DEP_1)
	v_bcnt_u32_b32 v8, v8, 0
	ds_store_b32 v4, v9 offset:24576
	s_waitcnt lgkmcnt(0)
	s_barrier
	buffer_gl0_inv
	s_and_saveexec_b32 s36, s0
	s_cbranch_execnz .LBB205_68
; %bb.36:                               ;   in Loop: Header=BB205_35 Depth=1
	s_or_b32 exec_lo, exec_lo, s36
	s_and_saveexec_b32 s36, s1
	s_cbranch_execnz .LBB205_69
.LBB205_37:                             ;   in Loop: Header=BB205_35 Depth=1
	s_or_b32 exec_lo, exec_lo, s36
	s_and_saveexec_b32 s36, s2
	s_cbranch_execnz .LBB205_70
.LBB205_38:                             ;   in Loop: Header=BB205_35 Depth=1
	s_or_b32 exec_lo, exec_lo, s36
	s_and_saveexec_b32 s36, s3
	s_cbranch_execnz .LBB205_71
.LBB205_39:                             ;   in Loop: Header=BB205_35 Depth=1
	s_or_b32 exec_lo, exec_lo, s36
	s_and_saveexec_b32 s36, s4
	s_cbranch_execnz .LBB205_72
.LBB205_40:                             ;   in Loop: Header=BB205_35 Depth=1
	s_or_b32 exec_lo, exec_lo, s36
	s_and_saveexec_b32 s36, s5
	s_cbranch_execnz .LBB205_73
.LBB205_41:                             ;   in Loop: Header=BB205_35 Depth=1
	s_or_b32 exec_lo, exec_lo, s36
	s_and_saveexec_b32 s36, s6
	s_cbranch_execnz .LBB205_74
.LBB205_42:                             ;   in Loop: Header=BB205_35 Depth=1
	s_or_b32 exec_lo, exec_lo, s36
	s_and_saveexec_b32 s36, s7
	s_cbranch_execnz .LBB205_75
.LBB205_43:                             ;   in Loop: Header=BB205_35 Depth=1
	s_or_b32 exec_lo, exec_lo, s36
	s_and_saveexec_b32 s36, s8
	s_cbranch_execnz .LBB205_76
.LBB205_44:                             ;   in Loop: Header=BB205_35 Depth=1
	s_or_b32 exec_lo, exec_lo, s36
	s_and_saveexec_b32 s36, s9
	s_cbranch_execnz .LBB205_77
.LBB205_45:                             ;   in Loop: Header=BB205_35 Depth=1
	s_or_b32 exec_lo, exec_lo, s36
	s_and_saveexec_b32 s36, s10
	s_cbranch_execnz .LBB205_78
.LBB205_46:                             ;   in Loop: Header=BB205_35 Depth=1
	s_or_b32 exec_lo, exec_lo, s36
	s_and_saveexec_b32 s36, s11
	s_cbranch_execnz .LBB205_79
.LBB205_47:                             ;   in Loop: Header=BB205_35 Depth=1
	s_or_b32 exec_lo, exec_lo, s36
	s_and_saveexec_b32 s36, s12
	s_cbranch_execnz .LBB205_80
.LBB205_48:                             ;   in Loop: Header=BB205_35 Depth=1
	s_or_b32 exec_lo, exec_lo, s36
	s_and_saveexec_b32 s36, s13
	s_cbranch_execnz .LBB205_81
.LBB205_49:                             ;   in Loop: Header=BB205_35 Depth=1
	s_or_b32 exec_lo, exec_lo, s36
	s_and_saveexec_b32 s36, s14
	s_cbranch_execnz .LBB205_82
.LBB205_50:                             ;   in Loop: Header=BB205_35 Depth=1
	s_or_b32 exec_lo, exec_lo, s36
	s_and_saveexec_b32 s36, s15
	s_cbranch_execnz .LBB205_83
.LBB205_51:                             ;   in Loop: Header=BB205_35 Depth=1
	s_or_b32 exec_lo, exec_lo, s36
	s_and_saveexec_b32 s36, s16
	s_cbranch_execnz .LBB205_84
.LBB205_52:                             ;   in Loop: Header=BB205_35 Depth=1
	s_or_b32 exec_lo, exec_lo, s36
	s_and_saveexec_b32 s36, s17
	s_cbranch_execnz .LBB205_85
.LBB205_53:                             ;   in Loop: Header=BB205_35 Depth=1
	s_or_b32 exec_lo, exec_lo, s36
	s_and_saveexec_b32 s36, s18
	s_cbranch_execnz .LBB205_86
.LBB205_54:                             ;   in Loop: Header=BB205_35 Depth=1
	s_or_b32 exec_lo, exec_lo, s36
	s_and_saveexec_b32 s36, s19
	s_cbranch_execnz .LBB205_87
.LBB205_55:                             ;   in Loop: Header=BB205_35 Depth=1
	s_or_b32 exec_lo, exec_lo, s36
	s_and_saveexec_b32 s36, s20
	s_cbranch_execnz .LBB205_88
.LBB205_56:                             ;   in Loop: Header=BB205_35 Depth=1
	s_or_b32 exec_lo, exec_lo, s36
	s_and_saveexec_b32 s36, s21
	s_cbranch_execnz .LBB205_89
.LBB205_57:                             ;   in Loop: Header=BB205_35 Depth=1
	s_or_b32 exec_lo, exec_lo, s36
	s_and_saveexec_b32 s36, s22
	s_cbranch_execnz .LBB205_90
.LBB205_58:                             ;   in Loop: Header=BB205_35 Depth=1
	s_or_b32 exec_lo, exec_lo, s36
	s_and_saveexec_b32 s36, s23
	s_cbranch_execnz .LBB205_91
.LBB205_59:                             ;   in Loop: Header=BB205_35 Depth=1
	s_or_b32 exec_lo, exec_lo, s36
	s_and_saveexec_b32 s36, s24
	s_cbranch_execnz .LBB205_92
.LBB205_60:                             ;   in Loop: Header=BB205_35 Depth=1
	s_or_b32 exec_lo, exec_lo, s36
	s_and_saveexec_b32 s36, s25
	s_cbranch_execnz .LBB205_93
.LBB205_61:                             ;   in Loop: Header=BB205_35 Depth=1
	s_or_b32 exec_lo, exec_lo, s36
	s_and_saveexec_b32 s36, s26
	s_cbranch_execnz .LBB205_94
.LBB205_62:                             ;   in Loop: Header=BB205_35 Depth=1
	s_or_b32 exec_lo, exec_lo, s36
	s_and_saveexec_b32 s36, s27
	s_cbranch_execnz .LBB205_95
.LBB205_63:                             ;   in Loop: Header=BB205_35 Depth=1
	s_or_b32 exec_lo, exec_lo, s36
	s_and_saveexec_b32 s36, s28
	s_cbranch_execnz .LBB205_96
.LBB205_64:                             ;   in Loop: Header=BB205_35 Depth=1
	s_or_b32 exec_lo, exec_lo, s36
	s_and_saveexec_b32 s36, s29
	s_cbranch_execnz .LBB205_97
.LBB205_65:                             ;   in Loop: Header=BB205_35 Depth=1
	s_or_b32 exec_lo, exec_lo, s36
	s_and_saveexec_b32 s36, s30
	s_cbranch_execnz .LBB205_98
.LBB205_66:                             ;   in Loop: Header=BB205_35 Depth=1
	s_or_b32 exec_lo, exec_lo, s36
	s_and_saveexec_b32 s36, s31
	s_cbranch_execnz .LBB205_99
.LBB205_67:                             ;   in Loop: Header=BB205_35 Depth=1
	s_or_b32 exec_lo, exec_lo, s36
	s_and_saveexec_b32 s31, vcc_lo
	s_cbranch_execz .LBB205_34
	s_branch .LBB205_100
.LBB205_68:                             ;   in Loop: Header=BB205_35 Depth=1
	ds_load_b32 v9, v5 offset:24576
	s_waitcnt lgkmcnt(0)
	v_add_nc_u32_e32 v8, v9, v8
	s_or_b32 exec_lo, exec_lo, s36
	s_and_saveexec_b32 s36, s1
	s_cbranch_execz .LBB205_37
.LBB205_69:                             ;   in Loop: Header=BB205_35 Depth=1
	ds_load_b32 v9, v5 offset:24580
	s_waitcnt lgkmcnt(0)
	v_add_nc_u32_e32 v8, v9, v8
	s_or_b32 exec_lo, exec_lo, s36
	s_and_saveexec_b32 s36, s2
	s_cbranch_execz .LBB205_38
.LBB205_70:                             ;   in Loop: Header=BB205_35 Depth=1
	ds_load_b32 v9, v5 offset:24584
	s_waitcnt lgkmcnt(0)
	v_add_nc_u32_e32 v8, v9, v8
	s_or_b32 exec_lo, exec_lo, s36
	s_and_saveexec_b32 s36, s3
	s_cbranch_execz .LBB205_39
.LBB205_71:                             ;   in Loop: Header=BB205_35 Depth=1
	ds_load_b32 v9, v5 offset:24588
	s_waitcnt lgkmcnt(0)
	v_add_nc_u32_e32 v8, v9, v8
	s_or_b32 exec_lo, exec_lo, s36
	s_and_saveexec_b32 s36, s4
	s_cbranch_execz .LBB205_40
.LBB205_72:                             ;   in Loop: Header=BB205_35 Depth=1
	ds_load_b32 v9, v5 offset:24592
	s_waitcnt lgkmcnt(0)
	v_add_nc_u32_e32 v8, v9, v8
	s_or_b32 exec_lo, exec_lo, s36
	s_and_saveexec_b32 s36, s5
	s_cbranch_execz .LBB205_41
.LBB205_73:                             ;   in Loop: Header=BB205_35 Depth=1
	ds_load_b32 v9, v5 offset:24596
	s_waitcnt lgkmcnt(0)
	v_add_nc_u32_e32 v8, v9, v8
	s_or_b32 exec_lo, exec_lo, s36
	s_and_saveexec_b32 s36, s6
	s_cbranch_execz .LBB205_42
.LBB205_74:                             ;   in Loop: Header=BB205_35 Depth=1
	ds_load_b32 v9, v5 offset:24600
	s_waitcnt lgkmcnt(0)
	v_add_nc_u32_e32 v8, v9, v8
	s_or_b32 exec_lo, exec_lo, s36
	s_and_saveexec_b32 s36, s7
	s_cbranch_execz .LBB205_43
.LBB205_75:                             ;   in Loop: Header=BB205_35 Depth=1
	ds_load_b32 v9, v5 offset:24604
	s_waitcnt lgkmcnt(0)
	v_add_nc_u32_e32 v8, v9, v8
	s_or_b32 exec_lo, exec_lo, s36
	s_and_saveexec_b32 s36, s8
	s_cbranch_execz .LBB205_44
.LBB205_76:                             ;   in Loop: Header=BB205_35 Depth=1
	ds_load_b32 v9, v5 offset:24608
	s_waitcnt lgkmcnt(0)
	v_add_nc_u32_e32 v8, v9, v8
	s_or_b32 exec_lo, exec_lo, s36
	s_and_saveexec_b32 s36, s9
	s_cbranch_execz .LBB205_45
.LBB205_77:                             ;   in Loop: Header=BB205_35 Depth=1
	ds_load_b32 v9, v5 offset:24612
	s_waitcnt lgkmcnt(0)
	v_add_nc_u32_e32 v8, v9, v8
	s_or_b32 exec_lo, exec_lo, s36
	s_and_saveexec_b32 s36, s10
	s_cbranch_execz .LBB205_46
.LBB205_78:                             ;   in Loop: Header=BB205_35 Depth=1
	ds_load_b32 v9, v5 offset:24616
	s_waitcnt lgkmcnt(0)
	v_add_nc_u32_e32 v8, v9, v8
	s_or_b32 exec_lo, exec_lo, s36
	s_and_saveexec_b32 s36, s11
	s_cbranch_execz .LBB205_47
.LBB205_79:                             ;   in Loop: Header=BB205_35 Depth=1
	ds_load_b32 v9, v5 offset:24620
	s_waitcnt lgkmcnt(0)
	v_add_nc_u32_e32 v8, v9, v8
	s_or_b32 exec_lo, exec_lo, s36
	s_and_saveexec_b32 s36, s12
	s_cbranch_execz .LBB205_48
.LBB205_80:                             ;   in Loop: Header=BB205_35 Depth=1
	ds_load_b32 v9, v5 offset:24624
	s_waitcnt lgkmcnt(0)
	v_add_nc_u32_e32 v8, v9, v8
	s_or_b32 exec_lo, exec_lo, s36
	s_and_saveexec_b32 s36, s13
	s_cbranch_execz .LBB205_49
.LBB205_81:                             ;   in Loop: Header=BB205_35 Depth=1
	ds_load_b32 v9, v5 offset:24628
	s_waitcnt lgkmcnt(0)
	v_add_nc_u32_e32 v8, v9, v8
	s_or_b32 exec_lo, exec_lo, s36
	s_and_saveexec_b32 s36, s14
	s_cbranch_execz .LBB205_50
.LBB205_82:                             ;   in Loop: Header=BB205_35 Depth=1
	ds_load_b32 v9, v5 offset:24632
	s_waitcnt lgkmcnt(0)
	v_add_nc_u32_e32 v8, v9, v8
	s_or_b32 exec_lo, exec_lo, s36
	s_and_saveexec_b32 s36, s15
	s_cbranch_execz .LBB205_51
.LBB205_83:                             ;   in Loop: Header=BB205_35 Depth=1
	ds_load_b32 v9, v5 offset:24636
	s_waitcnt lgkmcnt(0)
	v_add_nc_u32_e32 v8, v9, v8
	s_or_b32 exec_lo, exec_lo, s36
	s_and_saveexec_b32 s36, s16
	s_cbranch_execz .LBB205_52
.LBB205_84:                             ;   in Loop: Header=BB205_35 Depth=1
	ds_load_b32 v9, v5 offset:24640
	s_waitcnt lgkmcnt(0)
	v_add_nc_u32_e32 v8, v9, v8
	s_or_b32 exec_lo, exec_lo, s36
	s_and_saveexec_b32 s36, s17
	s_cbranch_execz .LBB205_53
.LBB205_85:                             ;   in Loop: Header=BB205_35 Depth=1
	ds_load_b32 v9, v5 offset:24644
	s_waitcnt lgkmcnt(0)
	v_add_nc_u32_e32 v8, v9, v8
	s_or_b32 exec_lo, exec_lo, s36
	s_and_saveexec_b32 s36, s18
	s_cbranch_execz .LBB205_54
.LBB205_86:                             ;   in Loop: Header=BB205_35 Depth=1
	ds_load_b32 v9, v5 offset:24648
	s_waitcnt lgkmcnt(0)
	v_add_nc_u32_e32 v8, v9, v8
	s_or_b32 exec_lo, exec_lo, s36
	s_and_saveexec_b32 s36, s19
	s_cbranch_execz .LBB205_55
.LBB205_87:                             ;   in Loop: Header=BB205_35 Depth=1
	ds_load_b32 v9, v5 offset:24652
	s_waitcnt lgkmcnt(0)
	v_add_nc_u32_e32 v8, v9, v8
	s_or_b32 exec_lo, exec_lo, s36
	s_and_saveexec_b32 s36, s20
	s_cbranch_execz .LBB205_56
.LBB205_88:                             ;   in Loop: Header=BB205_35 Depth=1
	ds_load_b32 v9, v5 offset:24656
	s_waitcnt lgkmcnt(0)
	v_add_nc_u32_e32 v8, v9, v8
	s_or_b32 exec_lo, exec_lo, s36
	s_and_saveexec_b32 s36, s21
	s_cbranch_execz .LBB205_57
.LBB205_89:                             ;   in Loop: Header=BB205_35 Depth=1
	ds_load_b32 v9, v5 offset:24660
	s_waitcnt lgkmcnt(0)
	v_add_nc_u32_e32 v8, v9, v8
	s_or_b32 exec_lo, exec_lo, s36
	s_and_saveexec_b32 s36, s22
	s_cbranch_execz .LBB205_58
.LBB205_90:                             ;   in Loop: Header=BB205_35 Depth=1
	ds_load_b32 v9, v5 offset:24664
	s_waitcnt lgkmcnt(0)
	v_add_nc_u32_e32 v8, v9, v8
	s_or_b32 exec_lo, exec_lo, s36
	s_and_saveexec_b32 s36, s23
	s_cbranch_execz .LBB205_59
.LBB205_91:                             ;   in Loop: Header=BB205_35 Depth=1
	ds_load_b32 v9, v5 offset:24668
	s_waitcnt lgkmcnt(0)
	v_add_nc_u32_e32 v8, v9, v8
	s_or_b32 exec_lo, exec_lo, s36
	s_and_saveexec_b32 s36, s24
	s_cbranch_execz .LBB205_60
.LBB205_92:                             ;   in Loop: Header=BB205_35 Depth=1
	ds_load_b32 v9, v5 offset:24672
	s_waitcnt lgkmcnt(0)
	v_add_nc_u32_e32 v8, v9, v8
	s_or_b32 exec_lo, exec_lo, s36
	s_and_saveexec_b32 s36, s25
	s_cbranch_execz .LBB205_61
.LBB205_93:                             ;   in Loop: Header=BB205_35 Depth=1
	ds_load_b32 v9, v5 offset:24676
	s_waitcnt lgkmcnt(0)
	v_add_nc_u32_e32 v8, v9, v8
	s_or_b32 exec_lo, exec_lo, s36
	s_and_saveexec_b32 s36, s26
	s_cbranch_execz .LBB205_62
.LBB205_94:                             ;   in Loop: Header=BB205_35 Depth=1
	ds_load_b32 v9, v5 offset:24680
	s_waitcnt lgkmcnt(0)
	v_add_nc_u32_e32 v8, v9, v8
	s_or_b32 exec_lo, exec_lo, s36
	s_and_saveexec_b32 s36, s27
	s_cbranch_execz .LBB205_63
.LBB205_95:                             ;   in Loop: Header=BB205_35 Depth=1
	ds_load_b32 v9, v5 offset:24684
	s_waitcnt lgkmcnt(0)
	v_add_nc_u32_e32 v8, v9, v8
	s_or_b32 exec_lo, exec_lo, s36
	s_and_saveexec_b32 s36, s28
	s_cbranch_execz .LBB205_64
.LBB205_96:                             ;   in Loop: Header=BB205_35 Depth=1
	ds_load_b32 v9, v5 offset:24688
	s_waitcnt lgkmcnt(0)
	v_add_nc_u32_e32 v8, v9, v8
	s_or_b32 exec_lo, exec_lo, s36
	s_and_saveexec_b32 s36, s29
	s_cbranch_execz .LBB205_65
.LBB205_97:                             ;   in Loop: Header=BB205_35 Depth=1
	ds_load_b32 v9, v5 offset:24692
	s_waitcnt lgkmcnt(0)
	v_add_nc_u32_e32 v8, v9, v8
	s_or_b32 exec_lo, exec_lo, s36
	s_and_saveexec_b32 s36, s30
	s_cbranch_execz .LBB205_66
.LBB205_98:                             ;   in Loop: Header=BB205_35 Depth=1
	ds_load_b32 v9, v5 offset:24696
	s_waitcnt lgkmcnt(0)
	v_add_nc_u32_e32 v8, v9, v8
	s_or_b32 exec_lo, exec_lo, s36
	s_and_saveexec_b32 s36, s31
	s_cbranch_execz .LBB205_67
.LBB205_99:                             ;   in Loop: Header=BB205_35 Depth=1
	s_delay_alu instid0(VALU_DEP_1) | instskip(NEXT) | instid1(VALU_DEP_1)
	v_add3_u32 v9, v6, -1, v8
	v_lshl_add_u32 v10, v9, 2, 0
	v_lshl_add_u32 v9, v9, 3, 0
	ds_store_b32 v10, v7
	ds_store_b64 v9, v[2:3] offset:8192
	s_or_b32 exec_lo, exec_lo, s36
	s_and_saveexec_b32 s31, vcc_lo
	s_cbranch_execz .LBB205_34
.LBB205_100:                            ;   in Loop: Header=BB205_35 Depth=1
	ds_store_b32 v5, v8 offset:24700
	s_branch .LBB205_34
.LBB205_101:                            ;   in Loop: Header=BB205_102 Depth=1
	s_or_b32 exec_lo, exec_lo, s4
	v_add_co_u32 v3, vcc_lo, 0x400, v3
	v_add_co_ci_u32_e32 v4, vcc_lo, 0, v4, vcc_lo
	s_delay_alu instid0(VALU_DEP_1) | instskip(SKIP_1) | instid1(SALU_CYCLE_1)
	v_cmp_le_i64_e32 vcc_lo, s[0:1], v[3:4]
	s_or_b32 s3, vcc_lo, s3
	s_and_not1_b32 exec_lo, exec_lo, s3
	s_cbranch_execz .LBB205_32
.LBB205_102:                            ; =>This Loop Header: Depth=1
                                        ;     Child Loop BB205_104 Depth 2
                                        ;       Child Loop BB205_110 Depth 3
                                        ;       Child Loop BB205_116 Depth 3
	v_lshlrev_b64 v[5:6], 3, v[3:4]
	v_lshlrev_b64 v[7:8], 2, v[3:4]
	s_mov_b32 s4, 0
	s_delay_alu instid0(VALU_DEP_2) | instskip(NEXT) | instid1(VALU_DEP_3)
	v_add_co_u32 v5, vcc_lo, s40, v5
	v_add_co_ci_u32_e32 v6, vcc_lo, s41, v6, vcc_lo
	s_delay_alu instid0(VALU_DEP_3) | instskip(NEXT) | instid1(VALU_DEP_4)
	v_add_co_u32 v7, vcc_lo, s38, v7
	v_add_co_ci_u32_e32 v8, vcc_lo, s39, v8, vcc_lo
	global_load_b64 v[5:6], v[5:6], off
	global_load_b32 v7, v[7:8], off
	s_waitcnt vmcnt(1)
	v_mul_f64 v[5:6], v[1:2], v[5:6]
	s_waitcnt vmcnt(0)
	v_subrev_nc_u32_e32 v9, s47, v7
	s_delay_alu instid0(VALU_DEP_1) | instskip(NEXT) | instid1(VALU_DEP_1)
	v_mul_lo_u32 v7, 0x89, v9
	v_and_b32_e32 v10, 0x7ff, v7
	s_branch .LBB205_104
.LBB205_103:                            ;   in Loop: Header=BB205_104 Depth=2
	s_or_b32 exec_lo, exec_lo, s5
	s_xor_b32 s5, s6, -1
	s_delay_alu instid0(SALU_CYCLE_1) | instskip(NEXT) | instid1(SALU_CYCLE_1)
	s_and_b32 s5, exec_lo, s5
	s_or_b32 s4, s5, s4
	s_delay_alu instid0(SALU_CYCLE_1)
	s_and_not1_b32 exec_lo, exec_lo, s4
	s_cbranch_execz .LBB205_101
.LBB205_104:                            ;   Parent Loop BB205_102 Depth=1
                                        ; =>  This Loop Header: Depth=2
                                        ;       Child Loop BB205_110 Depth 3
                                        ;       Child Loop BB205_116 Depth 3
	s_delay_alu instid0(VALU_DEP_1)
	v_lshl_add_u32 v7, v10, 2, 0
	s_mov_b32 s5, exec_lo
                                        ; implicit-def: $sgpr6
	ds_load_b32 v8, v7
	s_waitcnt lgkmcnt(0)
	v_cmpx_ne_u32_e64 v8, v9
	s_xor_b32 s5, exec_lo, s5
	s_cbranch_execz .LBB205_114
; %bb.105:                              ;   in Loop: Header=BB205_104 Depth=2
	s_mov_b32 s7, exec_lo
                                        ; implicit-def: $sgpr6
	v_cmpx_ne_u32_e64 s33, v8
	s_xor_b32 s7, exec_lo, s7
; %bb.106:                              ;   in Loop: Header=BB205_104 Depth=2
	v_add_nc_u32_e32 v7, 1, v10
	s_mov_b32 s6, -1
	s_delay_alu instid0(VALU_DEP_1)
	v_and_b32_e32 v10, 0x7ff, v7
                                        ; implicit-def: $vgpr7
; %bb.107:                              ;   in Loop: Header=BB205_104 Depth=2
	s_and_not1_saveexec_b32 s7, s7
	s_cbranch_execz .LBB205_113
; %bb.108:                              ;   in Loop: Header=BB205_104 Depth=2
	v_mov_b32_e32 v8, s33
	s_mov_b32 s9, -1
	s_mov_b32 s8, exec_lo
	ds_cmpstore_rtn_b32 v8, v7, v9, v8
	s_waitcnt lgkmcnt(0)
	v_cmpx_eq_u32_e64 s33, v8
	s_cbranch_execz .LBB205_112
; %bb.109:                              ;   in Loop: Header=BB205_104 Depth=2
	v_lshlrev_b32_e32 v8, 2, v10
	s_mov_b32 s9, 0
	s_delay_alu instid0(VALU_DEP_1)
	v_add_nc_u32_e32 v11, v7, v8
	ds_load_b64 v[7:8], v11 offset:8192
.LBB205_110:                            ;   Parent Loop BB205_102 Depth=1
                                        ;     Parent Loop BB205_104 Depth=2
                                        ; =>    This Inner Loop Header: Depth=3
	s_waitcnt lgkmcnt(0)
	v_add_f64 v[12:13], v[7:8], v[5:6]
	ds_cmpstore_rtn_b64 v[12:13], v11, v[12:13], v[7:8] offset:8192
	s_waitcnt lgkmcnt(0)
	v_cmp_eq_u64_e32 vcc_lo, v[12:13], v[7:8]
	v_dual_mov_b32 v7, v12 :: v_dual_mov_b32 v8, v13
	s_or_b32 s9, vcc_lo, s9
	s_delay_alu instid0(SALU_CYCLE_1)
	s_and_not1_b32 exec_lo, exec_lo, s9
	s_cbranch_execnz .LBB205_110
; %bb.111:                              ;   in Loop: Header=BB205_104 Depth=2
	s_or_b32 exec_lo, exec_lo, s9
	s_delay_alu instid0(SALU_CYCLE_1)
	s_xor_b32 s9, exec_lo, -1
.LBB205_112:                            ;   in Loop: Header=BB205_104 Depth=2
	s_or_b32 exec_lo, exec_lo, s8
	s_delay_alu instid0(SALU_CYCLE_1) | instskip(SKIP_1) | instid1(SALU_CYCLE_1)
	s_and_not1_b32 s6, s6, exec_lo
	s_and_b32 s8, s9, exec_lo
	s_or_b32 s6, s6, s8
.LBB205_113:                            ;   in Loop: Header=BB205_104 Depth=2
	s_or_b32 exec_lo, exec_lo, s7
	s_delay_alu instid0(SALU_CYCLE_1)
	s_and_b32 s6, s6, exec_lo
                                        ; implicit-def: $vgpr7
.LBB205_114:                            ;   in Loop: Header=BB205_104 Depth=2
	s_and_not1_saveexec_b32 s5, s5
	s_cbranch_execz .LBB205_103
; %bb.115:                              ;   in Loop: Header=BB205_104 Depth=2
	v_lshlrev_b32_e32 v8, 2, v10
	s_mov_b32 s7, 0
	s_delay_alu instid0(VALU_DEP_1)
	v_add_nc_u32_e32 v11, v7, v8
	ds_load_b64 v[7:8], v11 offset:8192
.LBB205_116:                            ;   Parent Loop BB205_102 Depth=1
                                        ;     Parent Loop BB205_104 Depth=2
                                        ; =>    This Inner Loop Header: Depth=3
	s_waitcnt lgkmcnt(0)
	v_add_f64 v[12:13], v[7:8], v[5:6]
	ds_cmpstore_rtn_b64 v[12:13], v11, v[12:13], v[7:8] offset:8192
	s_waitcnt lgkmcnt(0)
	v_cmp_eq_u64_e32 vcc_lo, v[12:13], v[7:8]
	v_dual_mov_b32 v7, v12 :: v_dual_mov_b32 v8, v13
	s_or_b32 s7, vcc_lo, s7
	s_delay_alu instid0(SALU_CYCLE_1)
	s_and_not1_b32 exec_lo, exec_lo, s7
	s_cbranch_execnz .LBB205_116
; %bb.117:                              ;   in Loop: Header=BB205_104 Depth=2
	s_or_b32 exec_lo, exec_lo, s7
	s_delay_alu instid0(SALU_CYCLE_1)
	s_and_not1_b32 s6, s6, exec_lo
	s_branch .LBB205_103
.LBB205_118:
	s_or_b32 exec_lo, exec_lo, s35
	s_ashr_i32 s35, s34, 31
	s_mov_b32 s4, exec_lo
	s_lshl_b64 s[0:1], s[34:35], 3
	s_delay_alu instid0(SALU_CYCLE_1) | instskip(SKIP_4) | instid1(SALU_CYCLE_1)
	s_add_u32 s0, s42, s0
	s_addc_u32 s1, s43, s1
	s_load_b128 s[0:3], s[0:1], 0x0
	s_waitcnt lgkmcnt(0)
	s_sub_i32 s3, s2, s0
	v_cmpx_gt_i32_e64 s3, v0
	s_cbranch_execz .LBB205_128
; %bb.119:
	s_sub_u32 s4, s0, s46
	s_subb_u32 s5, s1, 0
	s_sub_i32 s0, s0, s2
	s_and_b32 s1, s3, 7
	s_cmp_lt_u32 s0, -7
	s_mov_b32 s8, 0
	s_cselect_b32 s2, -1, 0
	s_and_b32 s6, s3, -8
	s_cmp_lg_u32 s1, 0
	s_cselect_b32 s7, -1, 0
	s_branch .LBB205_121
.LBB205_120:                            ;   in Loop: Header=BB205_121 Depth=1
	s_delay_alu instid0(VALU_DEP_1) | instskip(SKIP_4) | instid1(VALU_DEP_4)
	v_lshlrev_b64 v[6:7], 2, v[3:4]
	v_lshlrev_b64 v[3:4], 3, v[3:4]
	v_add_nc_u32_e32 v0, 0x400, v0
	s_waitcnt lgkmcnt(1)
	v_add_nc_u32_e32 v8, s46, v5
	v_add_co_u32 v5, vcc_lo, s48, v6
	v_add_co_ci_u32_e32 v6, vcc_lo, s49, v7, vcc_lo
	v_cmp_le_i32_e32 vcc_lo, s3, v0
	v_add_co_u32 v3, s0, s50, v3
	s_delay_alu instid0(VALU_DEP_1)
	v_add_co_ci_u32_e64 v4, s0, s51, v4, s0
	s_or_b32 s8, vcc_lo, s8
	global_store_b32 v[5:6], v8, off
	s_waitcnt lgkmcnt(0)
	global_store_b64 v[3:4], v[1:2], off
	s_and_not1_b32 exec_lo, exec_lo, s8
	s_cbranch_execz .LBB205_128
.LBB205_121:                            ; =>This Loop Header: Depth=1
                                        ;     Child Loop BB205_123 Depth 2
                                        ;     Child Loop BB205_127 Depth 2
	v_lshlrev_b32_e32 v1, 2, v0
	v_dual_mov_b32 v3, s4 :: v_dual_mov_b32 v4, s5
	s_and_not1_b32 vcc_lo, exec_lo, s2
	s_mov_b32 s0, 0
	s_delay_alu instid0(VALU_DEP_2) | instskip(NEXT) | instid1(VALU_DEP_1)
	v_add_nc_u32_e32 v2, 0, v1
	v_add_nc_u32_e32 v1, v2, v1
	ds_load_b32 v5, v2
	ds_load_b64 v[1:2], v1 offset:8192
	s_cbranch_vccnz .LBB205_125
; %bb.122:                              ;   in Loop: Header=BB205_121 Depth=1
	v_dual_mov_b32 v3, s4 :: v_dual_mov_b32 v4, s5
	s_mov_b32 s9, 0
	s_mov_b32 s10, 0
.LBB205_123:                            ;   Parent Loop BB205_121 Depth=1
                                        ; =>  This Inner Loop Header: Depth=2
	s_delay_alu instid0(SALU_CYCLE_1)
	v_mov_b32_e32 v12, s10
	s_add_i32 s9, s9, 8
	s_add_i32 s10, s10, 32
	s_cmp_eq_u32 s6, s9
	ds_load_2addr_b32 v[6:7], v12 offset1:1
	ds_load_2addr_b32 v[8:9], v12 offset0:2 offset1:3
	ds_load_2addr_b32 v[10:11], v12 offset0:4 offset1:5
	;; [unrolled: 1-line block ×3, first 2 shown]
	s_waitcnt lgkmcnt(3)
	v_cmp_gt_i32_e32 vcc_lo, v5, v6
	v_cndmask_b32_e64 v6, 0, 1, vcc_lo
	v_cmp_gt_i32_e32 vcc_lo, v5, v7
	v_cndmask_b32_e64 v7, 0, 1, vcc_lo
	s_waitcnt lgkmcnt(2)
	v_cmp_gt_i32_e32 vcc_lo, v5, v8
	v_cndmask_b32_e64 v8, 0, 1, vcc_lo
	v_cmp_gt_i32_e32 vcc_lo, v5, v9
	v_cndmask_b32_e64 v9, 0, 1, vcc_lo
	s_waitcnt lgkmcnt(1)
	v_cmp_gt_i32_e32 vcc_lo, v5, v10
	v_cndmask_b32_e64 v10, 0, 1, vcc_lo
	v_add_co_u32 v3, vcc_lo, v3, v6
	v_add_co_ci_u32_e32 v4, vcc_lo, 0, v4, vcc_lo
	v_cmp_gt_i32_e32 vcc_lo, v5, v11
	s_delay_alu instid0(VALU_DEP_3) | instskip(NEXT) | instid1(VALU_DEP_1)
	v_add_co_u32 v3, s0, v3, v7
	v_add_co_ci_u32_e64 v4, s0, 0, v4, s0
	v_cndmask_b32_e64 v6, 0, 1, vcc_lo
	s_delay_alu instid0(VALU_DEP_3) | instskip(NEXT) | instid1(VALU_DEP_3)
	v_add_co_u32 v3, vcc_lo, v3, v8
	v_add_co_ci_u32_e32 v4, vcc_lo, 0, v4, vcc_lo
	s_waitcnt lgkmcnt(0)
	v_cmp_gt_i32_e32 vcc_lo, v5, v12
	s_delay_alu instid0(VALU_DEP_3) | instskip(NEXT) | instid1(VALU_DEP_1)
	v_add_co_u32 v3, s0, v3, v9
	v_add_co_ci_u32_e64 v4, s0, 0, v4, s0
	v_cndmask_b32_e64 v7, 0, 1, vcc_lo
	s_delay_alu instid0(VALU_DEP_3) | instskip(NEXT) | instid1(VALU_DEP_3)
	v_add_co_u32 v3, vcc_lo, v3, v10
	v_add_co_ci_u32_e32 v4, vcc_lo, 0, v4, vcc_lo
	v_cmp_gt_i32_e32 vcc_lo, v5, v13
	s_delay_alu instid0(VALU_DEP_3) | instskip(NEXT) | instid1(VALU_DEP_1)
	v_add_co_u32 v3, s0, v3, v6
	v_add_co_ci_u32_e64 v4, s0, 0, v4, s0
	v_cndmask_b32_e64 v6, 0, 1, vcc_lo
	s_delay_alu instid0(VALU_DEP_3) | instskip(NEXT) | instid1(VALU_DEP_3)
	v_add_co_u32 v3, vcc_lo, v3, v7
	v_add_co_ci_u32_e32 v4, vcc_lo, 0, v4, vcc_lo
	s_delay_alu instid0(VALU_DEP_2) | instskip(NEXT) | instid1(VALU_DEP_2)
	v_add_co_u32 v3, vcc_lo, v3, v6
	v_add_co_ci_u32_e32 v4, vcc_lo, 0, v4, vcc_lo
	s_cbranch_scc0 .LBB205_123
; %bb.124:                              ;   in Loop: Header=BB205_121 Depth=1
	s_mov_b32 s0, s6
.LBB205_125:                            ;   in Loop: Header=BB205_121 Depth=1
	s_and_not1_b32 vcc_lo, exec_lo, s7
	s_cbranch_vccnz .LBB205_120
; %bb.126:                              ;   in Loop: Header=BB205_121 Depth=1
	s_lshl_b32 s0, s0, 2
	s_mov_b32 s9, s1
	s_add_i32 s0, s0, 0
.LBB205_127:                            ;   Parent Loop BB205_121 Depth=1
                                        ; =>  This Inner Loop Header: Depth=2
	s_delay_alu instid0(SALU_CYCLE_1)
	v_mov_b32_e32 v6, s0
	s_add_i32 s9, s9, -1
	s_add_i32 s0, s0, 4
	s_cmp_lg_u32 s9, 0
	ds_load_b32 v6, v6
	s_waitcnt lgkmcnt(0)
	v_cmp_gt_i32_e32 vcc_lo, v5, v6
	v_cndmask_b32_e64 v6, 0, 1, vcc_lo
	s_delay_alu instid0(VALU_DEP_1)
	v_add_co_u32 v3, vcc_lo, v3, v6
	v_add_co_ci_u32_e32 v4, vcc_lo, 0, v4, vcc_lo
	s_cbranch_scc1 .LBB205_127
	s_branch .LBB205_120
.LBB205_128:
	s_nop 0
	s_sendmsg sendmsg(MSG_DEALLOC_VGPRS)
	s_endpgm
	.section	.rodata,"a",@progbits
	.p2align	6, 0x0
	.amdhsa_kernel _ZN9rocsparseL26csrgemm_fill_block_per_rowILj1024ELj32ELj2048ELj137ELj32ElidEEvT5_PKS1_S3_NS_24const_host_device_scalarIT6_EEPKT4_S3_PKS5_S9_S3_SB_S6_S9_S3_SB_S9_PS1_PS5_21rocsparse_index_base_SE_SE_SE_bbb
		.amdhsa_group_segment_fixed_size 0
		.amdhsa_private_segment_fixed_size 0
		.amdhsa_kernarg_size 156
		.amdhsa_user_sgpr_count 15
		.amdhsa_user_sgpr_dispatch_ptr 0
		.amdhsa_user_sgpr_queue_ptr 0
		.amdhsa_user_sgpr_kernarg_segment_ptr 1
		.amdhsa_user_sgpr_dispatch_id 0
		.amdhsa_user_sgpr_private_segment_size 0
		.amdhsa_wavefront_size32 1
		.amdhsa_uses_dynamic_stack 0
		.amdhsa_enable_private_segment 0
		.amdhsa_system_sgpr_workgroup_id_x 1
		.amdhsa_system_sgpr_workgroup_id_y 0
		.amdhsa_system_sgpr_workgroup_id_z 0
		.amdhsa_system_sgpr_workgroup_info 0
		.amdhsa_system_vgpr_workitem_id 0
		.amdhsa_next_free_vgpr 28
		.amdhsa_next_free_sgpr 52
		.amdhsa_reserve_vcc 1
		.amdhsa_float_round_mode_32 0
		.amdhsa_float_round_mode_16_64 0
		.amdhsa_float_denorm_mode_32 3
		.amdhsa_float_denorm_mode_16_64 3
		.amdhsa_dx10_clamp 1
		.amdhsa_ieee_mode 1
		.amdhsa_fp16_overflow 0
		.amdhsa_workgroup_processor_mode 1
		.amdhsa_memory_ordered 1
		.amdhsa_forward_progress 0
		.amdhsa_shared_vgpr_count 0
		.amdhsa_exception_fp_ieee_invalid_op 0
		.amdhsa_exception_fp_denorm_src 0
		.amdhsa_exception_fp_ieee_div_zero 0
		.amdhsa_exception_fp_ieee_overflow 0
		.amdhsa_exception_fp_ieee_underflow 0
		.amdhsa_exception_fp_ieee_inexact 0
		.amdhsa_exception_int_div_zero 0
	.end_amdhsa_kernel
	.section	.text._ZN9rocsparseL26csrgemm_fill_block_per_rowILj1024ELj32ELj2048ELj137ELj32ElidEEvT5_PKS1_S3_NS_24const_host_device_scalarIT6_EEPKT4_S3_PKS5_S9_S3_SB_S6_S9_S3_SB_S9_PS1_PS5_21rocsparse_index_base_SE_SE_SE_bbb,"axG",@progbits,_ZN9rocsparseL26csrgemm_fill_block_per_rowILj1024ELj32ELj2048ELj137ELj32ElidEEvT5_PKS1_S3_NS_24const_host_device_scalarIT6_EEPKT4_S3_PKS5_S9_S3_SB_S6_S9_S3_SB_S9_PS1_PS5_21rocsparse_index_base_SE_SE_SE_bbb,comdat
.Lfunc_end205:
	.size	_ZN9rocsparseL26csrgemm_fill_block_per_rowILj1024ELj32ELj2048ELj137ELj32ElidEEvT5_PKS1_S3_NS_24const_host_device_scalarIT6_EEPKT4_S3_PKS5_S9_S3_SB_S6_S9_S3_SB_S9_PS1_PS5_21rocsparse_index_base_SE_SE_SE_bbb, .Lfunc_end205-_ZN9rocsparseL26csrgemm_fill_block_per_rowILj1024ELj32ELj2048ELj137ELj32ElidEEvT5_PKS1_S3_NS_24const_host_device_scalarIT6_EEPKT4_S3_PKS5_S9_S3_SB_S6_S9_S3_SB_S9_PS1_PS5_21rocsparse_index_base_SE_SE_SE_bbb
                                        ; -- End function
	.section	.AMDGPU.csdata,"",@progbits
; Kernel info:
; codeLenInByte = 4600
; NumSgprs: 54
; NumVgprs: 28
; ScratchSize: 0
; MemoryBound: 0
; FloatMode: 240
; IeeeMode: 1
; LDSByteSize: 0 bytes/workgroup (compile time only)
; SGPRBlocks: 6
; VGPRBlocks: 3
; NumSGPRsForWavesPerEU: 54
; NumVGPRsForWavesPerEU: 28
; Occupancy: 16
; WaveLimiterHint : 1
; COMPUTE_PGM_RSRC2:SCRATCH_EN: 0
; COMPUTE_PGM_RSRC2:USER_SGPR: 15
; COMPUTE_PGM_RSRC2:TRAP_HANDLER: 0
; COMPUTE_PGM_RSRC2:TGID_X_EN: 1
; COMPUTE_PGM_RSRC2:TGID_Y_EN: 0
; COMPUTE_PGM_RSRC2:TGID_Z_EN: 0
; COMPUTE_PGM_RSRC2:TIDIG_COMP_CNT: 0
	.section	.text._ZN9rocsparseL26csrgemm_fill_block_per_rowILj1024ELj32ELj2048ELj137ELj64ElidEEvT5_PKS1_S3_NS_24const_host_device_scalarIT6_EEPKT4_S3_PKS5_S9_S3_SB_S6_S9_S3_SB_S9_PS1_PS5_21rocsparse_index_base_SE_SE_SE_bbb,"axG",@progbits,_ZN9rocsparseL26csrgemm_fill_block_per_rowILj1024ELj32ELj2048ELj137ELj64ElidEEvT5_PKS1_S3_NS_24const_host_device_scalarIT6_EEPKT4_S3_PKS5_S9_S3_SB_S6_S9_S3_SB_S9_PS1_PS5_21rocsparse_index_base_SE_SE_SE_bbb,comdat
	.globl	_ZN9rocsparseL26csrgemm_fill_block_per_rowILj1024ELj32ELj2048ELj137ELj64ElidEEvT5_PKS1_S3_NS_24const_host_device_scalarIT6_EEPKT4_S3_PKS5_S9_S3_SB_S6_S9_S3_SB_S9_PS1_PS5_21rocsparse_index_base_SE_SE_SE_bbb ; -- Begin function _ZN9rocsparseL26csrgemm_fill_block_per_rowILj1024ELj32ELj2048ELj137ELj64ElidEEvT5_PKS1_S3_NS_24const_host_device_scalarIT6_EEPKT4_S3_PKS5_S9_S3_SB_S6_S9_S3_SB_S9_PS1_PS5_21rocsparse_index_base_SE_SE_SE_bbb
	.p2align	8
	.type	_ZN9rocsparseL26csrgemm_fill_block_per_rowILj1024ELj32ELj2048ELj137ELj64ElidEEvT5_PKS1_S3_NS_24const_host_device_scalarIT6_EEPKT4_S3_PKS5_S9_S3_SB_S6_S9_S3_SB_S9_PS1_PS5_21rocsparse_index_base_SE_SE_SE_bbb,@function
_ZN9rocsparseL26csrgemm_fill_block_per_rowILj1024ELj32ELj2048ELj137ELj64ElidEEvT5_PKS1_S3_NS_24const_host_device_scalarIT6_EEPKT4_S3_PKS5_S9_S3_SB_S6_S9_S3_SB_S9_PS1_PS5_21rocsparse_index_base_SE_SE_SE_bbb: ; @_ZN9rocsparseL26csrgemm_fill_block_per_rowILj1024ELj32ELj2048ELj137ELj64ElidEEvT5_PKS1_S3_NS_24const_host_device_scalarIT6_EEPKT4_S3_PKS5_S9_S3_SB_S6_S9_S3_SB_S9_PS1_PS5_21rocsparse_index_base_SE_SE_SE_bbb
; %bb.0:
	s_clause 0x3
	s_load_b32 s12, s[0:1], 0x98
	s_load_b64 s[4:5], s[0:1], 0x18
	s_load_b128 s[24:27], s[0:1], 0x88
	s_load_b64 s[2:3], s[0:1], 0x50
	s_waitcnt lgkmcnt(0)
	s_and_b32 s6, 1, s12
	s_bitcmp1_b32 s12, 16
	s_cselect_b32 s14, -1, 0
	s_cmp_eq_u32 s6, 1
	s_cselect_b32 s13, -1, 0
	s_delay_alu instid0(SALU_CYCLE_1)
	s_and_b32 s6, s13, exec_lo
	s_cselect_b32 s7, s5, 0
	s_cselect_b32 s6, s4, 0
	s_xor_b32 s8, s13, -1
	v_dual_mov_b32 v3, s6 :: v_dual_mov_b32 v4, s7
	s_or_b32 s8, s8, s14
	s_delay_alu instid0(SALU_CYCLE_1)
	s_and_b32 vcc_lo, exec_lo, s8
	s_cbranch_vccnz .LBB206_2
; %bb.1:
	v_dual_mov_b32 v1, s4 :: v_dual_mov_b32 v2, s5
	flat_load_b64 v[3:4], v[1:2]
.LBB206_2:
	s_clause 0x4
	s_load_b128 s[28:31], s[0:1], 0x78
	s_load_b256 s[16:23], s[0:1], 0x58
	s_load_b128 s[36:39], s[0:1], 0x40
	s_load_b128 s[40:43], s[0:1], 0x8
	s_load_b256 s[4:11], s[0:1], 0x20
	s_bitcmp1_b32 s12, 8
	s_cselect_b32 s12, -1, 0
	s_delay_alu instid0(SALU_CYCLE_1)
	s_and_b32 s33, s12, exec_lo
	s_cselect_b32 s35, s3, 0
	s_cselect_b32 s34, s2, 0
	s_xor_b32 s33, s12, -1
	v_dual_mov_b32 v1, s34 :: v_dual_mov_b32 v2, s35
	s_or_b32 s14, s33, s14
	s_delay_alu instid0(SALU_CYCLE_1)
	s_and_b32 vcc_lo, exec_lo, s14
	s_cbranch_vccnz .LBB206_4
; %bb.3:
	v_dual_mov_b32 v1, s2 :: v_dual_mov_b32 v2, s3
	flat_load_b64 v[1:2], v[1:2]
.LBB206_4:
	s_load_b32 s33, s[0:1], 0x0
	v_dual_mov_b32 v5, 0 :: v_dual_lshlrev_b32 v6, 3, v0
	v_lshl_add_u32 v17, v0, 2, 0
	v_or_b32_e32 v18, 0xfffffc00, v0
	s_mov_b32 s0, 0
	s_delay_alu instid0(VALU_DEP_3) | instskip(SKIP_1) | instid1(VALU_DEP_3)
	v_add3_u32 v19, v6, 0, 0x2000
	v_mov_b32_e32 v6, v5
	v_dual_mov_b32 v7, v17 :: v_dual_mov_b32 v8, v18
	s_waitcnt lgkmcnt(0)
	s_delay_alu instid0(VALU_DEP_3)
	v_dual_mov_b32 v10, v19 :: v_dual_mov_b32 v9, s33
.LBB206_5:                              ; =>This Inner Loop Header: Depth=1
	s_delay_alu instid0(VALU_DEP_2) | instskip(NEXT) | instid1(VALU_DEP_1)
	v_add_co_u32 v8, s1, 0x400, v8
	s_xor_b32 s1, s1, -1
	ds_store_b32 v7, v9
	ds_store_b64 v10, v[5:6]
	v_add_nc_u32_e32 v10, 0x2000, v10
	v_add_nc_u32_e32 v7, 0x1000, v7
	s_and_b32 s1, exec_lo, s1
	s_delay_alu instid0(SALU_CYCLE_1) | instskip(NEXT) | instid1(SALU_CYCLE_1)
	s_or_b32 s0, s1, s0
	s_and_not1_b32 exec_lo, exec_lo, s0
	s_cbranch_execnz .LBB206_5
; %bb.6:
	s_or_b32 exec_lo, exec_lo, s0
	s_waitcnt vmcnt(0) lgkmcnt(0)
	s_barrier
	buffer_gl0_inv
	s_load_b32 s0, s[40:41], 0x0
	s_mov_b32 s1, 0
	s_waitcnt lgkmcnt(0)
	s_add_i32 s0, s0, s15
	s_delay_alu instid0(SALU_CYCLE_1) | instskip(NEXT) | instid1(SALU_CYCLE_1)
	s_lshl_b64 s[0:1], s[0:1], 2
	s_add_u32 s0, s42, s0
	s_addc_u32 s1, s43, s1
	s_and_b32 vcc_lo, exec_lo, s13
	s_load_b32 s34, s[0:1], 0x0
	s_cbranch_vccz .LBB206_30
; %bb.7:
	s_waitcnt lgkmcnt(0)
	s_ashr_i32 s35, s34, 31
	v_lshrrev_b32_e32 v5, 5, v0
	s_lshl_b64 s[0:1], s[34:35], 3
	s_delay_alu instid0(SALU_CYCLE_1) | instskip(SKIP_1) | instid1(VALU_DEP_1)
	s_add_u32 s0, s4, s0
	s_addc_u32 s1, s5, s1
	v_sub_co_u32 v5, s4, v5, s24
	s_load_b128 s[0:3], s[0:1], 0x0
	v_sub_co_ci_u32_e64 v6, null, 0, 0, s4
	s_waitcnt lgkmcnt(0)
	s_delay_alu instid0(VALU_DEP_2) | instskip(NEXT) | instid1(VALU_DEP_2)
	v_add_co_u32 v5, vcc_lo, s0, v5
	v_add_co_ci_u32_e32 v6, vcc_lo, s1, v6, vcc_lo
	s_sub_u32 s0, s2, s24
	s_subb_u32 s1, s3, 0
	s_mov_b32 s2, exec_lo
	s_delay_alu instid0(VALU_DEP_1)
	v_cmpx_gt_i64_e64 s[0:1], v[5:6]
	s_cbranch_execz .LBB206_29
; %bb.8:
	v_and_b32_e32 v7, 31, v0
	s_mov_b32 s4, s25
	s_delay_alu instid0(VALU_DEP_1) | instskip(NEXT) | instid1(VALU_DEP_1)
	v_sub_co_u32 v20, s3, v7, s25
	v_sub_co_ci_u32_e64 v21, null, 0, 0, s3
	s_mov_b32 s3, 0
	s_branch .LBB206_10
.LBB206_9:                              ;   in Loop: Header=BB206_10 Depth=1
	s_or_b32 exec_lo, exec_lo, s5
	v_add_co_u32 v5, vcc_lo, v5, 32
	v_add_co_ci_u32_e32 v6, vcc_lo, 0, v6, vcc_lo
	s_delay_alu instid0(VALU_DEP_1) | instskip(SKIP_1) | instid1(SALU_CYCLE_1)
	v_cmp_le_i64_e32 vcc_lo, s[0:1], v[5:6]
	s_or_b32 s3, vcc_lo, s3
	s_and_not1_b32 exec_lo, exec_lo, s3
	s_cbranch_execz .LBB206_29
.LBB206_10:                             ; =>This Loop Header: Depth=1
                                        ;     Child Loop BB206_13 Depth 2
                                        ;       Child Loop BB206_15 Depth 3
                                        ;         Child Loop BB206_21 Depth 4
                                        ;         Child Loop BB206_27 Depth 4
	v_lshlrev_b64 v[7:8], 2, v[5:6]
	s_mov_b32 s5, exec_lo
	s_delay_alu instid0(VALU_DEP_1) | instskip(NEXT) | instid1(VALU_DEP_2)
	v_add_co_u32 v7, vcc_lo, s6, v7
	v_add_co_ci_u32_e32 v8, vcc_lo, s7, v8, vcc_lo
	global_load_b32 v7, v[7:8], off
	s_waitcnt vmcnt(0)
	v_subrev_nc_u32_e32 v7, s24, v7
	s_delay_alu instid0(VALU_DEP_1) | instskip(NEXT) | instid1(VALU_DEP_1)
	v_ashrrev_i32_e32 v8, 31, v7
	v_lshlrev_b64 v[7:8], 3, v[7:8]
	s_delay_alu instid0(VALU_DEP_1) | instskip(NEXT) | instid1(VALU_DEP_2)
	v_add_co_u32 v7, vcc_lo, s10, v7
	v_add_co_ci_u32_e32 v8, vcc_lo, s11, v8, vcc_lo
	global_load_b128 v[9:12], v[7:8], off
	s_waitcnt vmcnt(0)
	v_sub_co_u32 v7, vcc_lo, v11, s4
	v_subrev_co_ci_u32_e32 v8, vcc_lo, 0, v12, vcc_lo
	v_add_co_u32 v9, vcc_lo, v9, v20
	v_add_co_ci_u32_e32 v10, vcc_lo, v10, v21, vcc_lo
	s_delay_alu instid0(VALU_DEP_1)
	v_cmpx_lt_i64_e64 v[9:10], v[7:8]
	s_cbranch_execz .LBB206_9
; %bb.11:                               ;   in Loop: Header=BB206_10 Depth=1
	v_lshlrev_b64 v[11:12], 3, v[5:6]
	s_mov_b32 s13, 0
	s_delay_alu instid0(VALU_DEP_1) | instskip(NEXT) | instid1(VALU_DEP_2)
	v_add_co_u32 v11, vcc_lo, s8, v11
	v_add_co_ci_u32_e32 v12, vcc_lo, s9, v12, vcc_lo
	global_load_b64 v[11:12], v[11:12], off
	s_waitcnt vmcnt(0)
	v_mul_f64 v[11:12], v[3:4], v[11:12]
	s_branch .LBB206_13
.LBB206_12:                             ;   in Loop: Header=BB206_13 Depth=2
	s_or_b32 exec_lo, exec_lo, s14
	v_add_co_u32 v9, vcc_lo, v9, 32
	v_add_co_ci_u32_e32 v10, vcc_lo, 0, v10, vcc_lo
	s_delay_alu instid0(VALU_DEP_1) | instskip(SKIP_1) | instid1(SALU_CYCLE_1)
	v_cmp_ge_i64_e32 vcc_lo, v[9:10], v[7:8]
	s_or_b32 s13, vcc_lo, s13
	s_and_not1_b32 exec_lo, exec_lo, s13
	s_cbranch_execz .LBB206_9
.LBB206_13:                             ;   Parent Loop BB206_10 Depth=1
                                        ; =>  This Loop Header: Depth=2
                                        ;       Child Loop BB206_15 Depth 3
                                        ;         Child Loop BB206_21 Depth 4
                                        ;         Child Loop BB206_27 Depth 4
	v_lshlrev_b64 v[13:14], 3, v[9:10]
	v_lshlrev_b64 v[15:16], 2, v[9:10]
	s_mov_b32 s14, 0
	s_delay_alu instid0(VALU_DEP_2) | instskip(NEXT) | instid1(VALU_DEP_3)
	v_add_co_u32 v13, vcc_lo, s38, v13
	v_add_co_ci_u32_e32 v14, vcc_lo, s39, v14, vcc_lo
	s_delay_alu instid0(VALU_DEP_3) | instskip(NEXT) | instid1(VALU_DEP_4)
	v_add_co_u32 v15, vcc_lo, s36, v15
	v_add_co_ci_u32_e32 v16, vcc_lo, s37, v16, vcc_lo
	global_load_b64 v[13:14], v[13:14], off
	global_load_b32 v15, v[15:16], off
	s_waitcnt vmcnt(1)
	v_mul_f64 v[13:14], v[11:12], v[13:14]
	s_waitcnt vmcnt(0)
	v_subrev_nc_u32_e32 v22, s25, v15
	s_delay_alu instid0(VALU_DEP_1) | instskip(NEXT) | instid1(VALU_DEP_1)
	v_mul_lo_u32 v15, 0x89, v22
	v_and_b32_e32 v23, 0x7ff, v15
	s_branch .LBB206_15
.LBB206_14:                             ;   in Loop: Header=BB206_15 Depth=3
	s_or_b32 exec_lo, exec_lo, s15
	s_xor_b32 s15, s35, -1
	s_delay_alu instid0(SALU_CYCLE_1) | instskip(NEXT) | instid1(SALU_CYCLE_1)
	s_and_b32 s15, exec_lo, s15
	s_or_b32 s14, s15, s14
	s_delay_alu instid0(SALU_CYCLE_1)
	s_and_not1_b32 exec_lo, exec_lo, s14
	s_cbranch_execz .LBB206_12
.LBB206_15:                             ;   Parent Loop BB206_10 Depth=1
                                        ;     Parent Loop BB206_13 Depth=2
                                        ; =>    This Loop Header: Depth=3
                                        ;         Child Loop BB206_21 Depth 4
                                        ;         Child Loop BB206_27 Depth 4
	s_delay_alu instid0(VALU_DEP_1)
	v_lshl_add_u32 v15, v23, 2, 0
	s_mov_b32 s15, exec_lo
                                        ; implicit-def: $sgpr35
	ds_load_b32 v16, v15
	s_waitcnt lgkmcnt(0)
	v_cmpx_ne_u32_e64 v16, v22
	s_xor_b32 s15, exec_lo, s15
	s_cbranch_execz .LBB206_25
; %bb.16:                               ;   in Loop: Header=BB206_15 Depth=3
	s_mov_b32 s40, exec_lo
                                        ; implicit-def: $sgpr35
	v_cmpx_ne_u32_e64 s33, v16
	s_xor_b32 s40, exec_lo, s40
; %bb.17:                               ;   in Loop: Header=BB206_15 Depth=3
	v_add_nc_u32_e32 v15, 1, v23
	s_mov_b32 s35, -1
	s_delay_alu instid0(VALU_DEP_1)
	v_and_b32_e32 v23, 0x7ff, v15
                                        ; implicit-def: $vgpr15
; %bb.18:                               ;   in Loop: Header=BB206_15 Depth=3
	s_and_not1_saveexec_b32 s40, s40
	s_cbranch_execz .LBB206_24
; %bb.19:                               ;   in Loop: Header=BB206_15 Depth=3
	v_mov_b32_e32 v16, s33
	s_mov_b32 s42, -1
	s_mov_b32 s41, exec_lo
	ds_cmpstore_rtn_b32 v16, v15, v22, v16
	s_waitcnt lgkmcnt(0)
	v_cmpx_eq_u32_e64 s33, v16
	s_cbranch_execz .LBB206_23
; %bb.20:                               ;   in Loop: Header=BB206_15 Depth=3
	v_lshlrev_b32_e32 v16, 2, v23
	s_mov_b32 s42, 0
	s_delay_alu instid0(VALU_DEP_1)
	v_add_nc_u32_e32 v24, v15, v16
	ds_load_b64 v[15:16], v24 offset:8192
.LBB206_21:                             ;   Parent Loop BB206_10 Depth=1
                                        ;     Parent Loop BB206_13 Depth=2
                                        ;       Parent Loop BB206_15 Depth=3
                                        ; =>      This Inner Loop Header: Depth=4
	s_waitcnt lgkmcnt(0)
	v_add_f64 v[25:26], v[15:16], v[13:14]
	ds_cmpstore_rtn_b64 v[25:26], v24, v[25:26], v[15:16] offset:8192
	s_waitcnt lgkmcnt(0)
	v_cmp_eq_u64_e32 vcc_lo, v[25:26], v[15:16]
	v_dual_mov_b32 v15, v25 :: v_dual_mov_b32 v16, v26
	s_or_b32 s42, vcc_lo, s42
	s_delay_alu instid0(SALU_CYCLE_1)
	s_and_not1_b32 exec_lo, exec_lo, s42
	s_cbranch_execnz .LBB206_21
; %bb.22:                               ;   in Loop: Header=BB206_15 Depth=3
	s_or_b32 exec_lo, exec_lo, s42
	s_delay_alu instid0(SALU_CYCLE_1)
	s_xor_b32 s42, exec_lo, -1
.LBB206_23:                             ;   in Loop: Header=BB206_15 Depth=3
	s_or_b32 exec_lo, exec_lo, s41
	s_delay_alu instid0(SALU_CYCLE_1) | instskip(SKIP_1) | instid1(SALU_CYCLE_1)
	s_and_not1_b32 s35, s35, exec_lo
	s_and_b32 s41, s42, exec_lo
	s_or_b32 s35, s35, s41
.LBB206_24:                             ;   in Loop: Header=BB206_15 Depth=3
	s_or_b32 exec_lo, exec_lo, s40
	s_delay_alu instid0(SALU_CYCLE_1)
	s_and_b32 s35, s35, exec_lo
                                        ; implicit-def: $vgpr15
.LBB206_25:                             ;   in Loop: Header=BB206_15 Depth=3
	s_and_not1_saveexec_b32 s15, s15
	s_cbranch_execz .LBB206_14
; %bb.26:                               ;   in Loop: Header=BB206_15 Depth=3
	v_lshlrev_b32_e32 v16, 2, v23
	s_mov_b32 s40, 0
	s_delay_alu instid0(VALU_DEP_1)
	v_add_nc_u32_e32 v24, v15, v16
	ds_load_b64 v[15:16], v24 offset:8192
.LBB206_27:                             ;   Parent Loop BB206_10 Depth=1
                                        ;     Parent Loop BB206_13 Depth=2
                                        ;       Parent Loop BB206_15 Depth=3
                                        ; =>      This Inner Loop Header: Depth=4
	s_waitcnt lgkmcnt(0)
	v_add_f64 v[25:26], v[15:16], v[13:14]
	ds_cmpstore_rtn_b64 v[25:26], v24, v[25:26], v[15:16] offset:8192
	s_waitcnt lgkmcnt(0)
	v_cmp_eq_u64_e32 vcc_lo, v[25:26], v[15:16]
	v_dual_mov_b32 v15, v25 :: v_dual_mov_b32 v16, v26
	s_or_b32 s40, vcc_lo, s40
	s_delay_alu instid0(SALU_CYCLE_1)
	s_and_not1_b32 exec_lo, exec_lo, s40
	s_cbranch_execnz .LBB206_27
; %bb.28:                               ;   in Loop: Header=BB206_15 Depth=3
	s_or_b32 exec_lo, exec_lo, s40
	s_delay_alu instid0(SALU_CYCLE_1)
	s_and_not1_b32 s35, s35, exec_lo
	s_branch .LBB206_14
.LBB206_29:
	s_or_b32 exec_lo, exec_lo, s2
.LBB206_30:
	s_delay_alu instid0(SALU_CYCLE_1)
	s_and_not1_b32 vcc_lo, exec_lo, s12
	s_cbranch_vccnz .LBB206_33
; %bb.31:
	s_waitcnt lgkmcnt(0)
	s_ashr_i32 s35, s34, 31
	v_sub_co_u32 v3, s4, v0, s27
	s_lshl_b64 s[0:1], s[34:35], 3
	v_sub_co_ci_u32_e64 v4, null, 0, 0, s4
	s_add_u32 s0, s16, s0
	s_addc_u32 s1, s17, s1
	s_load_b128 s[0:3], s[0:1], 0x0
	s_waitcnt lgkmcnt(0)
	v_add_co_u32 v3, vcc_lo, s0, v3
	v_add_co_ci_u32_e32 v4, vcc_lo, s1, v4, vcc_lo
	s_sub_u32 s0, s2, s27
	s_subb_u32 s1, s3, 0
	s_mov_b32 s3, 0
	s_mov_b32 s2, exec_lo
	v_cmpx_gt_i64_e64 s[0:1], v[3:4]
	s_cbranch_execnz .LBB206_70
.LBB206_32:
	s_or_b32 exec_lo, exec_lo, s2
.LBB206_33:
	v_mbcnt_lo_u32_b32 v1, -1, 0
	v_lshrrev_b32_e32 v2, 4, v0
	v_cmp_eq_u32_e32 vcc_lo, 0x3ff, v0
	v_cmp_lt_u32_e64 s0, 63, v0
	v_cmp_lt_u32_e64 s1, 0x7f, v0
	v_xor_b32_e32 v1, 63, v1
	v_dual_mov_b32 v6, 0 :: v_dual_and_b32 v3, 60, v2
	v_cmp_lt_u32_e64 s2, 0xbf, v0
	v_cmp_lt_u32_e64 s3, 0xff, v0
	s_delay_alu instid0(VALU_DEP_4) | instskip(NEXT) | instid1(VALU_DEP_4)
	v_lshrrev_b64 v[1:2], v1, -1
	v_dual_mov_b32 v5, 0 :: v_dual_add_nc_u32 v4, 0, v3
	v_cmp_lt_u32_e64 s4, 0x13f, v0
	v_cmp_lt_u32_e64 s5, 0x17f, v0
	v_cmp_lt_u32_e64 s6, 0x1bf, v0
	v_cmp_lt_u32_e64 s7, 0x1ff, v0
	v_cmp_lt_u32_e64 s8, 0x23f, v0
	v_cmp_lt_u32_e64 s9, 0x27f, v0
	v_cmp_lt_u32_e64 s10, 0x2bf, v0
	v_cmp_lt_u32_e64 s11, 0x2ff, v0
	v_cmp_lt_u32_e64 s12, 0x33f, v0
	v_cmp_lt_u32_e64 s13, 0x37f, v0
	v_cmp_lt_u32_e64 s14, 0x3bf, v0
	s_mov_b32 s16, 0
	s_waitcnt lgkmcnt(0)
	s_barrier
	buffer_gl0_inv
	s_branch .LBB206_35
.LBB206_34:                             ;   in Loop: Header=BB206_35 Depth=1
	s_or_b32 exec_lo, exec_lo, s15
	s_waitcnt lgkmcnt(0)
	s_barrier
	buffer_gl0_inv
	ds_load_b32 v2, v5 offset:24636
	v_add_co_u32 v18, s15, 0x400, v18
	s_delay_alu instid0(VALU_DEP_1) | instskip(SKIP_3) | instid1(SALU_CYCLE_1)
	s_xor_b32 s15, s15, -1
	v_add_nc_u32_e32 v19, 0x2000, v19
	v_add_nc_u32_e32 v17, 0x1000, v17
	s_and_b32 s15, exec_lo, s15
	s_or_b32 s16, s15, s16
	s_waitcnt lgkmcnt(0)
	v_add_nc_u32_e32 v6, v2, v6
	s_and_not1_b32 exec_lo, exec_lo, s16
	s_cbranch_execz .LBB206_86
.LBB206_35:                             ; =>This Inner Loop Header: Depth=1
	ds_load_b32 v7, v17
	ds_load_b64 v[2:3], v19
	s_waitcnt lgkmcnt(0)
	s_barrier
	buffer_gl0_inv
	v_cmp_gt_i32_e64 s15, s33, v7
	s_delay_alu instid0(VALU_DEP_1) | instskip(NEXT) | instid1(SALU_CYCLE_1)
	s_bcnt1_i32_b32 s17, s15
	v_dual_mov_b32 v9, s17 :: v_dual_and_b32 v8, s15, v1
	s_delay_alu instid0(VALU_DEP_1)
	v_bcnt_u32_b32 v8, v8, 0
	ds_store_b32 v4, v9 offset:24576
	s_waitcnt lgkmcnt(0)
	s_barrier
	buffer_gl0_inv
	s_and_saveexec_b32 s17, s0
	s_cbranch_execnz .LBB206_52
; %bb.36:                               ;   in Loop: Header=BB206_35 Depth=1
	s_or_b32 exec_lo, exec_lo, s17
	s_and_saveexec_b32 s17, s1
	s_cbranch_execnz .LBB206_53
.LBB206_37:                             ;   in Loop: Header=BB206_35 Depth=1
	s_or_b32 exec_lo, exec_lo, s17
	s_and_saveexec_b32 s17, s2
	s_cbranch_execnz .LBB206_54
.LBB206_38:                             ;   in Loop: Header=BB206_35 Depth=1
	s_or_b32 exec_lo, exec_lo, s17
	s_and_saveexec_b32 s17, s3
	s_cbranch_execnz .LBB206_55
.LBB206_39:                             ;   in Loop: Header=BB206_35 Depth=1
	s_or_b32 exec_lo, exec_lo, s17
	s_and_saveexec_b32 s17, s4
	s_cbranch_execnz .LBB206_56
.LBB206_40:                             ;   in Loop: Header=BB206_35 Depth=1
	s_or_b32 exec_lo, exec_lo, s17
	s_and_saveexec_b32 s17, s5
	s_cbranch_execnz .LBB206_57
.LBB206_41:                             ;   in Loop: Header=BB206_35 Depth=1
	s_or_b32 exec_lo, exec_lo, s17
	s_and_saveexec_b32 s17, s6
	s_cbranch_execnz .LBB206_58
.LBB206_42:                             ;   in Loop: Header=BB206_35 Depth=1
	s_or_b32 exec_lo, exec_lo, s17
	s_and_saveexec_b32 s17, s7
	s_cbranch_execnz .LBB206_59
.LBB206_43:                             ;   in Loop: Header=BB206_35 Depth=1
	s_or_b32 exec_lo, exec_lo, s17
	s_and_saveexec_b32 s17, s8
	s_cbranch_execnz .LBB206_60
.LBB206_44:                             ;   in Loop: Header=BB206_35 Depth=1
	s_or_b32 exec_lo, exec_lo, s17
	s_and_saveexec_b32 s17, s9
	s_cbranch_execnz .LBB206_61
.LBB206_45:                             ;   in Loop: Header=BB206_35 Depth=1
	s_or_b32 exec_lo, exec_lo, s17
	s_and_saveexec_b32 s17, s10
	s_cbranch_execnz .LBB206_62
.LBB206_46:                             ;   in Loop: Header=BB206_35 Depth=1
	s_or_b32 exec_lo, exec_lo, s17
	s_and_saveexec_b32 s17, s11
	s_cbranch_execnz .LBB206_63
.LBB206_47:                             ;   in Loop: Header=BB206_35 Depth=1
	s_or_b32 exec_lo, exec_lo, s17
	s_and_saveexec_b32 s17, s12
	s_cbranch_execnz .LBB206_64
.LBB206_48:                             ;   in Loop: Header=BB206_35 Depth=1
	s_or_b32 exec_lo, exec_lo, s17
	s_and_saveexec_b32 s17, s13
	s_cbranch_execnz .LBB206_65
.LBB206_49:                             ;   in Loop: Header=BB206_35 Depth=1
	s_or_b32 exec_lo, exec_lo, s17
	s_and_saveexec_b32 s17, s14
	s_cbranch_execnz .LBB206_66
.LBB206_50:                             ;   in Loop: Header=BB206_35 Depth=1
	s_or_b32 exec_lo, exec_lo, s17
	s_and_saveexec_b32 s17, s15
	s_cbranch_execnz .LBB206_67
.LBB206_51:                             ;   in Loop: Header=BB206_35 Depth=1
	s_or_b32 exec_lo, exec_lo, s17
	s_and_saveexec_b32 s15, vcc_lo
	s_cbranch_execz .LBB206_34
	s_branch .LBB206_68
.LBB206_52:                             ;   in Loop: Header=BB206_35 Depth=1
	ds_load_b32 v9, v5 offset:24576
	s_waitcnt lgkmcnt(0)
	v_add_nc_u32_e32 v8, v9, v8
	s_or_b32 exec_lo, exec_lo, s17
	s_and_saveexec_b32 s17, s1
	s_cbranch_execz .LBB206_37
.LBB206_53:                             ;   in Loop: Header=BB206_35 Depth=1
	ds_load_b32 v9, v5 offset:24580
	s_waitcnt lgkmcnt(0)
	v_add_nc_u32_e32 v8, v9, v8
	s_or_b32 exec_lo, exec_lo, s17
	s_and_saveexec_b32 s17, s2
	s_cbranch_execz .LBB206_38
.LBB206_54:                             ;   in Loop: Header=BB206_35 Depth=1
	ds_load_b32 v9, v5 offset:24584
	s_waitcnt lgkmcnt(0)
	v_add_nc_u32_e32 v8, v9, v8
	s_or_b32 exec_lo, exec_lo, s17
	s_and_saveexec_b32 s17, s3
	s_cbranch_execz .LBB206_39
.LBB206_55:                             ;   in Loop: Header=BB206_35 Depth=1
	ds_load_b32 v9, v5 offset:24588
	s_waitcnt lgkmcnt(0)
	v_add_nc_u32_e32 v8, v9, v8
	s_or_b32 exec_lo, exec_lo, s17
	s_and_saveexec_b32 s17, s4
	s_cbranch_execz .LBB206_40
.LBB206_56:                             ;   in Loop: Header=BB206_35 Depth=1
	ds_load_b32 v9, v5 offset:24592
	s_waitcnt lgkmcnt(0)
	v_add_nc_u32_e32 v8, v9, v8
	s_or_b32 exec_lo, exec_lo, s17
	s_and_saveexec_b32 s17, s5
	s_cbranch_execz .LBB206_41
.LBB206_57:                             ;   in Loop: Header=BB206_35 Depth=1
	ds_load_b32 v9, v5 offset:24596
	s_waitcnt lgkmcnt(0)
	v_add_nc_u32_e32 v8, v9, v8
	s_or_b32 exec_lo, exec_lo, s17
	s_and_saveexec_b32 s17, s6
	s_cbranch_execz .LBB206_42
.LBB206_58:                             ;   in Loop: Header=BB206_35 Depth=1
	ds_load_b32 v9, v5 offset:24600
	s_waitcnt lgkmcnt(0)
	v_add_nc_u32_e32 v8, v9, v8
	s_or_b32 exec_lo, exec_lo, s17
	s_and_saveexec_b32 s17, s7
	s_cbranch_execz .LBB206_43
.LBB206_59:                             ;   in Loop: Header=BB206_35 Depth=1
	ds_load_b32 v9, v5 offset:24604
	s_waitcnt lgkmcnt(0)
	v_add_nc_u32_e32 v8, v9, v8
	s_or_b32 exec_lo, exec_lo, s17
	s_and_saveexec_b32 s17, s8
	s_cbranch_execz .LBB206_44
.LBB206_60:                             ;   in Loop: Header=BB206_35 Depth=1
	ds_load_b32 v9, v5 offset:24608
	s_waitcnt lgkmcnt(0)
	v_add_nc_u32_e32 v8, v9, v8
	s_or_b32 exec_lo, exec_lo, s17
	s_and_saveexec_b32 s17, s9
	s_cbranch_execz .LBB206_45
.LBB206_61:                             ;   in Loop: Header=BB206_35 Depth=1
	ds_load_b32 v9, v5 offset:24612
	s_waitcnt lgkmcnt(0)
	v_add_nc_u32_e32 v8, v9, v8
	s_or_b32 exec_lo, exec_lo, s17
	s_and_saveexec_b32 s17, s10
	s_cbranch_execz .LBB206_46
.LBB206_62:                             ;   in Loop: Header=BB206_35 Depth=1
	ds_load_b32 v9, v5 offset:24616
	s_waitcnt lgkmcnt(0)
	v_add_nc_u32_e32 v8, v9, v8
	s_or_b32 exec_lo, exec_lo, s17
	s_and_saveexec_b32 s17, s11
	s_cbranch_execz .LBB206_47
.LBB206_63:                             ;   in Loop: Header=BB206_35 Depth=1
	ds_load_b32 v9, v5 offset:24620
	s_waitcnt lgkmcnt(0)
	v_add_nc_u32_e32 v8, v9, v8
	s_or_b32 exec_lo, exec_lo, s17
	s_and_saveexec_b32 s17, s12
	s_cbranch_execz .LBB206_48
.LBB206_64:                             ;   in Loop: Header=BB206_35 Depth=1
	ds_load_b32 v9, v5 offset:24624
	s_waitcnt lgkmcnt(0)
	v_add_nc_u32_e32 v8, v9, v8
	s_or_b32 exec_lo, exec_lo, s17
	s_and_saveexec_b32 s17, s13
	s_cbranch_execz .LBB206_49
.LBB206_65:                             ;   in Loop: Header=BB206_35 Depth=1
	ds_load_b32 v9, v5 offset:24628
	s_waitcnt lgkmcnt(0)
	v_add_nc_u32_e32 v8, v9, v8
	s_or_b32 exec_lo, exec_lo, s17
	s_and_saveexec_b32 s17, s14
	s_cbranch_execz .LBB206_50
.LBB206_66:                             ;   in Loop: Header=BB206_35 Depth=1
	ds_load_b32 v9, v5 offset:24632
	s_waitcnt lgkmcnt(0)
	v_add_nc_u32_e32 v8, v9, v8
	s_or_b32 exec_lo, exec_lo, s17
	s_and_saveexec_b32 s17, s15
	s_cbranch_execz .LBB206_51
.LBB206_67:                             ;   in Loop: Header=BB206_35 Depth=1
	s_delay_alu instid0(VALU_DEP_1) | instskip(NEXT) | instid1(VALU_DEP_1)
	v_add3_u32 v9, v6, -1, v8
	v_lshl_add_u32 v10, v9, 2, 0
	v_lshl_add_u32 v9, v9, 3, 0
	ds_store_b32 v10, v7
	ds_store_b64 v9, v[2:3] offset:8192
	s_or_b32 exec_lo, exec_lo, s17
	s_and_saveexec_b32 s15, vcc_lo
	s_cbranch_execz .LBB206_34
.LBB206_68:                             ;   in Loop: Header=BB206_35 Depth=1
	ds_store_b32 v5, v8 offset:24636
	s_branch .LBB206_34
.LBB206_69:                             ;   in Loop: Header=BB206_70 Depth=1
	s_or_b32 exec_lo, exec_lo, s4
	v_add_co_u32 v3, vcc_lo, 0x400, v3
	v_add_co_ci_u32_e32 v4, vcc_lo, 0, v4, vcc_lo
	s_delay_alu instid0(VALU_DEP_1) | instskip(SKIP_1) | instid1(SALU_CYCLE_1)
	v_cmp_le_i64_e32 vcc_lo, s[0:1], v[3:4]
	s_or_b32 s3, vcc_lo, s3
	s_and_not1_b32 exec_lo, exec_lo, s3
	s_cbranch_execz .LBB206_32
.LBB206_70:                             ; =>This Loop Header: Depth=1
                                        ;     Child Loop BB206_72 Depth 2
                                        ;       Child Loop BB206_78 Depth 3
                                        ;       Child Loop BB206_84 Depth 3
	v_lshlrev_b64 v[5:6], 3, v[3:4]
	v_lshlrev_b64 v[7:8], 2, v[3:4]
	s_mov_b32 s4, 0
	s_delay_alu instid0(VALU_DEP_2) | instskip(NEXT) | instid1(VALU_DEP_3)
	v_add_co_u32 v5, vcc_lo, s20, v5
	v_add_co_ci_u32_e32 v6, vcc_lo, s21, v6, vcc_lo
	s_delay_alu instid0(VALU_DEP_3) | instskip(NEXT) | instid1(VALU_DEP_4)
	v_add_co_u32 v7, vcc_lo, s18, v7
	v_add_co_ci_u32_e32 v8, vcc_lo, s19, v8, vcc_lo
	global_load_b64 v[5:6], v[5:6], off
	global_load_b32 v7, v[7:8], off
	s_waitcnt vmcnt(1)
	v_mul_f64 v[5:6], v[1:2], v[5:6]
	s_waitcnt vmcnt(0)
	v_subrev_nc_u32_e32 v9, s27, v7
	s_delay_alu instid0(VALU_DEP_1) | instskip(NEXT) | instid1(VALU_DEP_1)
	v_mul_lo_u32 v7, 0x89, v9
	v_and_b32_e32 v10, 0x7ff, v7
	s_branch .LBB206_72
.LBB206_71:                             ;   in Loop: Header=BB206_72 Depth=2
	s_or_b32 exec_lo, exec_lo, s5
	s_xor_b32 s5, s6, -1
	s_delay_alu instid0(SALU_CYCLE_1) | instskip(NEXT) | instid1(SALU_CYCLE_1)
	s_and_b32 s5, exec_lo, s5
	s_or_b32 s4, s5, s4
	s_delay_alu instid0(SALU_CYCLE_1)
	s_and_not1_b32 exec_lo, exec_lo, s4
	s_cbranch_execz .LBB206_69
.LBB206_72:                             ;   Parent Loop BB206_70 Depth=1
                                        ; =>  This Loop Header: Depth=2
                                        ;       Child Loop BB206_78 Depth 3
                                        ;       Child Loop BB206_84 Depth 3
	s_delay_alu instid0(VALU_DEP_1)
	v_lshl_add_u32 v7, v10, 2, 0
	s_mov_b32 s5, exec_lo
                                        ; implicit-def: $sgpr6
	ds_load_b32 v8, v7
	s_waitcnt lgkmcnt(0)
	v_cmpx_ne_u32_e64 v8, v9
	s_xor_b32 s5, exec_lo, s5
	s_cbranch_execz .LBB206_82
; %bb.73:                               ;   in Loop: Header=BB206_72 Depth=2
	s_mov_b32 s7, exec_lo
                                        ; implicit-def: $sgpr6
	v_cmpx_ne_u32_e64 s33, v8
	s_xor_b32 s7, exec_lo, s7
; %bb.74:                               ;   in Loop: Header=BB206_72 Depth=2
	v_add_nc_u32_e32 v7, 1, v10
	s_mov_b32 s6, -1
	s_delay_alu instid0(VALU_DEP_1)
	v_and_b32_e32 v10, 0x7ff, v7
                                        ; implicit-def: $vgpr7
; %bb.75:                               ;   in Loop: Header=BB206_72 Depth=2
	s_and_not1_saveexec_b32 s7, s7
	s_cbranch_execz .LBB206_81
; %bb.76:                               ;   in Loop: Header=BB206_72 Depth=2
	v_mov_b32_e32 v8, s33
	s_mov_b32 s9, -1
	s_mov_b32 s8, exec_lo
	ds_cmpstore_rtn_b32 v8, v7, v9, v8
	s_waitcnt lgkmcnt(0)
	v_cmpx_eq_u32_e64 s33, v8
	s_cbranch_execz .LBB206_80
; %bb.77:                               ;   in Loop: Header=BB206_72 Depth=2
	v_lshlrev_b32_e32 v8, 2, v10
	s_mov_b32 s9, 0
	s_delay_alu instid0(VALU_DEP_1)
	v_add_nc_u32_e32 v11, v7, v8
	ds_load_b64 v[7:8], v11 offset:8192
.LBB206_78:                             ;   Parent Loop BB206_70 Depth=1
                                        ;     Parent Loop BB206_72 Depth=2
                                        ; =>    This Inner Loop Header: Depth=3
	s_waitcnt lgkmcnt(0)
	v_add_f64 v[12:13], v[7:8], v[5:6]
	ds_cmpstore_rtn_b64 v[12:13], v11, v[12:13], v[7:8] offset:8192
	s_waitcnt lgkmcnt(0)
	v_cmp_eq_u64_e32 vcc_lo, v[12:13], v[7:8]
	v_dual_mov_b32 v7, v12 :: v_dual_mov_b32 v8, v13
	s_or_b32 s9, vcc_lo, s9
	s_delay_alu instid0(SALU_CYCLE_1)
	s_and_not1_b32 exec_lo, exec_lo, s9
	s_cbranch_execnz .LBB206_78
; %bb.79:                               ;   in Loop: Header=BB206_72 Depth=2
	s_or_b32 exec_lo, exec_lo, s9
	s_delay_alu instid0(SALU_CYCLE_1)
	s_xor_b32 s9, exec_lo, -1
.LBB206_80:                             ;   in Loop: Header=BB206_72 Depth=2
	s_or_b32 exec_lo, exec_lo, s8
	s_delay_alu instid0(SALU_CYCLE_1) | instskip(SKIP_1) | instid1(SALU_CYCLE_1)
	s_and_not1_b32 s6, s6, exec_lo
	s_and_b32 s8, s9, exec_lo
	s_or_b32 s6, s6, s8
.LBB206_81:                             ;   in Loop: Header=BB206_72 Depth=2
	s_or_b32 exec_lo, exec_lo, s7
	s_delay_alu instid0(SALU_CYCLE_1)
	s_and_b32 s6, s6, exec_lo
                                        ; implicit-def: $vgpr7
.LBB206_82:                             ;   in Loop: Header=BB206_72 Depth=2
	s_and_not1_saveexec_b32 s5, s5
	s_cbranch_execz .LBB206_71
; %bb.83:                               ;   in Loop: Header=BB206_72 Depth=2
	v_lshlrev_b32_e32 v8, 2, v10
	s_mov_b32 s7, 0
	s_delay_alu instid0(VALU_DEP_1)
	v_add_nc_u32_e32 v11, v7, v8
	ds_load_b64 v[7:8], v11 offset:8192
.LBB206_84:                             ;   Parent Loop BB206_70 Depth=1
                                        ;     Parent Loop BB206_72 Depth=2
                                        ; =>    This Inner Loop Header: Depth=3
	s_waitcnt lgkmcnt(0)
	v_add_f64 v[12:13], v[7:8], v[5:6]
	ds_cmpstore_rtn_b64 v[12:13], v11, v[12:13], v[7:8] offset:8192
	s_waitcnt lgkmcnt(0)
	v_cmp_eq_u64_e32 vcc_lo, v[12:13], v[7:8]
	v_dual_mov_b32 v7, v12 :: v_dual_mov_b32 v8, v13
	s_or_b32 s7, vcc_lo, s7
	s_delay_alu instid0(SALU_CYCLE_1)
	s_and_not1_b32 exec_lo, exec_lo, s7
	s_cbranch_execnz .LBB206_84
; %bb.85:                               ;   in Loop: Header=BB206_72 Depth=2
	s_or_b32 exec_lo, exec_lo, s7
	s_delay_alu instid0(SALU_CYCLE_1)
	s_and_not1_b32 s6, s6, exec_lo
	s_branch .LBB206_71
.LBB206_86:
	s_or_b32 exec_lo, exec_lo, s16
	s_ashr_i32 s35, s34, 31
	s_mov_b32 s4, exec_lo
	s_lshl_b64 s[0:1], s[34:35], 3
	s_delay_alu instid0(SALU_CYCLE_1) | instskip(SKIP_4) | instid1(SALU_CYCLE_1)
	s_add_u32 s0, s22, s0
	s_addc_u32 s1, s23, s1
	s_load_b128 s[0:3], s[0:1], 0x0
	s_waitcnt lgkmcnt(0)
	s_sub_i32 s3, s2, s0
	v_cmpx_gt_i32_e64 s3, v0
	s_cbranch_execz .LBB206_96
; %bb.87:
	s_sub_u32 s4, s0, s26
	s_subb_u32 s5, s1, 0
	s_sub_i32 s0, s0, s2
	s_and_b32 s1, s3, 7
	s_cmp_lt_u32 s0, -7
	s_mov_b32 s8, 0
	s_cselect_b32 s2, -1, 0
	s_and_b32 s6, s3, -8
	s_cmp_lg_u32 s1, 0
	s_cselect_b32 s7, -1, 0
	s_branch .LBB206_89
.LBB206_88:                             ;   in Loop: Header=BB206_89 Depth=1
	s_delay_alu instid0(VALU_DEP_1) | instskip(SKIP_4) | instid1(VALU_DEP_4)
	v_lshlrev_b64 v[6:7], 2, v[3:4]
	v_lshlrev_b64 v[3:4], 3, v[3:4]
	v_add_nc_u32_e32 v0, 0x400, v0
	s_waitcnt lgkmcnt(1)
	v_add_nc_u32_e32 v8, s26, v5
	v_add_co_u32 v5, vcc_lo, s28, v6
	v_add_co_ci_u32_e32 v6, vcc_lo, s29, v7, vcc_lo
	v_cmp_le_i32_e32 vcc_lo, s3, v0
	v_add_co_u32 v3, s0, s30, v3
	s_delay_alu instid0(VALU_DEP_1)
	v_add_co_ci_u32_e64 v4, s0, s31, v4, s0
	s_or_b32 s8, vcc_lo, s8
	global_store_b32 v[5:6], v8, off
	s_waitcnt lgkmcnt(0)
	global_store_b64 v[3:4], v[1:2], off
	s_and_not1_b32 exec_lo, exec_lo, s8
	s_cbranch_execz .LBB206_96
.LBB206_89:                             ; =>This Loop Header: Depth=1
                                        ;     Child Loop BB206_91 Depth 2
                                        ;     Child Loop BB206_95 Depth 2
	v_lshlrev_b32_e32 v1, 2, v0
	v_dual_mov_b32 v3, s4 :: v_dual_mov_b32 v4, s5
	s_and_not1_b32 vcc_lo, exec_lo, s2
	s_mov_b32 s0, 0
	s_delay_alu instid0(VALU_DEP_2) | instskip(NEXT) | instid1(VALU_DEP_1)
	v_add_nc_u32_e32 v2, 0, v1
	v_add_nc_u32_e32 v1, v2, v1
	ds_load_b32 v5, v2
	ds_load_b64 v[1:2], v1 offset:8192
	s_cbranch_vccnz .LBB206_93
; %bb.90:                               ;   in Loop: Header=BB206_89 Depth=1
	v_dual_mov_b32 v3, s4 :: v_dual_mov_b32 v4, s5
	s_mov_b32 s9, 0
	s_mov_b32 s10, 0
.LBB206_91:                             ;   Parent Loop BB206_89 Depth=1
                                        ; =>  This Inner Loop Header: Depth=2
	s_delay_alu instid0(SALU_CYCLE_1)
	v_mov_b32_e32 v12, s10
	s_add_i32 s9, s9, 8
	s_add_i32 s10, s10, 32
	s_cmp_eq_u32 s6, s9
	ds_load_2addr_b32 v[6:7], v12 offset1:1
	ds_load_2addr_b32 v[8:9], v12 offset0:2 offset1:3
	ds_load_2addr_b32 v[10:11], v12 offset0:4 offset1:5
	;; [unrolled: 1-line block ×3, first 2 shown]
	s_waitcnt lgkmcnt(3)
	v_cmp_gt_i32_e32 vcc_lo, v5, v6
	v_cndmask_b32_e64 v6, 0, 1, vcc_lo
	v_cmp_gt_i32_e32 vcc_lo, v5, v7
	v_cndmask_b32_e64 v7, 0, 1, vcc_lo
	s_waitcnt lgkmcnt(2)
	v_cmp_gt_i32_e32 vcc_lo, v5, v8
	v_cndmask_b32_e64 v8, 0, 1, vcc_lo
	v_cmp_gt_i32_e32 vcc_lo, v5, v9
	v_cndmask_b32_e64 v9, 0, 1, vcc_lo
	s_waitcnt lgkmcnt(1)
	v_cmp_gt_i32_e32 vcc_lo, v5, v10
	v_cndmask_b32_e64 v10, 0, 1, vcc_lo
	v_add_co_u32 v3, vcc_lo, v3, v6
	v_add_co_ci_u32_e32 v4, vcc_lo, 0, v4, vcc_lo
	v_cmp_gt_i32_e32 vcc_lo, v5, v11
	s_delay_alu instid0(VALU_DEP_3) | instskip(NEXT) | instid1(VALU_DEP_1)
	v_add_co_u32 v3, s0, v3, v7
	v_add_co_ci_u32_e64 v4, s0, 0, v4, s0
	v_cndmask_b32_e64 v6, 0, 1, vcc_lo
	s_delay_alu instid0(VALU_DEP_3) | instskip(NEXT) | instid1(VALU_DEP_3)
	v_add_co_u32 v3, vcc_lo, v3, v8
	v_add_co_ci_u32_e32 v4, vcc_lo, 0, v4, vcc_lo
	s_waitcnt lgkmcnt(0)
	v_cmp_gt_i32_e32 vcc_lo, v5, v12
	s_delay_alu instid0(VALU_DEP_3) | instskip(NEXT) | instid1(VALU_DEP_1)
	v_add_co_u32 v3, s0, v3, v9
	v_add_co_ci_u32_e64 v4, s0, 0, v4, s0
	v_cndmask_b32_e64 v7, 0, 1, vcc_lo
	s_delay_alu instid0(VALU_DEP_3) | instskip(NEXT) | instid1(VALU_DEP_3)
	v_add_co_u32 v3, vcc_lo, v3, v10
	v_add_co_ci_u32_e32 v4, vcc_lo, 0, v4, vcc_lo
	v_cmp_gt_i32_e32 vcc_lo, v5, v13
	s_delay_alu instid0(VALU_DEP_3) | instskip(NEXT) | instid1(VALU_DEP_1)
	v_add_co_u32 v3, s0, v3, v6
	v_add_co_ci_u32_e64 v4, s0, 0, v4, s0
	v_cndmask_b32_e64 v6, 0, 1, vcc_lo
	s_delay_alu instid0(VALU_DEP_3) | instskip(NEXT) | instid1(VALU_DEP_3)
	v_add_co_u32 v3, vcc_lo, v3, v7
	v_add_co_ci_u32_e32 v4, vcc_lo, 0, v4, vcc_lo
	s_delay_alu instid0(VALU_DEP_2) | instskip(NEXT) | instid1(VALU_DEP_2)
	v_add_co_u32 v3, vcc_lo, v3, v6
	v_add_co_ci_u32_e32 v4, vcc_lo, 0, v4, vcc_lo
	s_cbranch_scc0 .LBB206_91
; %bb.92:                               ;   in Loop: Header=BB206_89 Depth=1
	s_mov_b32 s0, s6
.LBB206_93:                             ;   in Loop: Header=BB206_89 Depth=1
	s_and_not1_b32 vcc_lo, exec_lo, s7
	s_cbranch_vccnz .LBB206_88
; %bb.94:                               ;   in Loop: Header=BB206_89 Depth=1
	s_lshl_b32 s0, s0, 2
	s_mov_b32 s9, s1
	s_add_i32 s0, s0, 0
.LBB206_95:                             ;   Parent Loop BB206_89 Depth=1
                                        ; =>  This Inner Loop Header: Depth=2
	s_delay_alu instid0(SALU_CYCLE_1)
	v_mov_b32_e32 v6, s0
	s_add_i32 s9, s9, -1
	s_add_i32 s0, s0, 4
	s_cmp_lg_u32 s9, 0
	ds_load_b32 v6, v6
	s_waitcnt lgkmcnt(0)
	v_cmp_gt_i32_e32 vcc_lo, v5, v6
	v_cndmask_b32_e64 v6, 0, 1, vcc_lo
	s_delay_alu instid0(VALU_DEP_1)
	v_add_co_u32 v3, vcc_lo, v3, v6
	v_add_co_ci_u32_e32 v4, vcc_lo, 0, v4, vcc_lo
	s_cbranch_scc1 .LBB206_95
	s_branch .LBB206_88
.LBB206_96:
	s_nop 0
	s_sendmsg sendmsg(MSG_DEALLOC_VGPRS)
	s_endpgm
	.section	.rodata,"a",@progbits
	.p2align	6, 0x0
	.amdhsa_kernel _ZN9rocsparseL26csrgemm_fill_block_per_rowILj1024ELj32ELj2048ELj137ELj64ElidEEvT5_PKS1_S3_NS_24const_host_device_scalarIT6_EEPKT4_S3_PKS5_S9_S3_SB_S6_S9_S3_SB_S9_PS1_PS5_21rocsparse_index_base_SE_SE_SE_bbb
		.amdhsa_group_segment_fixed_size 0
		.amdhsa_private_segment_fixed_size 0
		.amdhsa_kernarg_size 156
		.amdhsa_user_sgpr_count 15
		.amdhsa_user_sgpr_dispatch_ptr 0
		.amdhsa_user_sgpr_queue_ptr 0
		.amdhsa_user_sgpr_kernarg_segment_ptr 1
		.amdhsa_user_sgpr_dispatch_id 0
		.amdhsa_user_sgpr_private_segment_size 0
		.amdhsa_wavefront_size32 1
		.amdhsa_uses_dynamic_stack 0
		.amdhsa_enable_private_segment 0
		.amdhsa_system_sgpr_workgroup_id_x 1
		.amdhsa_system_sgpr_workgroup_id_y 0
		.amdhsa_system_sgpr_workgroup_id_z 0
		.amdhsa_system_sgpr_workgroup_info 0
		.amdhsa_system_vgpr_workitem_id 0
		.amdhsa_next_free_vgpr 27
		.amdhsa_next_free_sgpr 44
		.amdhsa_reserve_vcc 1
		.amdhsa_float_round_mode_32 0
		.amdhsa_float_round_mode_16_64 0
		.amdhsa_float_denorm_mode_32 3
		.amdhsa_float_denorm_mode_16_64 3
		.amdhsa_dx10_clamp 1
		.amdhsa_ieee_mode 1
		.amdhsa_fp16_overflow 0
		.amdhsa_workgroup_processor_mode 1
		.amdhsa_memory_ordered 1
		.amdhsa_forward_progress 0
		.amdhsa_shared_vgpr_count 0
		.amdhsa_exception_fp_ieee_invalid_op 0
		.amdhsa_exception_fp_denorm_src 0
		.amdhsa_exception_fp_ieee_div_zero 0
		.amdhsa_exception_fp_ieee_overflow 0
		.amdhsa_exception_fp_ieee_underflow 0
		.amdhsa_exception_fp_ieee_inexact 0
		.amdhsa_exception_int_div_zero 0
	.end_amdhsa_kernel
	.section	.text._ZN9rocsparseL26csrgemm_fill_block_per_rowILj1024ELj32ELj2048ELj137ELj64ElidEEvT5_PKS1_S3_NS_24const_host_device_scalarIT6_EEPKT4_S3_PKS5_S9_S3_SB_S6_S9_S3_SB_S9_PS1_PS5_21rocsparse_index_base_SE_SE_SE_bbb,"axG",@progbits,_ZN9rocsparseL26csrgemm_fill_block_per_rowILj1024ELj32ELj2048ELj137ELj64ElidEEvT5_PKS1_S3_NS_24const_host_device_scalarIT6_EEPKT4_S3_PKS5_S9_S3_SB_S6_S9_S3_SB_S9_PS1_PS5_21rocsparse_index_base_SE_SE_SE_bbb,comdat
.Lfunc_end206:
	.size	_ZN9rocsparseL26csrgemm_fill_block_per_rowILj1024ELj32ELj2048ELj137ELj64ElidEEvT5_PKS1_S3_NS_24const_host_device_scalarIT6_EEPKT4_S3_PKS5_S9_S3_SB_S6_S9_S3_SB_S9_PS1_PS5_21rocsparse_index_base_SE_SE_SE_bbb, .Lfunc_end206-_ZN9rocsparseL26csrgemm_fill_block_per_rowILj1024ELj32ELj2048ELj137ELj64ElidEEvT5_PKS1_S3_NS_24const_host_device_scalarIT6_EEPKT4_S3_PKS5_S9_S3_SB_S6_S9_S3_SB_S9_PS1_PS5_21rocsparse_index_base_SE_SE_SE_bbb
                                        ; -- End function
	.section	.AMDGPU.csdata,"",@progbits
; Kernel info:
; codeLenInByte = 3780
; NumSgprs: 46
; NumVgprs: 27
; ScratchSize: 0
; MemoryBound: 0
; FloatMode: 240
; IeeeMode: 1
; LDSByteSize: 0 bytes/workgroup (compile time only)
; SGPRBlocks: 5
; VGPRBlocks: 3
; NumSGPRsForWavesPerEU: 46
; NumVGPRsForWavesPerEU: 27
; Occupancy: 16
; WaveLimiterHint : 1
; COMPUTE_PGM_RSRC2:SCRATCH_EN: 0
; COMPUTE_PGM_RSRC2:USER_SGPR: 15
; COMPUTE_PGM_RSRC2:TRAP_HANDLER: 0
; COMPUTE_PGM_RSRC2:TGID_X_EN: 1
; COMPUTE_PGM_RSRC2:TGID_Y_EN: 0
; COMPUTE_PGM_RSRC2:TGID_Z_EN: 0
; COMPUTE_PGM_RSRC2:TIDIG_COMP_CNT: 0
	.section	.text._ZN9rocsparseL26csrgemm_fill_block_per_rowILj1024ELj64ELj4096ELj137ELj32ElidEEvT5_PKS1_S3_NS_24const_host_device_scalarIT6_EEPKT4_S3_PKS5_S9_S3_SB_S6_S9_S3_SB_S9_PS1_PS5_21rocsparse_index_base_SE_SE_SE_bbb,"axG",@progbits,_ZN9rocsparseL26csrgemm_fill_block_per_rowILj1024ELj64ELj4096ELj137ELj32ElidEEvT5_PKS1_S3_NS_24const_host_device_scalarIT6_EEPKT4_S3_PKS5_S9_S3_SB_S6_S9_S3_SB_S9_PS1_PS5_21rocsparse_index_base_SE_SE_SE_bbb,comdat
	.globl	_ZN9rocsparseL26csrgemm_fill_block_per_rowILj1024ELj64ELj4096ELj137ELj32ElidEEvT5_PKS1_S3_NS_24const_host_device_scalarIT6_EEPKT4_S3_PKS5_S9_S3_SB_S6_S9_S3_SB_S9_PS1_PS5_21rocsparse_index_base_SE_SE_SE_bbb ; -- Begin function _ZN9rocsparseL26csrgemm_fill_block_per_rowILj1024ELj64ELj4096ELj137ELj32ElidEEvT5_PKS1_S3_NS_24const_host_device_scalarIT6_EEPKT4_S3_PKS5_S9_S3_SB_S6_S9_S3_SB_S9_PS1_PS5_21rocsparse_index_base_SE_SE_SE_bbb
	.p2align	8
	.type	_ZN9rocsparseL26csrgemm_fill_block_per_rowILj1024ELj64ELj4096ELj137ELj32ElidEEvT5_PKS1_S3_NS_24const_host_device_scalarIT6_EEPKT4_S3_PKS5_S9_S3_SB_S6_S9_S3_SB_S9_PS1_PS5_21rocsparse_index_base_SE_SE_SE_bbb,@function
_ZN9rocsparseL26csrgemm_fill_block_per_rowILj1024ELj64ELj4096ELj137ELj32ElidEEvT5_PKS1_S3_NS_24const_host_device_scalarIT6_EEPKT4_S3_PKS5_S9_S3_SB_S6_S9_S3_SB_S9_PS1_PS5_21rocsparse_index_base_SE_SE_SE_bbb: ; @_ZN9rocsparseL26csrgemm_fill_block_per_rowILj1024ELj64ELj4096ELj137ELj32ElidEEvT5_PKS1_S3_NS_24const_host_device_scalarIT6_EEPKT4_S3_PKS5_S9_S3_SB_S6_S9_S3_SB_S9_PS1_PS5_21rocsparse_index_base_SE_SE_SE_bbb
; %bb.0:
	s_clause 0x3
	s_load_b32 s12, s[0:1], 0x98
	s_load_b64 s[4:5], s[0:1], 0x18
	s_load_b128 s[44:47], s[0:1], 0x88
	s_load_b64 s[2:3], s[0:1], 0x50
	s_waitcnt lgkmcnt(0)
	s_and_b32 s6, 1, s12
	s_bitcmp1_b32 s12, 16
	s_cselect_b32 s14, -1, 0
	s_cmp_eq_u32 s6, 1
	s_cselect_b32 s13, -1, 0
	s_delay_alu instid0(SALU_CYCLE_1)
	s_and_b32 s6, s13, exec_lo
	s_cselect_b32 s7, s5, 0
	s_cselect_b32 s6, s4, 0
	s_xor_b32 s8, s13, -1
	v_dual_mov_b32 v3, s6 :: v_dual_mov_b32 v4, s7
	s_or_b32 s8, s8, s14
	s_delay_alu instid0(SALU_CYCLE_1)
	s_and_b32 vcc_lo, exec_lo, s8
	s_cbranch_vccnz .LBB207_2
; %bb.1:
	v_dual_mov_b32 v1, s4 :: v_dual_mov_b32 v2, s5
	flat_load_b64 v[3:4], v[1:2]
.LBB207_2:
	s_clause 0x4
	s_load_b128 s[48:51], s[0:1], 0x78
	s_load_b256 s[36:43], s[0:1], 0x58
	s_load_b128 s[16:19], s[0:1], 0x40
	s_load_b128 s[20:23], s[0:1], 0x8
	s_load_b256 s[4:11], s[0:1], 0x20
	s_bitcmp1_b32 s12, 8
	s_cselect_b32 s12, -1, 0
	s_delay_alu instid0(SALU_CYCLE_1)
	s_and_b32 s24, s12, exec_lo
	s_cselect_b32 s25, s3, 0
	s_cselect_b32 s24, s2, 0
	s_xor_b32 s26, s12, -1
	v_dual_mov_b32 v1, s24 :: v_dual_mov_b32 v2, s25
	s_or_b32 s14, s26, s14
	s_delay_alu instid0(SALU_CYCLE_1)
	s_and_b32 vcc_lo, exec_lo, s14
	s_cbranch_vccnz .LBB207_4
; %bb.3:
	v_dual_mov_b32 v1, s2 :: v_dual_mov_b32 v2, s3
	flat_load_b64 v[1:2], v[1:2]
.LBB207_4:
	s_load_b32 s33, s[0:1], 0x0
	v_dual_mov_b32 v5, 0 :: v_dual_lshlrev_b32 v6, 3, v0
	v_lshl_add_u32 v17, v0, 2, 0
	v_or_b32_e32 v18, 0xfffffc00, v0
	s_mov_b32 s0, 0
	s_delay_alu instid0(VALU_DEP_3) | instskip(SKIP_1) | instid1(VALU_DEP_3)
	v_add3_u32 v19, v6, 0, 0x4000
	v_mov_b32_e32 v6, v5
	v_dual_mov_b32 v7, v17 :: v_dual_mov_b32 v8, v18
	s_waitcnt lgkmcnt(0)
	s_delay_alu instid0(VALU_DEP_3)
	v_dual_mov_b32 v10, v19 :: v_dual_mov_b32 v9, s33
.LBB207_5:                              ; =>This Inner Loop Header: Depth=1
	s_delay_alu instid0(VALU_DEP_2)
	v_add_nc_u32_e32 v8, 0x400, v8
	ds_store_b32 v7, v9
	ds_store_b64 v10, v[5:6]
	v_add_nc_u32_e32 v10, 0x2000, v10
	v_add_nc_u32_e32 v7, 0x1000, v7
	v_cmp_lt_u32_e32 vcc_lo, 0xbff, v8
	s_or_b32 s0, vcc_lo, s0
	s_delay_alu instid0(SALU_CYCLE_1)
	s_and_not1_b32 exec_lo, exec_lo, s0
	s_cbranch_execnz .LBB207_5
; %bb.6:
	s_or_b32 exec_lo, exec_lo, s0
	s_waitcnt vmcnt(0) lgkmcnt(0)
	s_barrier
	buffer_gl0_inv
	s_load_b32 s0, s[20:21], 0x0
	s_mov_b32 s1, 0
	s_waitcnt lgkmcnt(0)
	s_add_i32 s0, s0, s15
	s_delay_alu instid0(SALU_CYCLE_1) | instskip(NEXT) | instid1(SALU_CYCLE_1)
	s_lshl_b64 s[0:1], s[0:1], 2
	s_add_u32 s0, s22, s0
	s_addc_u32 s1, s23, s1
	s_and_b32 vcc_lo, exec_lo, s13
	s_load_b32 s34, s[0:1], 0x0
	s_cbranch_vccz .LBB207_30
; %bb.7:
	s_waitcnt lgkmcnt(0)
	s_ashr_i32 s35, s34, 31
	v_lshrrev_b32_e32 v5, 6, v0
	s_lshl_b64 s[0:1], s[34:35], 3
	s_delay_alu instid0(SALU_CYCLE_1) | instskip(SKIP_1) | instid1(VALU_DEP_1)
	s_add_u32 s0, s4, s0
	s_addc_u32 s1, s5, s1
	v_sub_co_u32 v5, s4, v5, s44
	s_load_b128 s[0:3], s[0:1], 0x0
	v_sub_co_ci_u32_e64 v6, null, 0, 0, s4
	s_waitcnt lgkmcnt(0)
	s_delay_alu instid0(VALU_DEP_2) | instskip(NEXT) | instid1(VALU_DEP_2)
	v_add_co_u32 v5, vcc_lo, s0, v5
	v_add_co_ci_u32_e32 v6, vcc_lo, s1, v6, vcc_lo
	s_sub_u32 s0, s2, s44
	s_subb_u32 s1, s3, 0
	s_mov_b32 s2, exec_lo
	s_delay_alu instid0(VALU_DEP_1)
	v_cmpx_gt_i64_e64 s[0:1], v[5:6]
	s_cbranch_execz .LBB207_29
; %bb.8:
	v_and_b32_e32 v7, 63, v0
	s_mov_b32 s4, s45
	s_delay_alu instid0(VALU_DEP_1) | instskip(NEXT) | instid1(VALU_DEP_1)
	v_sub_co_u32 v20, s3, v7, s45
	v_sub_co_ci_u32_e64 v21, null, 0, 0, s3
	s_mov_b32 s3, 0
	s_branch .LBB207_10
.LBB207_9:                              ;   in Loop: Header=BB207_10 Depth=1
	s_or_b32 exec_lo, exec_lo, s5
	v_add_co_u32 v5, vcc_lo, v5, 16
	v_add_co_ci_u32_e32 v6, vcc_lo, 0, v6, vcc_lo
	s_delay_alu instid0(VALU_DEP_1) | instskip(SKIP_1) | instid1(SALU_CYCLE_1)
	v_cmp_le_i64_e32 vcc_lo, s[0:1], v[5:6]
	s_or_b32 s3, vcc_lo, s3
	s_and_not1_b32 exec_lo, exec_lo, s3
	s_cbranch_execz .LBB207_29
.LBB207_10:                             ; =>This Loop Header: Depth=1
                                        ;     Child Loop BB207_13 Depth 2
                                        ;       Child Loop BB207_15 Depth 3
                                        ;         Child Loop BB207_21 Depth 4
                                        ;         Child Loop BB207_27 Depth 4
	v_lshlrev_b64 v[7:8], 2, v[5:6]
	s_mov_b32 s5, exec_lo
	s_delay_alu instid0(VALU_DEP_1) | instskip(NEXT) | instid1(VALU_DEP_2)
	v_add_co_u32 v7, vcc_lo, s6, v7
	v_add_co_ci_u32_e32 v8, vcc_lo, s7, v8, vcc_lo
	global_load_b32 v7, v[7:8], off
	s_waitcnt vmcnt(0)
	v_subrev_nc_u32_e32 v7, s44, v7
	s_delay_alu instid0(VALU_DEP_1) | instskip(NEXT) | instid1(VALU_DEP_1)
	v_ashrrev_i32_e32 v8, 31, v7
	v_lshlrev_b64 v[7:8], 3, v[7:8]
	s_delay_alu instid0(VALU_DEP_1) | instskip(NEXT) | instid1(VALU_DEP_2)
	v_add_co_u32 v7, vcc_lo, s10, v7
	v_add_co_ci_u32_e32 v8, vcc_lo, s11, v8, vcc_lo
	global_load_b128 v[9:12], v[7:8], off
	s_waitcnt vmcnt(0)
	v_sub_co_u32 v7, vcc_lo, v11, s4
	v_subrev_co_ci_u32_e32 v8, vcc_lo, 0, v12, vcc_lo
	v_add_co_u32 v9, vcc_lo, v9, v20
	v_add_co_ci_u32_e32 v10, vcc_lo, v10, v21, vcc_lo
	s_delay_alu instid0(VALU_DEP_1)
	v_cmpx_lt_i64_e64 v[9:10], v[7:8]
	s_cbranch_execz .LBB207_9
; %bb.11:                               ;   in Loop: Header=BB207_10 Depth=1
	v_lshlrev_b64 v[11:12], 3, v[5:6]
	s_mov_b32 s13, 0
	s_delay_alu instid0(VALU_DEP_1) | instskip(NEXT) | instid1(VALU_DEP_2)
	v_add_co_u32 v11, vcc_lo, s8, v11
	v_add_co_ci_u32_e32 v12, vcc_lo, s9, v12, vcc_lo
	global_load_b64 v[11:12], v[11:12], off
	s_waitcnt vmcnt(0)
	v_mul_f64 v[11:12], v[3:4], v[11:12]
	s_branch .LBB207_13
.LBB207_12:                             ;   in Loop: Header=BB207_13 Depth=2
	s_or_b32 exec_lo, exec_lo, s14
	v_add_co_u32 v9, vcc_lo, v9, 64
	v_add_co_ci_u32_e32 v10, vcc_lo, 0, v10, vcc_lo
	s_delay_alu instid0(VALU_DEP_1) | instskip(SKIP_1) | instid1(SALU_CYCLE_1)
	v_cmp_ge_i64_e32 vcc_lo, v[9:10], v[7:8]
	s_or_b32 s13, vcc_lo, s13
	s_and_not1_b32 exec_lo, exec_lo, s13
	s_cbranch_execz .LBB207_9
.LBB207_13:                             ;   Parent Loop BB207_10 Depth=1
                                        ; =>  This Loop Header: Depth=2
                                        ;       Child Loop BB207_15 Depth 3
                                        ;         Child Loop BB207_21 Depth 4
                                        ;         Child Loop BB207_27 Depth 4
	v_lshlrev_b64 v[13:14], 3, v[9:10]
	v_lshlrev_b64 v[15:16], 2, v[9:10]
	s_mov_b32 s14, 0
	s_delay_alu instid0(VALU_DEP_2) | instskip(NEXT) | instid1(VALU_DEP_3)
	v_add_co_u32 v13, vcc_lo, s18, v13
	v_add_co_ci_u32_e32 v14, vcc_lo, s19, v14, vcc_lo
	s_delay_alu instid0(VALU_DEP_3) | instskip(NEXT) | instid1(VALU_DEP_4)
	v_add_co_u32 v15, vcc_lo, s16, v15
	v_add_co_ci_u32_e32 v16, vcc_lo, s17, v16, vcc_lo
	global_load_b64 v[13:14], v[13:14], off
	global_load_b32 v15, v[15:16], off
	s_waitcnt vmcnt(1)
	v_mul_f64 v[13:14], v[11:12], v[13:14]
	s_waitcnt vmcnt(0)
	v_subrev_nc_u32_e32 v22, s45, v15
	s_delay_alu instid0(VALU_DEP_1) | instskip(NEXT) | instid1(VALU_DEP_1)
	v_mul_lo_u32 v15, 0x89, v22
	v_and_b32_e32 v23, 0xfff, v15
	s_branch .LBB207_15
.LBB207_14:                             ;   in Loop: Header=BB207_15 Depth=3
	s_or_b32 exec_lo, exec_lo, s15
	s_xor_b32 s15, s20, -1
	s_delay_alu instid0(SALU_CYCLE_1) | instskip(NEXT) | instid1(SALU_CYCLE_1)
	s_and_b32 s15, exec_lo, s15
	s_or_b32 s14, s15, s14
	s_delay_alu instid0(SALU_CYCLE_1)
	s_and_not1_b32 exec_lo, exec_lo, s14
	s_cbranch_execz .LBB207_12
.LBB207_15:                             ;   Parent Loop BB207_10 Depth=1
                                        ;     Parent Loop BB207_13 Depth=2
                                        ; =>    This Loop Header: Depth=3
                                        ;         Child Loop BB207_21 Depth 4
                                        ;         Child Loop BB207_27 Depth 4
	s_delay_alu instid0(VALU_DEP_1)
	v_lshl_add_u32 v15, v23, 2, 0
	s_mov_b32 s15, exec_lo
                                        ; implicit-def: $sgpr20
	ds_load_b32 v16, v15
	s_waitcnt lgkmcnt(0)
	v_cmpx_ne_u32_e64 v16, v22
	s_xor_b32 s15, exec_lo, s15
	s_cbranch_execz .LBB207_25
; %bb.16:                               ;   in Loop: Header=BB207_15 Depth=3
	s_mov_b32 s21, exec_lo
                                        ; implicit-def: $sgpr20
	v_cmpx_ne_u32_e64 s33, v16
	s_xor_b32 s21, exec_lo, s21
; %bb.17:                               ;   in Loop: Header=BB207_15 Depth=3
	v_add_nc_u32_e32 v15, 1, v23
	s_mov_b32 s20, -1
	s_delay_alu instid0(VALU_DEP_1)
	v_and_b32_e32 v23, 0xfff, v15
                                        ; implicit-def: $vgpr15
; %bb.18:                               ;   in Loop: Header=BB207_15 Depth=3
	s_and_not1_saveexec_b32 s21, s21
	s_cbranch_execz .LBB207_24
; %bb.19:                               ;   in Loop: Header=BB207_15 Depth=3
	v_mov_b32_e32 v16, s33
	s_mov_b32 s23, -1
	s_mov_b32 s22, exec_lo
	ds_cmpstore_rtn_b32 v16, v15, v22, v16
	s_waitcnt lgkmcnt(0)
	v_cmpx_eq_u32_e64 s33, v16
	s_cbranch_execz .LBB207_23
; %bb.20:                               ;   in Loop: Header=BB207_15 Depth=3
	v_lshlrev_b32_e32 v16, 2, v23
	s_mov_b32 s23, 0
	s_delay_alu instid0(VALU_DEP_1)
	v_add_nc_u32_e32 v24, v15, v16
	ds_load_b64 v[15:16], v24 offset:16384
.LBB207_21:                             ;   Parent Loop BB207_10 Depth=1
                                        ;     Parent Loop BB207_13 Depth=2
                                        ;       Parent Loop BB207_15 Depth=3
                                        ; =>      This Inner Loop Header: Depth=4
	s_waitcnt lgkmcnt(0)
	v_add_f64 v[25:26], v[15:16], v[13:14]
	ds_cmpstore_rtn_b64 v[25:26], v24, v[25:26], v[15:16] offset:16384
	s_waitcnt lgkmcnt(0)
	v_cmp_eq_u64_e32 vcc_lo, v[25:26], v[15:16]
	v_dual_mov_b32 v15, v25 :: v_dual_mov_b32 v16, v26
	s_or_b32 s23, vcc_lo, s23
	s_delay_alu instid0(SALU_CYCLE_1)
	s_and_not1_b32 exec_lo, exec_lo, s23
	s_cbranch_execnz .LBB207_21
; %bb.22:                               ;   in Loop: Header=BB207_15 Depth=3
	s_or_b32 exec_lo, exec_lo, s23
	s_delay_alu instid0(SALU_CYCLE_1)
	s_xor_b32 s23, exec_lo, -1
.LBB207_23:                             ;   in Loop: Header=BB207_15 Depth=3
	s_or_b32 exec_lo, exec_lo, s22
	s_delay_alu instid0(SALU_CYCLE_1) | instskip(SKIP_1) | instid1(SALU_CYCLE_1)
	s_and_not1_b32 s20, s20, exec_lo
	s_and_b32 s22, s23, exec_lo
	s_or_b32 s20, s20, s22
.LBB207_24:                             ;   in Loop: Header=BB207_15 Depth=3
	s_or_b32 exec_lo, exec_lo, s21
	s_delay_alu instid0(SALU_CYCLE_1)
	s_and_b32 s20, s20, exec_lo
                                        ; implicit-def: $vgpr15
.LBB207_25:                             ;   in Loop: Header=BB207_15 Depth=3
	s_and_not1_saveexec_b32 s15, s15
	s_cbranch_execz .LBB207_14
; %bb.26:                               ;   in Loop: Header=BB207_15 Depth=3
	v_lshlrev_b32_e32 v16, 2, v23
	s_mov_b32 s21, 0
	s_delay_alu instid0(VALU_DEP_1)
	v_add_nc_u32_e32 v24, v15, v16
	ds_load_b64 v[15:16], v24 offset:16384
.LBB207_27:                             ;   Parent Loop BB207_10 Depth=1
                                        ;     Parent Loop BB207_13 Depth=2
                                        ;       Parent Loop BB207_15 Depth=3
                                        ; =>      This Inner Loop Header: Depth=4
	s_waitcnt lgkmcnt(0)
	v_add_f64 v[25:26], v[15:16], v[13:14]
	ds_cmpstore_rtn_b64 v[25:26], v24, v[25:26], v[15:16] offset:16384
	s_waitcnt lgkmcnt(0)
	v_cmp_eq_u64_e32 vcc_lo, v[25:26], v[15:16]
	v_dual_mov_b32 v15, v25 :: v_dual_mov_b32 v16, v26
	s_or_b32 s21, vcc_lo, s21
	s_delay_alu instid0(SALU_CYCLE_1)
	s_and_not1_b32 exec_lo, exec_lo, s21
	s_cbranch_execnz .LBB207_27
; %bb.28:                               ;   in Loop: Header=BB207_15 Depth=3
	s_or_b32 exec_lo, exec_lo, s21
	s_delay_alu instid0(SALU_CYCLE_1)
	s_and_not1_b32 s20, s20, exec_lo
	s_branch .LBB207_14
.LBB207_29:
	s_or_b32 exec_lo, exec_lo, s2
.LBB207_30:
	s_delay_alu instid0(SALU_CYCLE_1)
	s_and_not1_b32 vcc_lo, exec_lo, s12
	s_cbranch_vccnz .LBB207_33
; %bb.31:
	s_waitcnt lgkmcnt(0)
	s_ashr_i32 s35, s34, 31
	v_sub_co_u32 v3, s4, v0, s47
	s_lshl_b64 s[0:1], s[34:35], 3
	v_sub_co_ci_u32_e64 v4, null, 0, 0, s4
	s_add_u32 s0, s36, s0
	s_addc_u32 s1, s37, s1
	s_load_b128 s[0:3], s[0:1], 0x0
	s_waitcnt lgkmcnt(0)
	v_add_co_u32 v3, vcc_lo, s0, v3
	v_add_co_ci_u32_e32 v4, vcc_lo, s1, v4, vcc_lo
	s_sub_u32 s0, s2, s47
	s_subb_u32 s1, s3, 0
	s_mov_b32 s3, 0
	s_mov_b32 s2, exec_lo
	v_cmpx_gt_i64_e64 s[0:1], v[3:4]
	s_cbranch_execnz .LBB207_102
.LBB207_32:
	s_or_b32 exec_lo, exec_lo, s2
.LBB207_33:
	v_mbcnt_lo_u32_b32 v1, -1, 0
	v_lshrrev_b32_e32 v2, 3, v0
	v_cmp_eq_u32_e32 vcc_lo, 0x3ff, v0
	v_cmp_lt_u32_e64 s0, 31, v0
	v_cmp_lt_u32_e64 s1, 63, v0
	v_xor_b32_e32 v1, 63, v1
	v_dual_mov_b32 v6, 0 :: v_dual_and_b32 v3, 0x7c, v2
	v_cmp_lt_u32_e64 s2, 0x5f, v0
	v_cmp_lt_u32_e64 s3, 0x7f, v0
	s_delay_alu instid0(VALU_DEP_4) | instskip(NEXT) | instid1(VALU_DEP_4)
	v_lshrrev_b64 v[1:2], v1, -1
	v_dual_mov_b32 v5, 0 :: v_dual_add_nc_u32 v4, 0, v3
	v_cmp_lt_u32_e64 s4, 0x9f, v0
	v_cmp_lt_u32_e64 s5, 0xbf, v0
	;; [unrolled: 1-line block ×27, first 2 shown]
	s_mov_b32 s35, 0
	s_waitcnt lgkmcnt(0)
	s_barrier
	buffer_gl0_inv
	s_branch .LBB207_35
.LBB207_34:                             ;   in Loop: Header=BB207_35 Depth=1
	s_or_b32 exec_lo, exec_lo, s31
	s_waitcnt lgkmcnt(0)
	s_barrier
	buffer_gl0_inv
	ds_load_b32 v2, v5 offset:49276
	v_add_nc_u32_e32 v18, 0x400, v18
	v_add_nc_u32_e32 v19, 0x2000, v19
	v_add_nc_u32_e32 v17, 0x1000, v17
	s_delay_alu instid0(VALU_DEP_3) | instskip(NEXT) | instid1(VALU_DEP_1)
	v_cmp_lt_u32_e64 s31, 0xbff, v18
	s_or_b32 s35, s31, s35
	s_waitcnt lgkmcnt(0)
	v_add_nc_u32_e32 v6, v2, v6
	s_and_not1_b32 exec_lo, exec_lo, s35
	s_cbranch_execz .LBB207_118
.LBB207_35:                             ; =>This Inner Loop Header: Depth=1
	ds_load_b32 v7, v17
	ds_load_b64 v[2:3], v19
	s_waitcnt lgkmcnt(0)
	s_barrier
	buffer_gl0_inv
	v_cmp_gt_i32_e64 s31, s33, v7
	s_delay_alu instid0(VALU_DEP_1) | instskip(NEXT) | instid1(SALU_CYCLE_1)
	s_bcnt1_i32_b32 s36, s31
	v_dual_mov_b32 v9, s36 :: v_dual_and_b32 v8, s31, v1
	s_delay_alu instid0(VALU_DEP_1)
	v_bcnt_u32_b32 v8, v8, 0
	ds_store_b32 v4, v9 offset:49152
	s_waitcnt lgkmcnt(0)
	s_barrier
	buffer_gl0_inv
	s_and_saveexec_b32 s36, s0
	s_cbranch_execnz .LBB207_68
; %bb.36:                               ;   in Loop: Header=BB207_35 Depth=1
	s_or_b32 exec_lo, exec_lo, s36
	s_and_saveexec_b32 s36, s1
	s_cbranch_execnz .LBB207_69
.LBB207_37:                             ;   in Loop: Header=BB207_35 Depth=1
	s_or_b32 exec_lo, exec_lo, s36
	s_and_saveexec_b32 s36, s2
	s_cbranch_execnz .LBB207_70
.LBB207_38:                             ;   in Loop: Header=BB207_35 Depth=1
	s_or_b32 exec_lo, exec_lo, s36
	s_and_saveexec_b32 s36, s3
	s_cbranch_execnz .LBB207_71
.LBB207_39:                             ;   in Loop: Header=BB207_35 Depth=1
	s_or_b32 exec_lo, exec_lo, s36
	s_and_saveexec_b32 s36, s4
	s_cbranch_execnz .LBB207_72
.LBB207_40:                             ;   in Loop: Header=BB207_35 Depth=1
	s_or_b32 exec_lo, exec_lo, s36
	s_and_saveexec_b32 s36, s5
	s_cbranch_execnz .LBB207_73
.LBB207_41:                             ;   in Loop: Header=BB207_35 Depth=1
	s_or_b32 exec_lo, exec_lo, s36
	s_and_saveexec_b32 s36, s6
	s_cbranch_execnz .LBB207_74
.LBB207_42:                             ;   in Loop: Header=BB207_35 Depth=1
	s_or_b32 exec_lo, exec_lo, s36
	s_and_saveexec_b32 s36, s7
	s_cbranch_execnz .LBB207_75
.LBB207_43:                             ;   in Loop: Header=BB207_35 Depth=1
	s_or_b32 exec_lo, exec_lo, s36
	s_and_saveexec_b32 s36, s8
	s_cbranch_execnz .LBB207_76
.LBB207_44:                             ;   in Loop: Header=BB207_35 Depth=1
	s_or_b32 exec_lo, exec_lo, s36
	s_and_saveexec_b32 s36, s9
	s_cbranch_execnz .LBB207_77
.LBB207_45:                             ;   in Loop: Header=BB207_35 Depth=1
	s_or_b32 exec_lo, exec_lo, s36
	s_and_saveexec_b32 s36, s10
	s_cbranch_execnz .LBB207_78
.LBB207_46:                             ;   in Loop: Header=BB207_35 Depth=1
	s_or_b32 exec_lo, exec_lo, s36
	s_and_saveexec_b32 s36, s11
	s_cbranch_execnz .LBB207_79
.LBB207_47:                             ;   in Loop: Header=BB207_35 Depth=1
	s_or_b32 exec_lo, exec_lo, s36
	s_and_saveexec_b32 s36, s12
	s_cbranch_execnz .LBB207_80
.LBB207_48:                             ;   in Loop: Header=BB207_35 Depth=1
	s_or_b32 exec_lo, exec_lo, s36
	s_and_saveexec_b32 s36, s13
	s_cbranch_execnz .LBB207_81
.LBB207_49:                             ;   in Loop: Header=BB207_35 Depth=1
	s_or_b32 exec_lo, exec_lo, s36
	s_and_saveexec_b32 s36, s14
	s_cbranch_execnz .LBB207_82
.LBB207_50:                             ;   in Loop: Header=BB207_35 Depth=1
	s_or_b32 exec_lo, exec_lo, s36
	s_and_saveexec_b32 s36, s15
	s_cbranch_execnz .LBB207_83
.LBB207_51:                             ;   in Loop: Header=BB207_35 Depth=1
	s_or_b32 exec_lo, exec_lo, s36
	s_and_saveexec_b32 s36, s16
	s_cbranch_execnz .LBB207_84
.LBB207_52:                             ;   in Loop: Header=BB207_35 Depth=1
	s_or_b32 exec_lo, exec_lo, s36
	s_and_saveexec_b32 s36, s17
	s_cbranch_execnz .LBB207_85
.LBB207_53:                             ;   in Loop: Header=BB207_35 Depth=1
	s_or_b32 exec_lo, exec_lo, s36
	s_and_saveexec_b32 s36, s18
	s_cbranch_execnz .LBB207_86
.LBB207_54:                             ;   in Loop: Header=BB207_35 Depth=1
	s_or_b32 exec_lo, exec_lo, s36
	s_and_saveexec_b32 s36, s19
	s_cbranch_execnz .LBB207_87
.LBB207_55:                             ;   in Loop: Header=BB207_35 Depth=1
	s_or_b32 exec_lo, exec_lo, s36
	s_and_saveexec_b32 s36, s20
	s_cbranch_execnz .LBB207_88
.LBB207_56:                             ;   in Loop: Header=BB207_35 Depth=1
	s_or_b32 exec_lo, exec_lo, s36
	s_and_saveexec_b32 s36, s21
	s_cbranch_execnz .LBB207_89
.LBB207_57:                             ;   in Loop: Header=BB207_35 Depth=1
	s_or_b32 exec_lo, exec_lo, s36
	s_and_saveexec_b32 s36, s22
	s_cbranch_execnz .LBB207_90
.LBB207_58:                             ;   in Loop: Header=BB207_35 Depth=1
	s_or_b32 exec_lo, exec_lo, s36
	s_and_saveexec_b32 s36, s23
	s_cbranch_execnz .LBB207_91
.LBB207_59:                             ;   in Loop: Header=BB207_35 Depth=1
	s_or_b32 exec_lo, exec_lo, s36
	s_and_saveexec_b32 s36, s24
	s_cbranch_execnz .LBB207_92
.LBB207_60:                             ;   in Loop: Header=BB207_35 Depth=1
	s_or_b32 exec_lo, exec_lo, s36
	s_and_saveexec_b32 s36, s25
	s_cbranch_execnz .LBB207_93
.LBB207_61:                             ;   in Loop: Header=BB207_35 Depth=1
	s_or_b32 exec_lo, exec_lo, s36
	s_and_saveexec_b32 s36, s26
	s_cbranch_execnz .LBB207_94
.LBB207_62:                             ;   in Loop: Header=BB207_35 Depth=1
	s_or_b32 exec_lo, exec_lo, s36
	s_and_saveexec_b32 s36, s27
	s_cbranch_execnz .LBB207_95
.LBB207_63:                             ;   in Loop: Header=BB207_35 Depth=1
	s_or_b32 exec_lo, exec_lo, s36
	s_and_saveexec_b32 s36, s28
	s_cbranch_execnz .LBB207_96
.LBB207_64:                             ;   in Loop: Header=BB207_35 Depth=1
	s_or_b32 exec_lo, exec_lo, s36
	s_and_saveexec_b32 s36, s29
	s_cbranch_execnz .LBB207_97
.LBB207_65:                             ;   in Loop: Header=BB207_35 Depth=1
	s_or_b32 exec_lo, exec_lo, s36
	s_and_saveexec_b32 s36, s30
	s_cbranch_execnz .LBB207_98
.LBB207_66:                             ;   in Loop: Header=BB207_35 Depth=1
	s_or_b32 exec_lo, exec_lo, s36
	s_and_saveexec_b32 s36, s31
	s_cbranch_execnz .LBB207_99
.LBB207_67:                             ;   in Loop: Header=BB207_35 Depth=1
	s_or_b32 exec_lo, exec_lo, s36
	s_and_saveexec_b32 s31, vcc_lo
	s_cbranch_execz .LBB207_34
	s_branch .LBB207_100
.LBB207_68:                             ;   in Loop: Header=BB207_35 Depth=1
	ds_load_b32 v9, v5 offset:49152
	s_waitcnt lgkmcnt(0)
	v_add_nc_u32_e32 v8, v9, v8
	s_or_b32 exec_lo, exec_lo, s36
	s_and_saveexec_b32 s36, s1
	s_cbranch_execz .LBB207_37
.LBB207_69:                             ;   in Loop: Header=BB207_35 Depth=1
	ds_load_b32 v9, v5 offset:49156
	s_waitcnt lgkmcnt(0)
	v_add_nc_u32_e32 v8, v9, v8
	s_or_b32 exec_lo, exec_lo, s36
	s_and_saveexec_b32 s36, s2
	s_cbranch_execz .LBB207_38
.LBB207_70:                             ;   in Loop: Header=BB207_35 Depth=1
	ds_load_b32 v9, v5 offset:49160
	s_waitcnt lgkmcnt(0)
	v_add_nc_u32_e32 v8, v9, v8
	s_or_b32 exec_lo, exec_lo, s36
	s_and_saveexec_b32 s36, s3
	s_cbranch_execz .LBB207_39
.LBB207_71:                             ;   in Loop: Header=BB207_35 Depth=1
	ds_load_b32 v9, v5 offset:49164
	s_waitcnt lgkmcnt(0)
	v_add_nc_u32_e32 v8, v9, v8
	s_or_b32 exec_lo, exec_lo, s36
	s_and_saveexec_b32 s36, s4
	s_cbranch_execz .LBB207_40
.LBB207_72:                             ;   in Loop: Header=BB207_35 Depth=1
	ds_load_b32 v9, v5 offset:49168
	s_waitcnt lgkmcnt(0)
	v_add_nc_u32_e32 v8, v9, v8
	s_or_b32 exec_lo, exec_lo, s36
	s_and_saveexec_b32 s36, s5
	s_cbranch_execz .LBB207_41
.LBB207_73:                             ;   in Loop: Header=BB207_35 Depth=1
	ds_load_b32 v9, v5 offset:49172
	s_waitcnt lgkmcnt(0)
	v_add_nc_u32_e32 v8, v9, v8
	s_or_b32 exec_lo, exec_lo, s36
	s_and_saveexec_b32 s36, s6
	s_cbranch_execz .LBB207_42
.LBB207_74:                             ;   in Loop: Header=BB207_35 Depth=1
	ds_load_b32 v9, v5 offset:49176
	s_waitcnt lgkmcnt(0)
	v_add_nc_u32_e32 v8, v9, v8
	s_or_b32 exec_lo, exec_lo, s36
	s_and_saveexec_b32 s36, s7
	s_cbranch_execz .LBB207_43
.LBB207_75:                             ;   in Loop: Header=BB207_35 Depth=1
	ds_load_b32 v9, v5 offset:49180
	s_waitcnt lgkmcnt(0)
	v_add_nc_u32_e32 v8, v9, v8
	s_or_b32 exec_lo, exec_lo, s36
	s_and_saveexec_b32 s36, s8
	s_cbranch_execz .LBB207_44
.LBB207_76:                             ;   in Loop: Header=BB207_35 Depth=1
	ds_load_b32 v9, v5 offset:49184
	s_waitcnt lgkmcnt(0)
	v_add_nc_u32_e32 v8, v9, v8
	s_or_b32 exec_lo, exec_lo, s36
	s_and_saveexec_b32 s36, s9
	s_cbranch_execz .LBB207_45
.LBB207_77:                             ;   in Loop: Header=BB207_35 Depth=1
	ds_load_b32 v9, v5 offset:49188
	s_waitcnt lgkmcnt(0)
	v_add_nc_u32_e32 v8, v9, v8
	s_or_b32 exec_lo, exec_lo, s36
	s_and_saveexec_b32 s36, s10
	s_cbranch_execz .LBB207_46
.LBB207_78:                             ;   in Loop: Header=BB207_35 Depth=1
	ds_load_b32 v9, v5 offset:49192
	s_waitcnt lgkmcnt(0)
	v_add_nc_u32_e32 v8, v9, v8
	s_or_b32 exec_lo, exec_lo, s36
	s_and_saveexec_b32 s36, s11
	s_cbranch_execz .LBB207_47
.LBB207_79:                             ;   in Loop: Header=BB207_35 Depth=1
	ds_load_b32 v9, v5 offset:49196
	s_waitcnt lgkmcnt(0)
	v_add_nc_u32_e32 v8, v9, v8
	s_or_b32 exec_lo, exec_lo, s36
	s_and_saveexec_b32 s36, s12
	s_cbranch_execz .LBB207_48
.LBB207_80:                             ;   in Loop: Header=BB207_35 Depth=1
	ds_load_b32 v9, v5 offset:49200
	s_waitcnt lgkmcnt(0)
	v_add_nc_u32_e32 v8, v9, v8
	s_or_b32 exec_lo, exec_lo, s36
	s_and_saveexec_b32 s36, s13
	s_cbranch_execz .LBB207_49
.LBB207_81:                             ;   in Loop: Header=BB207_35 Depth=1
	ds_load_b32 v9, v5 offset:49204
	s_waitcnt lgkmcnt(0)
	v_add_nc_u32_e32 v8, v9, v8
	s_or_b32 exec_lo, exec_lo, s36
	s_and_saveexec_b32 s36, s14
	s_cbranch_execz .LBB207_50
.LBB207_82:                             ;   in Loop: Header=BB207_35 Depth=1
	ds_load_b32 v9, v5 offset:49208
	s_waitcnt lgkmcnt(0)
	v_add_nc_u32_e32 v8, v9, v8
	s_or_b32 exec_lo, exec_lo, s36
	s_and_saveexec_b32 s36, s15
	s_cbranch_execz .LBB207_51
.LBB207_83:                             ;   in Loop: Header=BB207_35 Depth=1
	ds_load_b32 v9, v5 offset:49212
	s_waitcnt lgkmcnt(0)
	v_add_nc_u32_e32 v8, v9, v8
	s_or_b32 exec_lo, exec_lo, s36
	s_and_saveexec_b32 s36, s16
	s_cbranch_execz .LBB207_52
.LBB207_84:                             ;   in Loop: Header=BB207_35 Depth=1
	ds_load_b32 v9, v5 offset:49216
	s_waitcnt lgkmcnt(0)
	v_add_nc_u32_e32 v8, v9, v8
	s_or_b32 exec_lo, exec_lo, s36
	s_and_saveexec_b32 s36, s17
	s_cbranch_execz .LBB207_53
.LBB207_85:                             ;   in Loop: Header=BB207_35 Depth=1
	ds_load_b32 v9, v5 offset:49220
	s_waitcnt lgkmcnt(0)
	v_add_nc_u32_e32 v8, v9, v8
	s_or_b32 exec_lo, exec_lo, s36
	s_and_saveexec_b32 s36, s18
	s_cbranch_execz .LBB207_54
.LBB207_86:                             ;   in Loop: Header=BB207_35 Depth=1
	ds_load_b32 v9, v5 offset:49224
	s_waitcnt lgkmcnt(0)
	v_add_nc_u32_e32 v8, v9, v8
	s_or_b32 exec_lo, exec_lo, s36
	s_and_saveexec_b32 s36, s19
	s_cbranch_execz .LBB207_55
.LBB207_87:                             ;   in Loop: Header=BB207_35 Depth=1
	ds_load_b32 v9, v5 offset:49228
	s_waitcnt lgkmcnt(0)
	v_add_nc_u32_e32 v8, v9, v8
	s_or_b32 exec_lo, exec_lo, s36
	s_and_saveexec_b32 s36, s20
	s_cbranch_execz .LBB207_56
.LBB207_88:                             ;   in Loop: Header=BB207_35 Depth=1
	ds_load_b32 v9, v5 offset:49232
	s_waitcnt lgkmcnt(0)
	v_add_nc_u32_e32 v8, v9, v8
	s_or_b32 exec_lo, exec_lo, s36
	s_and_saveexec_b32 s36, s21
	s_cbranch_execz .LBB207_57
.LBB207_89:                             ;   in Loop: Header=BB207_35 Depth=1
	ds_load_b32 v9, v5 offset:49236
	s_waitcnt lgkmcnt(0)
	v_add_nc_u32_e32 v8, v9, v8
	s_or_b32 exec_lo, exec_lo, s36
	s_and_saveexec_b32 s36, s22
	s_cbranch_execz .LBB207_58
.LBB207_90:                             ;   in Loop: Header=BB207_35 Depth=1
	ds_load_b32 v9, v5 offset:49240
	s_waitcnt lgkmcnt(0)
	v_add_nc_u32_e32 v8, v9, v8
	s_or_b32 exec_lo, exec_lo, s36
	s_and_saveexec_b32 s36, s23
	s_cbranch_execz .LBB207_59
.LBB207_91:                             ;   in Loop: Header=BB207_35 Depth=1
	ds_load_b32 v9, v5 offset:49244
	s_waitcnt lgkmcnt(0)
	v_add_nc_u32_e32 v8, v9, v8
	s_or_b32 exec_lo, exec_lo, s36
	s_and_saveexec_b32 s36, s24
	s_cbranch_execz .LBB207_60
.LBB207_92:                             ;   in Loop: Header=BB207_35 Depth=1
	ds_load_b32 v9, v5 offset:49248
	s_waitcnt lgkmcnt(0)
	v_add_nc_u32_e32 v8, v9, v8
	s_or_b32 exec_lo, exec_lo, s36
	s_and_saveexec_b32 s36, s25
	s_cbranch_execz .LBB207_61
.LBB207_93:                             ;   in Loop: Header=BB207_35 Depth=1
	ds_load_b32 v9, v5 offset:49252
	s_waitcnt lgkmcnt(0)
	v_add_nc_u32_e32 v8, v9, v8
	s_or_b32 exec_lo, exec_lo, s36
	s_and_saveexec_b32 s36, s26
	s_cbranch_execz .LBB207_62
.LBB207_94:                             ;   in Loop: Header=BB207_35 Depth=1
	ds_load_b32 v9, v5 offset:49256
	s_waitcnt lgkmcnt(0)
	v_add_nc_u32_e32 v8, v9, v8
	s_or_b32 exec_lo, exec_lo, s36
	s_and_saveexec_b32 s36, s27
	s_cbranch_execz .LBB207_63
.LBB207_95:                             ;   in Loop: Header=BB207_35 Depth=1
	ds_load_b32 v9, v5 offset:49260
	s_waitcnt lgkmcnt(0)
	v_add_nc_u32_e32 v8, v9, v8
	s_or_b32 exec_lo, exec_lo, s36
	s_and_saveexec_b32 s36, s28
	s_cbranch_execz .LBB207_64
.LBB207_96:                             ;   in Loop: Header=BB207_35 Depth=1
	ds_load_b32 v9, v5 offset:49264
	s_waitcnt lgkmcnt(0)
	v_add_nc_u32_e32 v8, v9, v8
	s_or_b32 exec_lo, exec_lo, s36
	s_and_saveexec_b32 s36, s29
	s_cbranch_execz .LBB207_65
.LBB207_97:                             ;   in Loop: Header=BB207_35 Depth=1
	ds_load_b32 v9, v5 offset:49268
	s_waitcnt lgkmcnt(0)
	v_add_nc_u32_e32 v8, v9, v8
	s_or_b32 exec_lo, exec_lo, s36
	s_and_saveexec_b32 s36, s30
	s_cbranch_execz .LBB207_66
.LBB207_98:                             ;   in Loop: Header=BB207_35 Depth=1
	ds_load_b32 v9, v5 offset:49272
	s_waitcnt lgkmcnt(0)
	v_add_nc_u32_e32 v8, v9, v8
	s_or_b32 exec_lo, exec_lo, s36
	s_and_saveexec_b32 s36, s31
	s_cbranch_execz .LBB207_67
.LBB207_99:                             ;   in Loop: Header=BB207_35 Depth=1
	s_delay_alu instid0(VALU_DEP_1) | instskip(NEXT) | instid1(VALU_DEP_1)
	v_add3_u32 v9, v6, -1, v8
	v_lshl_add_u32 v10, v9, 2, 0
	v_lshl_add_u32 v9, v9, 3, 0
	ds_store_b32 v10, v7
	ds_store_b64 v9, v[2:3] offset:16384
	s_or_b32 exec_lo, exec_lo, s36
	s_and_saveexec_b32 s31, vcc_lo
	s_cbranch_execz .LBB207_34
.LBB207_100:                            ;   in Loop: Header=BB207_35 Depth=1
	ds_store_b32 v5, v8 offset:49276
	s_branch .LBB207_34
.LBB207_101:                            ;   in Loop: Header=BB207_102 Depth=1
	s_or_b32 exec_lo, exec_lo, s4
	v_add_co_u32 v3, vcc_lo, 0x400, v3
	v_add_co_ci_u32_e32 v4, vcc_lo, 0, v4, vcc_lo
	s_delay_alu instid0(VALU_DEP_1) | instskip(SKIP_1) | instid1(SALU_CYCLE_1)
	v_cmp_le_i64_e32 vcc_lo, s[0:1], v[3:4]
	s_or_b32 s3, vcc_lo, s3
	s_and_not1_b32 exec_lo, exec_lo, s3
	s_cbranch_execz .LBB207_32
.LBB207_102:                            ; =>This Loop Header: Depth=1
                                        ;     Child Loop BB207_104 Depth 2
                                        ;       Child Loop BB207_110 Depth 3
                                        ;       Child Loop BB207_116 Depth 3
	v_lshlrev_b64 v[5:6], 3, v[3:4]
	v_lshlrev_b64 v[7:8], 2, v[3:4]
	s_mov_b32 s4, 0
	s_delay_alu instid0(VALU_DEP_2) | instskip(NEXT) | instid1(VALU_DEP_3)
	v_add_co_u32 v5, vcc_lo, s40, v5
	v_add_co_ci_u32_e32 v6, vcc_lo, s41, v6, vcc_lo
	s_delay_alu instid0(VALU_DEP_3) | instskip(NEXT) | instid1(VALU_DEP_4)
	v_add_co_u32 v7, vcc_lo, s38, v7
	v_add_co_ci_u32_e32 v8, vcc_lo, s39, v8, vcc_lo
	global_load_b64 v[5:6], v[5:6], off
	global_load_b32 v7, v[7:8], off
	s_waitcnt vmcnt(1)
	v_mul_f64 v[5:6], v[1:2], v[5:6]
	s_waitcnt vmcnt(0)
	v_subrev_nc_u32_e32 v9, s47, v7
	s_delay_alu instid0(VALU_DEP_1) | instskip(NEXT) | instid1(VALU_DEP_1)
	v_mul_lo_u32 v7, 0x89, v9
	v_and_b32_e32 v10, 0xfff, v7
	s_branch .LBB207_104
.LBB207_103:                            ;   in Loop: Header=BB207_104 Depth=2
	s_or_b32 exec_lo, exec_lo, s5
	s_xor_b32 s5, s6, -1
	s_delay_alu instid0(SALU_CYCLE_1) | instskip(NEXT) | instid1(SALU_CYCLE_1)
	s_and_b32 s5, exec_lo, s5
	s_or_b32 s4, s5, s4
	s_delay_alu instid0(SALU_CYCLE_1)
	s_and_not1_b32 exec_lo, exec_lo, s4
	s_cbranch_execz .LBB207_101
.LBB207_104:                            ;   Parent Loop BB207_102 Depth=1
                                        ; =>  This Loop Header: Depth=2
                                        ;       Child Loop BB207_110 Depth 3
                                        ;       Child Loop BB207_116 Depth 3
	s_delay_alu instid0(VALU_DEP_1)
	v_lshl_add_u32 v7, v10, 2, 0
	s_mov_b32 s5, exec_lo
                                        ; implicit-def: $sgpr6
	ds_load_b32 v8, v7
	s_waitcnt lgkmcnt(0)
	v_cmpx_ne_u32_e64 v8, v9
	s_xor_b32 s5, exec_lo, s5
	s_cbranch_execz .LBB207_114
; %bb.105:                              ;   in Loop: Header=BB207_104 Depth=2
	s_mov_b32 s7, exec_lo
                                        ; implicit-def: $sgpr6
	v_cmpx_ne_u32_e64 s33, v8
	s_xor_b32 s7, exec_lo, s7
; %bb.106:                              ;   in Loop: Header=BB207_104 Depth=2
	v_add_nc_u32_e32 v7, 1, v10
	s_mov_b32 s6, -1
	s_delay_alu instid0(VALU_DEP_1)
	v_and_b32_e32 v10, 0xfff, v7
                                        ; implicit-def: $vgpr7
; %bb.107:                              ;   in Loop: Header=BB207_104 Depth=2
	s_and_not1_saveexec_b32 s7, s7
	s_cbranch_execz .LBB207_113
; %bb.108:                              ;   in Loop: Header=BB207_104 Depth=2
	v_mov_b32_e32 v8, s33
	s_mov_b32 s9, -1
	s_mov_b32 s8, exec_lo
	ds_cmpstore_rtn_b32 v8, v7, v9, v8
	s_waitcnt lgkmcnt(0)
	v_cmpx_eq_u32_e64 s33, v8
	s_cbranch_execz .LBB207_112
; %bb.109:                              ;   in Loop: Header=BB207_104 Depth=2
	v_lshlrev_b32_e32 v8, 2, v10
	s_mov_b32 s9, 0
	s_delay_alu instid0(VALU_DEP_1)
	v_add_nc_u32_e32 v11, v7, v8
	ds_load_b64 v[7:8], v11 offset:16384
.LBB207_110:                            ;   Parent Loop BB207_102 Depth=1
                                        ;     Parent Loop BB207_104 Depth=2
                                        ; =>    This Inner Loop Header: Depth=3
	s_waitcnt lgkmcnt(0)
	v_add_f64 v[12:13], v[7:8], v[5:6]
	ds_cmpstore_rtn_b64 v[12:13], v11, v[12:13], v[7:8] offset:16384
	s_waitcnt lgkmcnt(0)
	v_cmp_eq_u64_e32 vcc_lo, v[12:13], v[7:8]
	v_dual_mov_b32 v7, v12 :: v_dual_mov_b32 v8, v13
	s_or_b32 s9, vcc_lo, s9
	s_delay_alu instid0(SALU_CYCLE_1)
	s_and_not1_b32 exec_lo, exec_lo, s9
	s_cbranch_execnz .LBB207_110
; %bb.111:                              ;   in Loop: Header=BB207_104 Depth=2
	s_or_b32 exec_lo, exec_lo, s9
	s_delay_alu instid0(SALU_CYCLE_1)
	s_xor_b32 s9, exec_lo, -1
.LBB207_112:                            ;   in Loop: Header=BB207_104 Depth=2
	s_or_b32 exec_lo, exec_lo, s8
	s_delay_alu instid0(SALU_CYCLE_1) | instskip(SKIP_1) | instid1(SALU_CYCLE_1)
	s_and_not1_b32 s6, s6, exec_lo
	s_and_b32 s8, s9, exec_lo
	s_or_b32 s6, s6, s8
.LBB207_113:                            ;   in Loop: Header=BB207_104 Depth=2
	s_or_b32 exec_lo, exec_lo, s7
	s_delay_alu instid0(SALU_CYCLE_1)
	s_and_b32 s6, s6, exec_lo
                                        ; implicit-def: $vgpr7
.LBB207_114:                            ;   in Loop: Header=BB207_104 Depth=2
	s_and_not1_saveexec_b32 s5, s5
	s_cbranch_execz .LBB207_103
; %bb.115:                              ;   in Loop: Header=BB207_104 Depth=2
	v_lshlrev_b32_e32 v8, 2, v10
	s_mov_b32 s7, 0
	s_delay_alu instid0(VALU_DEP_1)
	v_add_nc_u32_e32 v11, v7, v8
	ds_load_b64 v[7:8], v11 offset:16384
.LBB207_116:                            ;   Parent Loop BB207_102 Depth=1
                                        ;     Parent Loop BB207_104 Depth=2
                                        ; =>    This Inner Loop Header: Depth=3
	s_waitcnt lgkmcnt(0)
	v_add_f64 v[12:13], v[7:8], v[5:6]
	ds_cmpstore_rtn_b64 v[12:13], v11, v[12:13], v[7:8] offset:16384
	s_waitcnt lgkmcnt(0)
	v_cmp_eq_u64_e32 vcc_lo, v[12:13], v[7:8]
	v_dual_mov_b32 v7, v12 :: v_dual_mov_b32 v8, v13
	s_or_b32 s7, vcc_lo, s7
	s_delay_alu instid0(SALU_CYCLE_1)
	s_and_not1_b32 exec_lo, exec_lo, s7
	s_cbranch_execnz .LBB207_116
; %bb.117:                              ;   in Loop: Header=BB207_104 Depth=2
	s_or_b32 exec_lo, exec_lo, s7
	s_delay_alu instid0(SALU_CYCLE_1)
	s_and_not1_b32 s6, s6, exec_lo
	s_branch .LBB207_103
.LBB207_118:
	s_or_b32 exec_lo, exec_lo, s35
	s_ashr_i32 s35, s34, 31
	s_mov_b32 s4, exec_lo
	s_lshl_b64 s[0:1], s[34:35], 3
	s_delay_alu instid0(SALU_CYCLE_1) | instskip(SKIP_4) | instid1(SALU_CYCLE_1)
	s_add_u32 s0, s42, s0
	s_addc_u32 s1, s43, s1
	s_load_b128 s[0:3], s[0:1], 0x0
	s_waitcnt lgkmcnt(0)
	s_sub_i32 s3, s2, s0
	v_cmpx_gt_i32_e64 s3, v0
	s_cbranch_execz .LBB207_128
; %bb.119:
	s_sub_u32 s4, s0, s46
	s_subb_u32 s5, s1, 0
	s_sub_i32 s0, s0, s2
	s_and_b32 s1, s3, 7
	s_cmp_lt_u32 s0, -7
	s_mov_b32 s8, 0
	s_cselect_b32 s2, -1, 0
	s_and_b32 s6, s3, -8
	s_cmp_lg_u32 s1, 0
	s_cselect_b32 s7, -1, 0
	s_branch .LBB207_121
.LBB207_120:                            ;   in Loop: Header=BB207_121 Depth=1
	s_delay_alu instid0(VALU_DEP_1) | instskip(SKIP_4) | instid1(VALU_DEP_4)
	v_lshlrev_b64 v[6:7], 2, v[3:4]
	v_lshlrev_b64 v[3:4], 3, v[3:4]
	v_add_nc_u32_e32 v0, 0x400, v0
	s_waitcnt lgkmcnt(1)
	v_add_nc_u32_e32 v8, s46, v5
	v_add_co_u32 v5, vcc_lo, s48, v6
	v_add_co_ci_u32_e32 v6, vcc_lo, s49, v7, vcc_lo
	v_cmp_le_i32_e32 vcc_lo, s3, v0
	v_add_co_u32 v3, s0, s50, v3
	s_delay_alu instid0(VALU_DEP_1)
	v_add_co_ci_u32_e64 v4, s0, s51, v4, s0
	s_or_b32 s8, vcc_lo, s8
	global_store_b32 v[5:6], v8, off
	s_waitcnt lgkmcnt(0)
	global_store_b64 v[3:4], v[1:2], off
	s_and_not1_b32 exec_lo, exec_lo, s8
	s_cbranch_execz .LBB207_128
.LBB207_121:                            ; =>This Loop Header: Depth=1
                                        ;     Child Loop BB207_123 Depth 2
                                        ;     Child Loop BB207_127 Depth 2
	v_lshlrev_b32_e32 v1, 2, v0
	v_dual_mov_b32 v3, s4 :: v_dual_mov_b32 v4, s5
	s_and_not1_b32 vcc_lo, exec_lo, s2
	s_mov_b32 s0, 0
	s_delay_alu instid0(VALU_DEP_2) | instskip(NEXT) | instid1(VALU_DEP_1)
	v_add_nc_u32_e32 v2, 0, v1
	v_add_nc_u32_e32 v1, v2, v1
	ds_load_b32 v5, v2
	ds_load_b64 v[1:2], v1 offset:16384
	s_cbranch_vccnz .LBB207_125
; %bb.122:                              ;   in Loop: Header=BB207_121 Depth=1
	v_dual_mov_b32 v3, s4 :: v_dual_mov_b32 v4, s5
	s_mov_b32 s9, 0
	s_mov_b32 s10, 0
.LBB207_123:                            ;   Parent Loop BB207_121 Depth=1
                                        ; =>  This Inner Loop Header: Depth=2
	s_delay_alu instid0(SALU_CYCLE_1)
	v_mov_b32_e32 v12, s10
	s_add_i32 s9, s9, 8
	s_add_i32 s10, s10, 32
	s_cmp_eq_u32 s6, s9
	ds_load_2addr_b32 v[6:7], v12 offset1:1
	ds_load_2addr_b32 v[8:9], v12 offset0:2 offset1:3
	ds_load_2addr_b32 v[10:11], v12 offset0:4 offset1:5
	;; [unrolled: 1-line block ×3, first 2 shown]
	s_waitcnt lgkmcnt(3)
	v_cmp_gt_i32_e32 vcc_lo, v5, v6
	v_cndmask_b32_e64 v6, 0, 1, vcc_lo
	v_cmp_gt_i32_e32 vcc_lo, v5, v7
	v_cndmask_b32_e64 v7, 0, 1, vcc_lo
	s_waitcnt lgkmcnt(2)
	v_cmp_gt_i32_e32 vcc_lo, v5, v8
	v_cndmask_b32_e64 v8, 0, 1, vcc_lo
	v_cmp_gt_i32_e32 vcc_lo, v5, v9
	v_cndmask_b32_e64 v9, 0, 1, vcc_lo
	s_waitcnt lgkmcnt(1)
	v_cmp_gt_i32_e32 vcc_lo, v5, v10
	v_cndmask_b32_e64 v10, 0, 1, vcc_lo
	v_add_co_u32 v3, vcc_lo, v3, v6
	v_add_co_ci_u32_e32 v4, vcc_lo, 0, v4, vcc_lo
	v_cmp_gt_i32_e32 vcc_lo, v5, v11
	s_delay_alu instid0(VALU_DEP_3) | instskip(NEXT) | instid1(VALU_DEP_1)
	v_add_co_u32 v3, s0, v3, v7
	v_add_co_ci_u32_e64 v4, s0, 0, v4, s0
	v_cndmask_b32_e64 v6, 0, 1, vcc_lo
	s_delay_alu instid0(VALU_DEP_3) | instskip(NEXT) | instid1(VALU_DEP_3)
	v_add_co_u32 v3, vcc_lo, v3, v8
	v_add_co_ci_u32_e32 v4, vcc_lo, 0, v4, vcc_lo
	s_waitcnt lgkmcnt(0)
	v_cmp_gt_i32_e32 vcc_lo, v5, v12
	s_delay_alu instid0(VALU_DEP_3) | instskip(NEXT) | instid1(VALU_DEP_1)
	v_add_co_u32 v3, s0, v3, v9
	v_add_co_ci_u32_e64 v4, s0, 0, v4, s0
	v_cndmask_b32_e64 v7, 0, 1, vcc_lo
	s_delay_alu instid0(VALU_DEP_3) | instskip(NEXT) | instid1(VALU_DEP_3)
	v_add_co_u32 v3, vcc_lo, v3, v10
	v_add_co_ci_u32_e32 v4, vcc_lo, 0, v4, vcc_lo
	v_cmp_gt_i32_e32 vcc_lo, v5, v13
	s_delay_alu instid0(VALU_DEP_3) | instskip(NEXT) | instid1(VALU_DEP_1)
	v_add_co_u32 v3, s0, v3, v6
	v_add_co_ci_u32_e64 v4, s0, 0, v4, s0
	v_cndmask_b32_e64 v6, 0, 1, vcc_lo
	s_delay_alu instid0(VALU_DEP_3) | instskip(NEXT) | instid1(VALU_DEP_3)
	v_add_co_u32 v3, vcc_lo, v3, v7
	v_add_co_ci_u32_e32 v4, vcc_lo, 0, v4, vcc_lo
	s_delay_alu instid0(VALU_DEP_2) | instskip(NEXT) | instid1(VALU_DEP_2)
	v_add_co_u32 v3, vcc_lo, v3, v6
	v_add_co_ci_u32_e32 v4, vcc_lo, 0, v4, vcc_lo
	s_cbranch_scc0 .LBB207_123
; %bb.124:                              ;   in Loop: Header=BB207_121 Depth=1
	s_mov_b32 s0, s6
.LBB207_125:                            ;   in Loop: Header=BB207_121 Depth=1
	s_and_not1_b32 vcc_lo, exec_lo, s7
	s_cbranch_vccnz .LBB207_120
; %bb.126:                              ;   in Loop: Header=BB207_121 Depth=1
	s_lshl_b32 s0, s0, 2
	s_mov_b32 s9, s1
	s_add_i32 s0, s0, 0
.LBB207_127:                            ;   Parent Loop BB207_121 Depth=1
                                        ; =>  This Inner Loop Header: Depth=2
	s_delay_alu instid0(SALU_CYCLE_1)
	v_mov_b32_e32 v6, s0
	s_add_i32 s9, s9, -1
	s_add_i32 s0, s0, 4
	s_cmp_lg_u32 s9, 0
	ds_load_b32 v6, v6
	s_waitcnt lgkmcnt(0)
	v_cmp_gt_i32_e32 vcc_lo, v5, v6
	v_cndmask_b32_e64 v6, 0, 1, vcc_lo
	s_delay_alu instid0(VALU_DEP_1)
	v_add_co_u32 v3, vcc_lo, v3, v6
	v_add_co_ci_u32_e32 v4, vcc_lo, 0, v4, vcc_lo
	s_cbranch_scc1 .LBB207_127
	s_branch .LBB207_120
.LBB207_128:
	s_nop 0
	s_sendmsg sendmsg(MSG_DEALLOC_VGPRS)
	s_endpgm
	.section	.rodata,"a",@progbits
	.p2align	6, 0x0
	.amdhsa_kernel _ZN9rocsparseL26csrgemm_fill_block_per_rowILj1024ELj64ELj4096ELj137ELj32ElidEEvT5_PKS1_S3_NS_24const_host_device_scalarIT6_EEPKT4_S3_PKS5_S9_S3_SB_S6_S9_S3_SB_S9_PS1_PS5_21rocsparse_index_base_SE_SE_SE_bbb
		.amdhsa_group_segment_fixed_size 0
		.amdhsa_private_segment_fixed_size 0
		.amdhsa_kernarg_size 156
		.amdhsa_user_sgpr_count 15
		.amdhsa_user_sgpr_dispatch_ptr 0
		.amdhsa_user_sgpr_queue_ptr 0
		.amdhsa_user_sgpr_kernarg_segment_ptr 1
		.amdhsa_user_sgpr_dispatch_id 0
		.amdhsa_user_sgpr_private_segment_size 0
		.amdhsa_wavefront_size32 1
		.amdhsa_uses_dynamic_stack 0
		.amdhsa_enable_private_segment 0
		.amdhsa_system_sgpr_workgroup_id_x 1
		.amdhsa_system_sgpr_workgroup_id_y 0
		.amdhsa_system_sgpr_workgroup_id_z 0
		.amdhsa_system_sgpr_workgroup_info 0
		.amdhsa_system_vgpr_workitem_id 0
		.amdhsa_next_free_vgpr 27
		.amdhsa_next_free_sgpr 52
		.amdhsa_reserve_vcc 1
		.amdhsa_float_round_mode_32 0
		.amdhsa_float_round_mode_16_64 0
		.amdhsa_float_denorm_mode_32 3
		.amdhsa_float_denorm_mode_16_64 3
		.amdhsa_dx10_clamp 1
		.amdhsa_ieee_mode 1
		.amdhsa_fp16_overflow 0
		.amdhsa_workgroup_processor_mode 1
		.amdhsa_memory_ordered 1
		.amdhsa_forward_progress 0
		.amdhsa_shared_vgpr_count 0
		.amdhsa_exception_fp_ieee_invalid_op 0
		.amdhsa_exception_fp_denorm_src 0
		.amdhsa_exception_fp_ieee_div_zero 0
		.amdhsa_exception_fp_ieee_overflow 0
		.amdhsa_exception_fp_ieee_underflow 0
		.amdhsa_exception_fp_ieee_inexact 0
		.amdhsa_exception_int_div_zero 0
	.end_amdhsa_kernel
	.section	.text._ZN9rocsparseL26csrgemm_fill_block_per_rowILj1024ELj64ELj4096ELj137ELj32ElidEEvT5_PKS1_S3_NS_24const_host_device_scalarIT6_EEPKT4_S3_PKS5_S9_S3_SB_S6_S9_S3_SB_S9_PS1_PS5_21rocsparse_index_base_SE_SE_SE_bbb,"axG",@progbits,_ZN9rocsparseL26csrgemm_fill_block_per_rowILj1024ELj64ELj4096ELj137ELj32ElidEEvT5_PKS1_S3_NS_24const_host_device_scalarIT6_EEPKT4_S3_PKS5_S9_S3_SB_S6_S9_S3_SB_S9_PS1_PS5_21rocsparse_index_base_SE_SE_SE_bbb,comdat
.Lfunc_end207:
	.size	_ZN9rocsparseL26csrgemm_fill_block_per_rowILj1024ELj64ELj4096ELj137ELj32ElidEEvT5_PKS1_S3_NS_24const_host_device_scalarIT6_EEPKT4_S3_PKS5_S9_S3_SB_S6_S9_S3_SB_S9_PS1_PS5_21rocsparse_index_base_SE_SE_SE_bbb, .Lfunc_end207-_ZN9rocsparseL26csrgemm_fill_block_per_rowILj1024ELj64ELj4096ELj137ELj32ElidEEvT5_PKS1_S3_NS_24const_host_device_scalarIT6_EEPKT4_S3_PKS5_S9_S3_SB_S6_S9_S3_SB_S9_PS1_PS5_21rocsparse_index_base_SE_SE_SE_bbb
                                        ; -- End function
	.section	.AMDGPU.csdata,"",@progbits
; Kernel info:
; codeLenInByte = 4608
; NumSgprs: 54
; NumVgprs: 27
; ScratchSize: 0
; MemoryBound: 0
; FloatMode: 240
; IeeeMode: 1
; LDSByteSize: 0 bytes/workgroup (compile time only)
; SGPRBlocks: 6
; VGPRBlocks: 3
; NumSGPRsForWavesPerEU: 54
; NumVGPRsForWavesPerEU: 27
; Occupancy: 16
; WaveLimiterHint : 1
; COMPUTE_PGM_RSRC2:SCRATCH_EN: 0
; COMPUTE_PGM_RSRC2:USER_SGPR: 15
; COMPUTE_PGM_RSRC2:TRAP_HANDLER: 0
; COMPUTE_PGM_RSRC2:TGID_X_EN: 1
; COMPUTE_PGM_RSRC2:TGID_Y_EN: 0
; COMPUTE_PGM_RSRC2:TGID_Z_EN: 0
; COMPUTE_PGM_RSRC2:TIDIG_COMP_CNT: 0
	.section	.text._ZN9rocsparseL26csrgemm_fill_block_per_rowILj1024ELj64ELj4096ELj137ELj64ElidEEvT5_PKS1_S3_NS_24const_host_device_scalarIT6_EEPKT4_S3_PKS5_S9_S3_SB_S6_S9_S3_SB_S9_PS1_PS5_21rocsparse_index_base_SE_SE_SE_bbb,"axG",@progbits,_ZN9rocsparseL26csrgemm_fill_block_per_rowILj1024ELj64ELj4096ELj137ELj64ElidEEvT5_PKS1_S3_NS_24const_host_device_scalarIT6_EEPKT4_S3_PKS5_S9_S3_SB_S6_S9_S3_SB_S9_PS1_PS5_21rocsparse_index_base_SE_SE_SE_bbb,comdat
	.globl	_ZN9rocsparseL26csrgemm_fill_block_per_rowILj1024ELj64ELj4096ELj137ELj64ElidEEvT5_PKS1_S3_NS_24const_host_device_scalarIT6_EEPKT4_S3_PKS5_S9_S3_SB_S6_S9_S3_SB_S9_PS1_PS5_21rocsparse_index_base_SE_SE_SE_bbb ; -- Begin function _ZN9rocsparseL26csrgemm_fill_block_per_rowILj1024ELj64ELj4096ELj137ELj64ElidEEvT5_PKS1_S3_NS_24const_host_device_scalarIT6_EEPKT4_S3_PKS5_S9_S3_SB_S6_S9_S3_SB_S9_PS1_PS5_21rocsparse_index_base_SE_SE_SE_bbb
	.p2align	8
	.type	_ZN9rocsparseL26csrgemm_fill_block_per_rowILj1024ELj64ELj4096ELj137ELj64ElidEEvT5_PKS1_S3_NS_24const_host_device_scalarIT6_EEPKT4_S3_PKS5_S9_S3_SB_S6_S9_S3_SB_S9_PS1_PS5_21rocsparse_index_base_SE_SE_SE_bbb,@function
_ZN9rocsparseL26csrgemm_fill_block_per_rowILj1024ELj64ELj4096ELj137ELj64ElidEEvT5_PKS1_S3_NS_24const_host_device_scalarIT6_EEPKT4_S3_PKS5_S9_S3_SB_S6_S9_S3_SB_S9_PS1_PS5_21rocsparse_index_base_SE_SE_SE_bbb: ; @_ZN9rocsparseL26csrgemm_fill_block_per_rowILj1024ELj64ELj4096ELj137ELj64ElidEEvT5_PKS1_S3_NS_24const_host_device_scalarIT6_EEPKT4_S3_PKS5_S9_S3_SB_S6_S9_S3_SB_S9_PS1_PS5_21rocsparse_index_base_SE_SE_SE_bbb
; %bb.0:
	s_clause 0x3
	s_load_b32 s12, s[0:1], 0x98
	s_load_b64 s[4:5], s[0:1], 0x18
	s_load_b128 s[24:27], s[0:1], 0x88
	s_load_b64 s[2:3], s[0:1], 0x50
	s_waitcnt lgkmcnt(0)
	s_and_b32 s6, 1, s12
	s_bitcmp1_b32 s12, 16
	s_cselect_b32 s14, -1, 0
	s_cmp_eq_u32 s6, 1
	s_cselect_b32 s13, -1, 0
	s_delay_alu instid0(SALU_CYCLE_1)
	s_and_b32 s6, s13, exec_lo
	s_cselect_b32 s7, s5, 0
	s_cselect_b32 s6, s4, 0
	s_xor_b32 s8, s13, -1
	v_dual_mov_b32 v3, s6 :: v_dual_mov_b32 v4, s7
	s_or_b32 s8, s8, s14
	s_delay_alu instid0(SALU_CYCLE_1)
	s_and_b32 vcc_lo, exec_lo, s8
	s_cbranch_vccnz .LBB208_2
; %bb.1:
	v_dual_mov_b32 v1, s4 :: v_dual_mov_b32 v2, s5
	flat_load_b64 v[3:4], v[1:2]
.LBB208_2:
	s_clause 0x4
	s_load_b128 s[28:31], s[0:1], 0x78
	s_load_b256 s[16:23], s[0:1], 0x58
	s_load_b128 s[36:39], s[0:1], 0x40
	s_load_b128 s[40:43], s[0:1], 0x8
	s_load_b256 s[4:11], s[0:1], 0x20
	s_bitcmp1_b32 s12, 8
	s_cselect_b32 s12, -1, 0
	s_delay_alu instid0(SALU_CYCLE_1)
	s_and_b32 s33, s12, exec_lo
	s_cselect_b32 s35, s3, 0
	s_cselect_b32 s34, s2, 0
	s_xor_b32 s33, s12, -1
	v_dual_mov_b32 v1, s34 :: v_dual_mov_b32 v2, s35
	s_or_b32 s14, s33, s14
	s_delay_alu instid0(SALU_CYCLE_1)
	s_and_b32 vcc_lo, exec_lo, s14
	s_cbranch_vccnz .LBB208_4
; %bb.3:
	v_dual_mov_b32 v1, s2 :: v_dual_mov_b32 v2, s3
	flat_load_b64 v[1:2], v[1:2]
.LBB208_4:
	s_load_b32 s33, s[0:1], 0x0
	v_dual_mov_b32 v5, 0 :: v_dual_lshlrev_b32 v6, 3, v0
	v_lshl_add_u32 v17, v0, 2, 0
	v_or_b32_e32 v18, 0xfffffc00, v0
	s_mov_b32 s0, 0
	s_delay_alu instid0(VALU_DEP_3) | instskip(SKIP_1) | instid1(VALU_DEP_3)
	v_add3_u32 v19, v6, 0, 0x4000
	v_mov_b32_e32 v6, v5
	v_dual_mov_b32 v7, v17 :: v_dual_mov_b32 v8, v18
	s_waitcnt lgkmcnt(0)
	s_delay_alu instid0(VALU_DEP_3)
	v_dual_mov_b32 v10, v19 :: v_dual_mov_b32 v9, s33
.LBB208_5:                              ; =>This Inner Loop Header: Depth=1
	s_delay_alu instid0(VALU_DEP_2)
	v_add_nc_u32_e32 v8, 0x400, v8
	ds_store_b32 v7, v9
	ds_store_b64 v10, v[5:6]
	v_add_nc_u32_e32 v10, 0x2000, v10
	v_add_nc_u32_e32 v7, 0x1000, v7
	v_cmp_lt_u32_e32 vcc_lo, 0xbff, v8
	s_or_b32 s0, vcc_lo, s0
	s_delay_alu instid0(SALU_CYCLE_1)
	s_and_not1_b32 exec_lo, exec_lo, s0
	s_cbranch_execnz .LBB208_5
; %bb.6:
	s_or_b32 exec_lo, exec_lo, s0
	s_waitcnt vmcnt(0) lgkmcnt(0)
	s_barrier
	buffer_gl0_inv
	s_load_b32 s0, s[40:41], 0x0
	s_mov_b32 s1, 0
	v_lshrrev_b32_e32 v20, 6, v0
	s_waitcnt lgkmcnt(0)
	s_add_i32 s0, s0, s15
	s_delay_alu instid0(SALU_CYCLE_1) | instskip(NEXT) | instid1(SALU_CYCLE_1)
	s_lshl_b64 s[0:1], s[0:1], 2
	s_add_u32 s0, s42, s0
	s_addc_u32 s1, s43, s1
	s_and_b32 vcc_lo, exec_lo, s13
	s_load_b32 s34, s[0:1], 0x0
	s_cbranch_vccz .LBB208_30
; %bb.7:
	s_waitcnt lgkmcnt(0)
	s_ashr_i32 s35, s34, 31
	s_delay_alu instid0(SALU_CYCLE_1) | instskip(NEXT) | instid1(SALU_CYCLE_1)
	s_lshl_b64 s[0:1], s[34:35], 3
	s_add_u32 s0, s4, s0
	s_addc_u32 s1, s5, s1
	v_sub_co_u32 v5, s4, v20, s24
	s_load_b128 s[0:3], s[0:1], 0x0
	v_sub_co_ci_u32_e64 v6, null, 0, 0, s4
	s_waitcnt lgkmcnt(0)
	s_delay_alu instid0(VALU_DEP_2) | instskip(NEXT) | instid1(VALU_DEP_2)
	v_add_co_u32 v5, vcc_lo, s0, v5
	v_add_co_ci_u32_e32 v6, vcc_lo, s1, v6, vcc_lo
	s_sub_u32 s0, s2, s24
	s_subb_u32 s1, s3, 0
	s_mov_b32 s2, exec_lo
	s_delay_alu instid0(VALU_DEP_1)
	v_cmpx_gt_i64_e64 s[0:1], v[5:6]
	s_cbranch_execz .LBB208_29
; %bb.8:
	v_and_b32_e32 v7, 63, v0
	s_mov_b32 s4, s25
	s_delay_alu instid0(VALU_DEP_1) | instskip(NEXT) | instid1(VALU_DEP_1)
	v_sub_co_u32 v21, s3, v7, s25
	v_sub_co_ci_u32_e64 v22, null, 0, 0, s3
	s_mov_b32 s3, 0
	s_branch .LBB208_10
.LBB208_9:                              ;   in Loop: Header=BB208_10 Depth=1
	s_or_b32 exec_lo, exec_lo, s5
	v_add_co_u32 v5, vcc_lo, v5, 16
	v_add_co_ci_u32_e32 v6, vcc_lo, 0, v6, vcc_lo
	s_delay_alu instid0(VALU_DEP_1) | instskip(SKIP_1) | instid1(SALU_CYCLE_1)
	v_cmp_le_i64_e32 vcc_lo, s[0:1], v[5:6]
	s_or_b32 s3, vcc_lo, s3
	s_and_not1_b32 exec_lo, exec_lo, s3
	s_cbranch_execz .LBB208_29
.LBB208_10:                             ; =>This Loop Header: Depth=1
                                        ;     Child Loop BB208_13 Depth 2
                                        ;       Child Loop BB208_15 Depth 3
                                        ;         Child Loop BB208_21 Depth 4
                                        ;         Child Loop BB208_27 Depth 4
	v_lshlrev_b64 v[7:8], 2, v[5:6]
	s_mov_b32 s5, exec_lo
	s_delay_alu instid0(VALU_DEP_1) | instskip(NEXT) | instid1(VALU_DEP_2)
	v_add_co_u32 v7, vcc_lo, s6, v7
	v_add_co_ci_u32_e32 v8, vcc_lo, s7, v8, vcc_lo
	global_load_b32 v7, v[7:8], off
	s_waitcnt vmcnt(0)
	v_subrev_nc_u32_e32 v7, s24, v7
	s_delay_alu instid0(VALU_DEP_1) | instskip(NEXT) | instid1(VALU_DEP_1)
	v_ashrrev_i32_e32 v8, 31, v7
	v_lshlrev_b64 v[7:8], 3, v[7:8]
	s_delay_alu instid0(VALU_DEP_1) | instskip(NEXT) | instid1(VALU_DEP_2)
	v_add_co_u32 v7, vcc_lo, s10, v7
	v_add_co_ci_u32_e32 v8, vcc_lo, s11, v8, vcc_lo
	global_load_b128 v[9:12], v[7:8], off
	s_waitcnt vmcnt(0)
	v_sub_co_u32 v7, vcc_lo, v11, s4
	v_subrev_co_ci_u32_e32 v8, vcc_lo, 0, v12, vcc_lo
	v_add_co_u32 v9, vcc_lo, v9, v21
	v_add_co_ci_u32_e32 v10, vcc_lo, v10, v22, vcc_lo
	s_delay_alu instid0(VALU_DEP_1)
	v_cmpx_lt_i64_e64 v[9:10], v[7:8]
	s_cbranch_execz .LBB208_9
; %bb.11:                               ;   in Loop: Header=BB208_10 Depth=1
	v_lshlrev_b64 v[11:12], 3, v[5:6]
	s_mov_b32 s13, 0
	s_delay_alu instid0(VALU_DEP_1) | instskip(NEXT) | instid1(VALU_DEP_2)
	v_add_co_u32 v11, vcc_lo, s8, v11
	v_add_co_ci_u32_e32 v12, vcc_lo, s9, v12, vcc_lo
	global_load_b64 v[11:12], v[11:12], off
	s_waitcnt vmcnt(0)
	v_mul_f64 v[11:12], v[3:4], v[11:12]
	s_branch .LBB208_13
.LBB208_12:                             ;   in Loop: Header=BB208_13 Depth=2
	s_or_b32 exec_lo, exec_lo, s14
	v_add_co_u32 v9, vcc_lo, v9, 64
	v_add_co_ci_u32_e32 v10, vcc_lo, 0, v10, vcc_lo
	s_delay_alu instid0(VALU_DEP_1) | instskip(SKIP_1) | instid1(SALU_CYCLE_1)
	v_cmp_ge_i64_e32 vcc_lo, v[9:10], v[7:8]
	s_or_b32 s13, vcc_lo, s13
	s_and_not1_b32 exec_lo, exec_lo, s13
	s_cbranch_execz .LBB208_9
.LBB208_13:                             ;   Parent Loop BB208_10 Depth=1
                                        ; =>  This Loop Header: Depth=2
                                        ;       Child Loop BB208_15 Depth 3
                                        ;         Child Loop BB208_21 Depth 4
                                        ;         Child Loop BB208_27 Depth 4
	v_lshlrev_b64 v[13:14], 3, v[9:10]
	v_lshlrev_b64 v[15:16], 2, v[9:10]
	s_mov_b32 s14, 0
	s_delay_alu instid0(VALU_DEP_2) | instskip(NEXT) | instid1(VALU_DEP_3)
	v_add_co_u32 v13, vcc_lo, s38, v13
	v_add_co_ci_u32_e32 v14, vcc_lo, s39, v14, vcc_lo
	s_delay_alu instid0(VALU_DEP_3) | instskip(NEXT) | instid1(VALU_DEP_4)
	v_add_co_u32 v15, vcc_lo, s36, v15
	v_add_co_ci_u32_e32 v16, vcc_lo, s37, v16, vcc_lo
	global_load_b64 v[13:14], v[13:14], off
	global_load_b32 v15, v[15:16], off
	s_waitcnt vmcnt(1)
	v_mul_f64 v[13:14], v[11:12], v[13:14]
	s_waitcnt vmcnt(0)
	v_subrev_nc_u32_e32 v23, s25, v15
	s_delay_alu instid0(VALU_DEP_1) | instskip(NEXT) | instid1(VALU_DEP_1)
	v_mul_lo_u32 v15, 0x89, v23
	v_and_b32_e32 v24, 0xfff, v15
	s_branch .LBB208_15
.LBB208_14:                             ;   in Loop: Header=BB208_15 Depth=3
	s_or_b32 exec_lo, exec_lo, s15
	s_xor_b32 s15, s35, -1
	s_delay_alu instid0(SALU_CYCLE_1) | instskip(NEXT) | instid1(SALU_CYCLE_1)
	s_and_b32 s15, exec_lo, s15
	s_or_b32 s14, s15, s14
	s_delay_alu instid0(SALU_CYCLE_1)
	s_and_not1_b32 exec_lo, exec_lo, s14
	s_cbranch_execz .LBB208_12
.LBB208_15:                             ;   Parent Loop BB208_10 Depth=1
                                        ;     Parent Loop BB208_13 Depth=2
                                        ; =>    This Loop Header: Depth=3
                                        ;         Child Loop BB208_21 Depth 4
                                        ;         Child Loop BB208_27 Depth 4
	s_delay_alu instid0(VALU_DEP_1)
	v_lshl_add_u32 v15, v24, 2, 0
	s_mov_b32 s15, exec_lo
                                        ; implicit-def: $sgpr35
	ds_load_b32 v16, v15
	s_waitcnt lgkmcnt(0)
	v_cmpx_ne_u32_e64 v16, v23
	s_xor_b32 s15, exec_lo, s15
	s_cbranch_execz .LBB208_25
; %bb.16:                               ;   in Loop: Header=BB208_15 Depth=3
	s_mov_b32 s40, exec_lo
                                        ; implicit-def: $sgpr35
	v_cmpx_ne_u32_e64 s33, v16
	s_xor_b32 s40, exec_lo, s40
; %bb.17:                               ;   in Loop: Header=BB208_15 Depth=3
	v_add_nc_u32_e32 v15, 1, v24
	s_mov_b32 s35, -1
	s_delay_alu instid0(VALU_DEP_1)
	v_and_b32_e32 v24, 0xfff, v15
                                        ; implicit-def: $vgpr15
; %bb.18:                               ;   in Loop: Header=BB208_15 Depth=3
	s_and_not1_saveexec_b32 s40, s40
	s_cbranch_execz .LBB208_24
; %bb.19:                               ;   in Loop: Header=BB208_15 Depth=3
	v_mov_b32_e32 v16, s33
	s_mov_b32 s42, -1
	s_mov_b32 s41, exec_lo
	ds_cmpstore_rtn_b32 v16, v15, v23, v16
	s_waitcnt lgkmcnt(0)
	v_cmpx_eq_u32_e64 s33, v16
	s_cbranch_execz .LBB208_23
; %bb.20:                               ;   in Loop: Header=BB208_15 Depth=3
	v_lshlrev_b32_e32 v16, 2, v24
	s_mov_b32 s42, 0
	s_delay_alu instid0(VALU_DEP_1)
	v_add_nc_u32_e32 v25, v15, v16
	ds_load_b64 v[15:16], v25 offset:16384
.LBB208_21:                             ;   Parent Loop BB208_10 Depth=1
                                        ;     Parent Loop BB208_13 Depth=2
                                        ;       Parent Loop BB208_15 Depth=3
                                        ; =>      This Inner Loop Header: Depth=4
	s_waitcnt lgkmcnt(0)
	v_add_f64 v[26:27], v[15:16], v[13:14]
	ds_cmpstore_rtn_b64 v[26:27], v25, v[26:27], v[15:16] offset:16384
	s_waitcnt lgkmcnt(0)
	v_cmp_eq_u64_e32 vcc_lo, v[26:27], v[15:16]
	v_dual_mov_b32 v15, v26 :: v_dual_mov_b32 v16, v27
	s_or_b32 s42, vcc_lo, s42
	s_delay_alu instid0(SALU_CYCLE_1)
	s_and_not1_b32 exec_lo, exec_lo, s42
	s_cbranch_execnz .LBB208_21
; %bb.22:                               ;   in Loop: Header=BB208_15 Depth=3
	s_or_b32 exec_lo, exec_lo, s42
	s_delay_alu instid0(SALU_CYCLE_1)
	s_xor_b32 s42, exec_lo, -1
.LBB208_23:                             ;   in Loop: Header=BB208_15 Depth=3
	s_or_b32 exec_lo, exec_lo, s41
	s_delay_alu instid0(SALU_CYCLE_1) | instskip(SKIP_1) | instid1(SALU_CYCLE_1)
	s_and_not1_b32 s35, s35, exec_lo
	s_and_b32 s41, s42, exec_lo
	s_or_b32 s35, s35, s41
.LBB208_24:                             ;   in Loop: Header=BB208_15 Depth=3
	s_or_b32 exec_lo, exec_lo, s40
	s_delay_alu instid0(SALU_CYCLE_1)
	s_and_b32 s35, s35, exec_lo
                                        ; implicit-def: $vgpr15
.LBB208_25:                             ;   in Loop: Header=BB208_15 Depth=3
	s_and_not1_saveexec_b32 s15, s15
	s_cbranch_execz .LBB208_14
; %bb.26:                               ;   in Loop: Header=BB208_15 Depth=3
	v_lshlrev_b32_e32 v16, 2, v24
	s_mov_b32 s40, 0
	s_delay_alu instid0(VALU_DEP_1)
	v_add_nc_u32_e32 v25, v15, v16
	ds_load_b64 v[15:16], v25 offset:16384
.LBB208_27:                             ;   Parent Loop BB208_10 Depth=1
                                        ;     Parent Loop BB208_13 Depth=2
                                        ;       Parent Loop BB208_15 Depth=3
                                        ; =>      This Inner Loop Header: Depth=4
	s_waitcnt lgkmcnt(0)
	v_add_f64 v[26:27], v[15:16], v[13:14]
	ds_cmpstore_rtn_b64 v[26:27], v25, v[26:27], v[15:16] offset:16384
	s_waitcnt lgkmcnt(0)
	v_cmp_eq_u64_e32 vcc_lo, v[26:27], v[15:16]
	v_dual_mov_b32 v15, v26 :: v_dual_mov_b32 v16, v27
	s_or_b32 s40, vcc_lo, s40
	s_delay_alu instid0(SALU_CYCLE_1)
	s_and_not1_b32 exec_lo, exec_lo, s40
	s_cbranch_execnz .LBB208_27
; %bb.28:                               ;   in Loop: Header=BB208_15 Depth=3
	s_or_b32 exec_lo, exec_lo, s40
	s_delay_alu instid0(SALU_CYCLE_1)
	s_and_not1_b32 s35, s35, exec_lo
	s_branch .LBB208_14
.LBB208_29:
	s_or_b32 exec_lo, exec_lo, s2
.LBB208_30:
	s_delay_alu instid0(SALU_CYCLE_1)
	s_and_not1_b32 vcc_lo, exec_lo, s12
	s_cbranch_vccnz .LBB208_33
; %bb.31:
	s_waitcnt lgkmcnt(0)
	s_ashr_i32 s35, s34, 31
	v_sub_co_u32 v3, s4, v0, s27
	s_lshl_b64 s[0:1], s[34:35], 3
	v_sub_co_ci_u32_e64 v4, null, 0, 0, s4
	s_add_u32 s0, s16, s0
	s_addc_u32 s1, s17, s1
	s_load_b128 s[0:3], s[0:1], 0x0
	s_waitcnt lgkmcnt(0)
	v_add_co_u32 v3, vcc_lo, s0, v3
	v_add_co_ci_u32_e32 v4, vcc_lo, s1, v4, vcc_lo
	s_sub_u32 s0, s2, s27
	s_subb_u32 s1, s3, 0
	s_mov_b32 s3, 0
	s_mov_b32 s2, exec_lo
	v_cmpx_gt_i64_e64 s[0:1], v[3:4]
	s_cbranch_execnz .LBB208_70
.LBB208_32:
	s_or_b32 exec_lo, exec_lo, s2
.LBB208_33:
	v_mbcnt_lo_u32_b32 v1, -1, 0
	v_lshl_add_u32 v4, v20, 2, 0
	v_cmp_eq_u32_e32 vcc_lo, 0x3ff, v0
	v_cmp_lt_u32_e64 s0, 63, v0
	v_cmp_lt_u32_e64 s1, 0x7f, v0
	v_xor_b32_e32 v1, 63, v1
	v_cmp_lt_u32_e64 s2, 0xbf, v0
	v_cmp_lt_u32_e64 s3, 0xff, v0
	;; [unrolled: 1-line block ×4, first 2 shown]
	v_lshrrev_b64 v[1:2], v1, -1
	v_cmp_lt_u32_e64 s6, 0x1bf, v0
	v_cmp_lt_u32_e64 s7, 0x1ff, v0
	;; [unrolled: 1-line block ×9, first 2 shown]
	v_dual_mov_b32 v5, 0 :: v_dual_mov_b32 v6, 0
	s_mov_b32 s16, 0
	s_waitcnt lgkmcnt(0)
	s_barrier
	buffer_gl0_inv
	s_branch .LBB208_35
.LBB208_34:                             ;   in Loop: Header=BB208_35 Depth=1
	s_or_b32 exec_lo, exec_lo, s15
	s_waitcnt lgkmcnt(0)
	s_barrier
	buffer_gl0_inv
	ds_load_b32 v2, v5 offset:49212
	v_add_nc_u32_e32 v18, 0x400, v18
	v_add_nc_u32_e32 v19, 0x2000, v19
	;; [unrolled: 1-line block ×3, first 2 shown]
	s_delay_alu instid0(VALU_DEP_3) | instskip(NEXT) | instid1(VALU_DEP_1)
	v_cmp_lt_u32_e64 s15, 0xbff, v18
	s_or_b32 s16, s15, s16
	s_waitcnt lgkmcnt(0)
	v_add_nc_u32_e32 v6, v2, v6
	s_and_not1_b32 exec_lo, exec_lo, s16
	s_cbranch_execz .LBB208_86
.LBB208_35:                             ; =>This Inner Loop Header: Depth=1
	ds_load_b32 v7, v17
	ds_load_b64 v[2:3], v19
	s_waitcnt lgkmcnt(0)
	s_barrier
	buffer_gl0_inv
	v_cmp_gt_i32_e64 s15, s33, v7
	s_delay_alu instid0(VALU_DEP_1) | instskip(NEXT) | instid1(SALU_CYCLE_1)
	s_bcnt1_i32_b32 s17, s15
	v_dual_mov_b32 v9, s17 :: v_dual_and_b32 v8, s15, v1
	s_delay_alu instid0(VALU_DEP_1)
	v_bcnt_u32_b32 v8, v8, 0
	ds_store_b32 v4, v9 offset:49152
	s_waitcnt lgkmcnt(0)
	s_barrier
	buffer_gl0_inv
	s_and_saveexec_b32 s17, s0
	s_cbranch_execnz .LBB208_52
; %bb.36:                               ;   in Loop: Header=BB208_35 Depth=1
	s_or_b32 exec_lo, exec_lo, s17
	s_and_saveexec_b32 s17, s1
	s_cbranch_execnz .LBB208_53
.LBB208_37:                             ;   in Loop: Header=BB208_35 Depth=1
	s_or_b32 exec_lo, exec_lo, s17
	s_and_saveexec_b32 s17, s2
	s_cbranch_execnz .LBB208_54
.LBB208_38:                             ;   in Loop: Header=BB208_35 Depth=1
	s_or_b32 exec_lo, exec_lo, s17
	s_and_saveexec_b32 s17, s3
	s_cbranch_execnz .LBB208_55
.LBB208_39:                             ;   in Loop: Header=BB208_35 Depth=1
	s_or_b32 exec_lo, exec_lo, s17
	s_and_saveexec_b32 s17, s4
	s_cbranch_execnz .LBB208_56
.LBB208_40:                             ;   in Loop: Header=BB208_35 Depth=1
	s_or_b32 exec_lo, exec_lo, s17
	s_and_saveexec_b32 s17, s5
	s_cbranch_execnz .LBB208_57
.LBB208_41:                             ;   in Loop: Header=BB208_35 Depth=1
	s_or_b32 exec_lo, exec_lo, s17
	s_and_saveexec_b32 s17, s6
	s_cbranch_execnz .LBB208_58
.LBB208_42:                             ;   in Loop: Header=BB208_35 Depth=1
	s_or_b32 exec_lo, exec_lo, s17
	s_and_saveexec_b32 s17, s7
	s_cbranch_execnz .LBB208_59
.LBB208_43:                             ;   in Loop: Header=BB208_35 Depth=1
	s_or_b32 exec_lo, exec_lo, s17
	s_and_saveexec_b32 s17, s8
	s_cbranch_execnz .LBB208_60
.LBB208_44:                             ;   in Loop: Header=BB208_35 Depth=1
	s_or_b32 exec_lo, exec_lo, s17
	s_and_saveexec_b32 s17, s9
	s_cbranch_execnz .LBB208_61
.LBB208_45:                             ;   in Loop: Header=BB208_35 Depth=1
	s_or_b32 exec_lo, exec_lo, s17
	s_and_saveexec_b32 s17, s10
	s_cbranch_execnz .LBB208_62
.LBB208_46:                             ;   in Loop: Header=BB208_35 Depth=1
	s_or_b32 exec_lo, exec_lo, s17
	s_and_saveexec_b32 s17, s11
	s_cbranch_execnz .LBB208_63
.LBB208_47:                             ;   in Loop: Header=BB208_35 Depth=1
	s_or_b32 exec_lo, exec_lo, s17
	s_and_saveexec_b32 s17, s12
	s_cbranch_execnz .LBB208_64
.LBB208_48:                             ;   in Loop: Header=BB208_35 Depth=1
	s_or_b32 exec_lo, exec_lo, s17
	s_and_saveexec_b32 s17, s13
	s_cbranch_execnz .LBB208_65
.LBB208_49:                             ;   in Loop: Header=BB208_35 Depth=1
	s_or_b32 exec_lo, exec_lo, s17
	s_and_saveexec_b32 s17, s14
	s_cbranch_execnz .LBB208_66
.LBB208_50:                             ;   in Loop: Header=BB208_35 Depth=1
	s_or_b32 exec_lo, exec_lo, s17
	s_and_saveexec_b32 s17, s15
	s_cbranch_execnz .LBB208_67
.LBB208_51:                             ;   in Loop: Header=BB208_35 Depth=1
	s_or_b32 exec_lo, exec_lo, s17
	s_and_saveexec_b32 s15, vcc_lo
	s_cbranch_execz .LBB208_34
	s_branch .LBB208_68
.LBB208_52:                             ;   in Loop: Header=BB208_35 Depth=1
	ds_load_b32 v9, v5 offset:49152
	s_waitcnt lgkmcnt(0)
	v_add_nc_u32_e32 v8, v9, v8
	s_or_b32 exec_lo, exec_lo, s17
	s_and_saveexec_b32 s17, s1
	s_cbranch_execz .LBB208_37
.LBB208_53:                             ;   in Loop: Header=BB208_35 Depth=1
	ds_load_b32 v9, v5 offset:49156
	s_waitcnt lgkmcnt(0)
	v_add_nc_u32_e32 v8, v9, v8
	s_or_b32 exec_lo, exec_lo, s17
	s_and_saveexec_b32 s17, s2
	s_cbranch_execz .LBB208_38
.LBB208_54:                             ;   in Loop: Header=BB208_35 Depth=1
	ds_load_b32 v9, v5 offset:49160
	s_waitcnt lgkmcnt(0)
	v_add_nc_u32_e32 v8, v9, v8
	s_or_b32 exec_lo, exec_lo, s17
	s_and_saveexec_b32 s17, s3
	s_cbranch_execz .LBB208_39
.LBB208_55:                             ;   in Loop: Header=BB208_35 Depth=1
	ds_load_b32 v9, v5 offset:49164
	s_waitcnt lgkmcnt(0)
	v_add_nc_u32_e32 v8, v9, v8
	s_or_b32 exec_lo, exec_lo, s17
	s_and_saveexec_b32 s17, s4
	s_cbranch_execz .LBB208_40
.LBB208_56:                             ;   in Loop: Header=BB208_35 Depth=1
	ds_load_b32 v9, v5 offset:49168
	s_waitcnt lgkmcnt(0)
	v_add_nc_u32_e32 v8, v9, v8
	s_or_b32 exec_lo, exec_lo, s17
	s_and_saveexec_b32 s17, s5
	s_cbranch_execz .LBB208_41
.LBB208_57:                             ;   in Loop: Header=BB208_35 Depth=1
	ds_load_b32 v9, v5 offset:49172
	s_waitcnt lgkmcnt(0)
	v_add_nc_u32_e32 v8, v9, v8
	s_or_b32 exec_lo, exec_lo, s17
	s_and_saveexec_b32 s17, s6
	s_cbranch_execz .LBB208_42
.LBB208_58:                             ;   in Loop: Header=BB208_35 Depth=1
	ds_load_b32 v9, v5 offset:49176
	s_waitcnt lgkmcnt(0)
	v_add_nc_u32_e32 v8, v9, v8
	s_or_b32 exec_lo, exec_lo, s17
	s_and_saveexec_b32 s17, s7
	s_cbranch_execz .LBB208_43
.LBB208_59:                             ;   in Loop: Header=BB208_35 Depth=1
	ds_load_b32 v9, v5 offset:49180
	s_waitcnt lgkmcnt(0)
	v_add_nc_u32_e32 v8, v9, v8
	s_or_b32 exec_lo, exec_lo, s17
	s_and_saveexec_b32 s17, s8
	s_cbranch_execz .LBB208_44
.LBB208_60:                             ;   in Loop: Header=BB208_35 Depth=1
	ds_load_b32 v9, v5 offset:49184
	s_waitcnt lgkmcnt(0)
	v_add_nc_u32_e32 v8, v9, v8
	s_or_b32 exec_lo, exec_lo, s17
	s_and_saveexec_b32 s17, s9
	s_cbranch_execz .LBB208_45
.LBB208_61:                             ;   in Loop: Header=BB208_35 Depth=1
	ds_load_b32 v9, v5 offset:49188
	s_waitcnt lgkmcnt(0)
	v_add_nc_u32_e32 v8, v9, v8
	s_or_b32 exec_lo, exec_lo, s17
	s_and_saveexec_b32 s17, s10
	s_cbranch_execz .LBB208_46
.LBB208_62:                             ;   in Loop: Header=BB208_35 Depth=1
	ds_load_b32 v9, v5 offset:49192
	s_waitcnt lgkmcnt(0)
	v_add_nc_u32_e32 v8, v9, v8
	s_or_b32 exec_lo, exec_lo, s17
	s_and_saveexec_b32 s17, s11
	s_cbranch_execz .LBB208_47
.LBB208_63:                             ;   in Loop: Header=BB208_35 Depth=1
	ds_load_b32 v9, v5 offset:49196
	s_waitcnt lgkmcnt(0)
	v_add_nc_u32_e32 v8, v9, v8
	s_or_b32 exec_lo, exec_lo, s17
	s_and_saveexec_b32 s17, s12
	s_cbranch_execz .LBB208_48
.LBB208_64:                             ;   in Loop: Header=BB208_35 Depth=1
	ds_load_b32 v9, v5 offset:49200
	s_waitcnt lgkmcnt(0)
	v_add_nc_u32_e32 v8, v9, v8
	s_or_b32 exec_lo, exec_lo, s17
	s_and_saveexec_b32 s17, s13
	s_cbranch_execz .LBB208_49
.LBB208_65:                             ;   in Loop: Header=BB208_35 Depth=1
	ds_load_b32 v9, v5 offset:49204
	s_waitcnt lgkmcnt(0)
	v_add_nc_u32_e32 v8, v9, v8
	s_or_b32 exec_lo, exec_lo, s17
	s_and_saveexec_b32 s17, s14
	s_cbranch_execz .LBB208_50
.LBB208_66:                             ;   in Loop: Header=BB208_35 Depth=1
	ds_load_b32 v9, v5 offset:49208
	s_waitcnt lgkmcnt(0)
	v_add_nc_u32_e32 v8, v9, v8
	s_or_b32 exec_lo, exec_lo, s17
	s_and_saveexec_b32 s17, s15
	s_cbranch_execz .LBB208_51
.LBB208_67:                             ;   in Loop: Header=BB208_35 Depth=1
	s_delay_alu instid0(VALU_DEP_1) | instskip(NEXT) | instid1(VALU_DEP_1)
	v_add3_u32 v9, v6, -1, v8
	v_lshl_add_u32 v10, v9, 2, 0
	v_lshl_add_u32 v9, v9, 3, 0
	ds_store_b32 v10, v7
	ds_store_b64 v9, v[2:3] offset:16384
	s_or_b32 exec_lo, exec_lo, s17
	s_and_saveexec_b32 s15, vcc_lo
	s_cbranch_execz .LBB208_34
.LBB208_68:                             ;   in Loop: Header=BB208_35 Depth=1
	ds_store_b32 v5, v8 offset:49212
	s_branch .LBB208_34
.LBB208_69:                             ;   in Loop: Header=BB208_70 Depth=1
	s_or_b32 exec_lo, exec_lo, s4
	v_add_co_u32 v3, vcc_lo, 0x400, v3
	v_add_co_ci_u32_e32 v4, vcc_lo, 0, v4, vcc_lo
	s_delay_alu instid0(VALU_DEP_1) | instskip(SKIP_1) | instid1(SALU_CYCLE_1)
	v_cmp_le_i64_e32 vcc_lo, s[0:1], v[3:4]
	s_or_b32 s3, vcc_lo, s3
	s_and_not1_b32 exec_lo, exec_lo, s3
	s_cbranch_execz .LBB208_32
.LBB208_70:                             ; =>This Loop Header: Depth=1
                                        ;     Child Loop BB208_72 Depth 2
                                        ;       Child Loop BB208_78 Depth 3
                                        ;       Child Loop BB208_84 Depth 3
	v_lshlrev_b64 v[5:6], 3, v[3:4]
	v_lshlrev_b64 v[7:8], 2, v[3:4]
	s_mov_b32 s4, 0
	s_delay_alu instid0(VALU_DEP_2) | instskip(NEXT) | instid1(VALU_DEP_3)
	v_add_co_u32 v5, vcc_lo, s20, v5
	v_add_co_ci_u32_e32 v6, vcc_lo, s21, v6, vcc_lo
	s_delay_alu instid0(VALU_DEP_3) | instskip(NEXT) | instid1(VALU_DEP_4)
	v_add_co_u32 v7, vcc_lo, s18, v7
	v_add_co_ci_u32_e32 v8, vcc_lo, s19, v8, vcc_lo
	global_load_b64 v[5:6], v[5:6], off
	global_load_b32 v7, v[7:8], off
	s_waitcnt vmcnt(1)
	v_mul_f64 v[5:6], v[1:2], v[5:6]
	s_waitcnt vmcnt(0)
	v_subrev_nc_u32_e32 v9, s27, v7
	s_delay_alu instid0(VALU_DEP_1) | instskip(NEXT) | instid1(VALU_DEP_1)
	v_mul_lo_u32 v7, 0x89, v9
	v_and_b32_e32 v10, 0xfff, v7
	s_branch .LBB208_72
.LBB208_71:                             ;   in Loop: Header=BB208_72 Depth=2
	s_or_b32 exec_lo, exec_lo, s5
	s_xor_b32 s5, s6, -1
	s_delay_alu instid0(SALU_CYCLE_1) | instskip(NEXT) | instid1(SALU_CYCLE_1)
	s_and_b32 s5, exec_lo, s5
	s_or_b32 s4, s5, s4
	s_delay_alu instid0(SALU_CYCLE_1)
	s_and_not1_b32 exec_lo, exec_lo, s4
	s_cbranch_execz .LBB208_69
.LBB208_72:                             ;   Parent Loop BB208_70 Depth=1
                                        ; =>  This Loop Header: Depth=2
                                        ;       Child Loop BB208_78 Depth 3
                                        ;       Child Loop BB208_84 Depth 3
	s_delay_alu instid0(VALU_DEP_1)
	v_lshl_add_u32 v7, v10, 2, 0
	s_mov_b32 s5, exec_lo
                                        ; implicit-def: $sgpr6
	ds_load_b32 v8, v7
	s_waitcnt lgkmcnt(0)
	v_cmpx_ne_u32_e64 v8, v9
	s_xor_b32 s5, exec_lo, s5
	s_cbranch_execz .LBB208_82
; %bb.73:                               ;   in Loop: Header=BB208_72 Depth=2
	s_mov_b32 s7, exec_lo
                                        ; implicit-def: $sgpr6
	v_cmpx_ne_u32_e64 s33, v8
	s_xor_b32 s7, exec_lo, s7
; %bb.74:                               ;   in Loop: Header=BB208_72 Depth=2
	v_add_nc_u32_e32 v7, 1, v10
	s_mov_b32 s6, -1
	s_delay_alu instid0(VALU_DEP_1)
	v_and_b32_e32 v10, 0xfff, v7
                                        ; implicit-def: $vgpr7
; %bb.75:                               ;   in Loop: Header=BB208_72 Depth=2
	s_and_not1_saveexec_b32 s7, s7
	s_cbranch_execz .LBB208_81
; %bb.76:                               ;   in Loop: Header=BB208_72 Depth=2
	v_mov_b32_e32 v8, s33
	s_mov_b32 s9, -1
	s_mov_b32 s8, exec_lo
	ds_cmpstore_rtn_b32 v8, v7, v9, v8
	s_waitcnt lgkmcnt(0)
	v_cmpx_eq_u32_e64 s33, v8
	s_cbranch_execz .LBB208_80
; %bb.77:                               ;   in Loop: Header=BB208_72 Depth=2
	v_lshlrev_b32_e32 v8, 2, v10
	s_mov_b32 s9, 0
	s_delay_alu instid0(VALU_DEP_1)
	v_add_nc_u32_e32 v11, v7, v8
	ds_load_b64 v[7:8], v11 offset:16384
.LBB208_78:                             ;   Parent Loop BB208_70 Depth=1
                                        ;     Parent Loop BB208_72 Depth=2
                                        ; =>    This Inner Loop Header: Depth=3
	s_waitcnt lgkmcnt(0)
	v_add_f64 v[12:13], v[7:8], v[5:6]
	ds_cmpstore_rtn_b64 v[12:13], v11, v[12:13], v[7:8] offset:16384
	s_waitcnt lgkmcnt(0)
	v_cmp_eq_u64_e32 vcc_lo, v[12:13], v[7:8]
	v_dual_mov_b32 v7, v12 :: v_dual_mov_b32 v8, v13
	s_or_b32 s9, vcc_lo, s9
	s_delay_alu instid0(SALU_CYCLE_1)
	s_and_not1_b32 exec_lo, exec_lo, s9
	s_cbranch_execnz .LBB208_78
; %bb.79:                               ;   in Loop: Header=BB208_72 Depth=2
	s_or_b32 exec_lo, exec_lo, s9
	s_delay_alu instid0(SALU_CYCLE_1)
	s_xor_b32 s9, exec_lo, -1
.LBB208_80:                             ;   in Loop: Header=BB208_72 Depth=2
	s_or_b32 exec_lo, exec_lo, s8
	s_delay_alu instid0(SALU_CYCLE_1) | instskip(SKIP_1) | instid1(SALU_CYCLE_1)
	s_and_not1_b32 s6, s6, exec_lo
	s_and_b32 s8, s9, exec_lo
	s_or_b32 s6, s6, s8
.LBB208_81:                             ;   in Loop: Header=BB208_72 Depth=2
	s_or_b32 exec_lo, exec_lo, s7
	s_delay_alu instid0(SALU_CYCLE_1)
	s_and_b32 s6, s6, exec_lo
                                        ; implicit-def: $vgpr7
.LBB208_82:                             ;   in Loop: Header=BB208_72 Depth=2
	s_and_not1_saveexec_b32 s5, s5
	s_cbranch_execz .LBB208_71
; %bb.83:                               ;   in Loop: Header=BB208_72 Depth=2
	v_lshlrev_b32_e32 v8, 2, v10
	s_mov_b32 s7, 0
	s_delay_alu instid0(VALU_DEP_1)
	v_add_nc_u32_e32 v11, v7, v8
	ds_load_b64 v[7:8], v11 offset:16384
.LBB208_84:                             ;   Parent Loop BB208_70 Depth=1
                                        ;     Parent Loop BB208_72 Depth=2
                                        ; =>    This Inner Loop Header: Depth=3
	s_waitcnt lgkmcnt(0)
	v_add_f64 v[12:13], v[7:8], v[5:6]
	ds_cmpstore_rtn_b64 v[12:13], v11, v[12:13], v[7:8] offset:16384
	s_waitcnt lgkmcnt(0)
	v_cmp_eq_u64_e32 vcc_lo, v[12:13], v[7:8]
	v_dual_mov_b32 v7, v12 :: v_dual_mov_b32 v8, v13
	s_or_b32 s7, vcc_lo, s7
	s_delay_alu instid0(SALU_CYCLE_1)
	s_and_not1_b32 exec_lo, exec_lo, s7
	s_cbranch_execnz .LBB208_84
; %bb.85:                               ;   in Loop: Header=BB208_72 Depth=2
	s_or_b32 exec_lo, exec_lo, s7
	s_delay_alu instid0(SALU_CYCLE_1)
	s_and_not1_b32 s6, s6, exec_lo
	s_branch .LBB208_71
.LBB208_86:
	s_or_b32 exec_lo, exec_lo, s16
	s_ashr_i32 s35, s34, 31
	s_mov_b32 s4, exec_lo
	s_lshl_b64 s[0:1], s[34:35], 3
	s_delay_alu instid0(SALU_CYCLE_1) | instskip(SKIP_4) | instid1(SALU_CYCLE_1)
	s_add_u32 s0, s22, s0
	s_addc_u32 s1, s23, s1
	s_load_b128 s[0:3], s[0:1], 0x0
	s_waitcnt lgkmcnt(0)
	s_sub_i32 s3, s2, s0
	v_cmpx_gt_i32_e64 s3, v0
	s_cbranch_execz .LBB208_96
; %bb.87:
	s_sub_u32 s4, s0, s26
	s_subb_u32 s5, s1, 0
	s_sub_i32 s0, s0, s2
	s_and_b32 s1, s3, 7
	s_cmp_lt_u32 s0, -7
	s_mov_b32 s8, 0
	s_cselect_b32 s2, -1, 0
	s_and_b32 s6, s3, -8
	s_cmp_lg_u32 s1, 0
	s_cselect_b32 s7, -1, 0
	s_branch .LBB208_89
.LBB208_88:                             ;   in Loop: Header=BB208_89 Depth=1
	s_delay_alu instid0(VALU_DEP_1) | instskip(SKIP_4) | instid1(VALU_DEP_4)
	v_lshlrev_b64 v[6:7], 2, v[3:4]
	v_lshlrev_b64 v[3:4], 3, v[3:4]
	v_add_nc_u32_e32 v0, 0x400, v0
	s_waitcnt lgkmcnt(1)
	v_add_nc_u32_e32 v8, s26, v5
	v_add_co_u32 v5, vcc_lo, s28, v6
	v_add_co_ci_u32_e32 v6, vcc_lo, s29, v7, vcc_lo
	v_cmp_le_i32_e32 vcc_lo, s3, v0
	v_add_co_u32 v3, s0, s30, v3
	s_delay_alu instid0(VALU_DEP_1)
	v_add_co_ci_u32_e64 v4, s0, s31, v4, s0
	s_or_b32 s8, vcc_lo, s8
	global_store_b32 v[5:6], v8, off
	s_waitcnt lgkmcnt(0)
	global_store_b64 v[3:4], v[1:2], off
	s_and_not1_b32 exec_lo, exec_lo, s8
	s_cbranch_execz .LBB208_96
.LBB208_89:                             ; =>This Loop Header: Depth=1
                                        ;     Child Loop BB208_91 Depth 2
                                        ;     Child Loop BB208_95 Depth 2
	v_lshlrev_b32_e32 v1, 2, v0
	v_dual_mov_b32 v3, s4 :: v_dual_mov_b32 v4, s5
	s_and_not1_b32 vcc_lo, exec_lo, s2
	s_mov_b32 s0, 0
	s_delay_alu instid0(VALU_DEP_2) | instskip(NEXT) | instid1(VALU_DEP_1)
	v_add_nc_u32_e32 v2, 0, v1
	v_add_nc_u32_e32 v1, v2, v1
	ds_load_b32 v5, v2
	ds_load_b64 v[1:2], v1 offset:16384
	s_cbranch_vccnz .LBB208_93
; %bb.90:                               ;   in Loop: Header=BB208_89 Depth=1
	v_dual_mov_b32 v3, s4 :: v_dual_mov_b32 v4, s5
	s_mov_b32 s9, 0
	s_mov_b32 s10, 0
.LBB208_91:                             ;   Parent Loop BB208_89 Depth=1
                                        ; =>  This Inner Loop Header: Depth=2
	s_delay_alu instid0(SALU_CYCLE_1)
	v_mov_b32_e32 v12, s10
	s_add_i32 s9, s9, 8
	s_add_i32 s10, s10, 32
	s_cmp_eq_u32 s6, s9
	ds_load_2addr_b32 v[6:7], v12 offset1:1
	ds_load_2addr_b32 v[8:9], v12 offset0:2 offset1:3
	ds_load_2addr_b32 v[10:11], v12 offset0:4 offset1:5
	ds_load_2addr_b32 v[12:13], v12 offset0:6 offset1:7
	s_waitcnt lgkmcnt(3)
	v_cmp_gt_i32_e32 vcc_lo, v5, v6
	v_cndmask_b32_e64 v6, 0, 1, vcc_lo
	v_cmp_gt_i32_e32 vcc_lo, v5, v7
	v_cndmask_b32_e64 v7, 0, 1, vcc_lo
	s_waitcnt lgkmcnt(2)
	v_cmp_gt_i32_e32 vcc_lo, v5, v8
	v_cndmask_b32_e64 v8, 0, 1, vcc_lo
	v_cmp_gt_i32_e32 vcc_lo, v5, v9
	v_cndmask_b32_e64 v9, 0, 1, vcc_lo
	s_waitcnt lgkmcnt(1)
	v_cmp_gt_i32_e32 vcc_lo, v5, v10
	v_cndmask_b32_e64 v10, 0, 1, vcc_lo
	v_add_co_u32 v3, vcc_lo, v3, v6
	v_add_co_ci_u32_e32 v4, vcc_lo, 0, v4, vcc_lo
	v_cmp_gt_i32_e32 vcc_lo, v5, v11
	s_delay_alu instid0(VALU_DEP_3) | instskip(NEXT) | instid1(VALU_DEP_1)
	v_add_co_u32 v3, s0, v3, v7
	v_add_co_ci_u32_e64 v4, s0, 0, v4, s0
	v_cndmask_b32_e64 v6, 0, 1, vcc_lo
	s_delay_alu instid0(VALU_DEP_3) | instskip(NEXT) | instid1(VALU_DEP_3)
	v_add_co_u32 v3, vcc_lo, v3, v8
	v_add_co_ci_u32_e32 v4, vcc_lo, 0, v4, vcc_lo
	s_waitcnt lgkmcnt(0)
	v_cmp_gt_i32_e32 vcc_lo, v5, v12
	s_delay_alu instid0(VALU_DEP_3) | instskip(NEXT) | instid1(VALU_DEP_1)
	v_add_co_u32 v3, s0, v3, v9
	v_add_co_ci_u32_e64 v4, s0, 0, v4, s0
	v_cndmask_b32_e64 v7, 0, 1, vcc_lo
	s_delay_alu instid0(VALU_DEP_3) | instskip(NEXT) | instid1(VALU_DEP_3)
	v_add_co_u32 v3, vcc_lo, v3, v10
	v_add_co_ci_u32_e32 v4, vcc_lo, 0, v4, vcc_lo
	v_cmp_gt_i32_e32 vcc_lo, v5, v13
	s_delay_alu instid0(VALU_DEP_3) | instskip(NEXT) | instid1(VALU_DEP_1)
	v_add_co_u32 v3, s0, v3, v6
	v_add_co_ci_u32_e64 v4, s0, 0, v4, s0
	v_cndmask_b32_e64 v6, 0, 1, vcc_lo
	s_delay_alu instid0(VALU_DEP_3) | instskip(NEXT) | instid1(VALU_DEP_3)
	v_add_co_u32 v3, vcc_lo, v3, v7
	v_add_co_ci_u32_e32 v4, vcc_lo, 0, v4, vcc_lo
	s_delay_alu instid0(VALU_DEP_2) | instskip(NEXT) | instid1(VALU_DEP_2)
	v_add_co_u32 v3, vcc_lo, v3, v6
	v_add_co_ci_u32_e32 v4, vcc_lo, 0, v4, vcc_lo
	s_cbranch_scc0 .LBB208_91
; %bb.92:                               ;   in Loop: Header=BB208_89 Depth=1
	s_mov_b32 s0, s6
.LBB208_93:                             ;   in Loop: Header=BB208_89 Depth=1
	s_and_not1_b32 vcc_lo, exec_lo, s7
	s_cbranch_vccnz .LBB208_88
; %bb.94:                               ;   in Loop: Header=BB208_89 Depth=1
	s_lshl_b32 s0, s0, 2
	s_mov_b32 s9, s1
	s_add_i32 s0, s0, 0
.LBB208_95:                             ;   Parent Loop BB208_89 Depth=1
                                        ; =>  This Inner Loop Header: Depth=2
	s_delay_alu instid0(SALU_CYCLE_1)
	v_mov_b32_e32 v6, s0
	s_add_i32 s9, s9, -1
	s_add_i32 s0, s0, 4
	s_cmp_lg_u32 s9, 0
	ds_load_b32 v6, v6
	s_waitcnt lgkmcnt(0)
	v_cmp_gt_i32_e32 vcc_lo, v5, v6
	v_cndmask_b32_e64 v6, 0, 1, vcc_lo
	s_delay_alu instid0(VALU_DEP_1)
	v_add_co_u32 v3, vcc_lo, v3, v6
	v_add_co_ci_u32_e32 v4, vcc_lo, 0, v4, vcc_lo
	s_cbranch_scc1 .LBB208_95
	s_branch .LBB208_88
.LBB208_96:
	s_nop 0
	s_sendmsg sendmsg(MSG_DEALLOC_VGPRS)
	s_endpgm
	.section	.rodata,"a",@progbits
	.p2align	6, 0x0
	.amdhsa_kernel _ZN9rocsparseL26csrgemm_fill_block_per_rowILj1024ELj64ELj4096ELj137ELj64ElidEEvT5_PKS1_S3_NS_24const_host_device_scalarIT6_EEPKT4_S3_PKS5_S9_S3_SB_S6_S9_S3_SB_S9_PS1_PS5_21rocsparse_index_base_SE_SE_SE_bbb
		.amdhsa_group_segment_fixed_size 0
		.amdhsa_private_segment_fixed_size 0
		.amdhsa_kernarg_size 156
		.amdhsa_user_sgpr_count 15
		.amdhsa_user_sgpr_dispatch_ptr 0
		.amdhsa_user_sgpr_queue_ptr 0
		.amdhsa_user_sgpr_kernarg_segment_ptr 1
		.amdhsa_user_sgpr_dispatch_id 0
		.amdhsa_user_sgpr_private_segment_size 0
		.amdhsa_wavefront_size32 1
		.amdhsa_uses_dynamic_stack 0
		.amdhsa_enable_private_segment 0
		.amdhsa_system_sgpr_workgroup_id_x 1
		.amdhsa_system_sgpr_workgroup_id_y 0
		.amdhsa_system_sgpr_workgroup_id_z 0
		.amdhsa_system_sgpr_workgroup_info 0
		.amdhsa_system_vgpr_workitem_id 0
		.amdhsa_next_free_vgpr 28
		.amdhsa_next_free_sgpr 44
		.amdhsa_reserve_vcc 1
		.amdhsa_float_round_mode_32 0
		.amdhsa_float_round_mode_16_64 0
		.amdhsa_float_denorm_mode_32 3
		.amdhsa_float_denorm_mode_16_64 3
		.amdhsa_dx10_clamp 1
		.amdhsa_ieee_mode 1
		.amdhsa_fp16_overflow 0
		.amdhsa_workgroup_processor_mode 1
		.amdhsa_memory_ordered 1
		.amdhsa_forward_progress 0
		.amdhsa_shared_vgpr_count 0
		.amdhsa_exception_fp_ieee_invalid_op 0
		.amdhsa_exception_fp_denorm_src 0
		.amdhsa_exception_fp_ieee_div_zero 0
		.amdhsa_exception_fp_ieee_overflow 0
		.amdhsa_exception_fp_ieee_underflow 0
		.amdhsa_exception_fp_ieee_inexact 0
		.amdhsa_exception_int_div_zero 0
	.end_amdhsa_kernel
	.section	.text._ZN9rocsparseL26csrgemm_fill_block_per_rowILj1024ELj64ELj4096ELj137ELj64ElidEEvT5_PKS1_S3_NS_24const_host_device_scalarIT6_EEPKT4_S3_PKS5_S9_S3_SB_S6_S9_S3_SB_S9_PS1_PS5_21rocsparse_index_base_SE_SE_SE_bbb,"axG",@progbits,_ZN9rocsparseL26csrgemm_fill_block_per_rowILj1024ELj64ELj4096ELj137ELj64ElidEEvT5_PKS1_S3_NS_24const_host_device_scalarIT6_EEPKT4_S3_PKS5_S9_S3_SB_S6_S9_S3_SB_S9_PS1_PS5_21rocsparse_index_base_SE_SE_SE_bbb,comdat
.Lfunc_end208:
	.size	_ZN9rocsparseL26csrgemm_fill_block_per_rowILj1024ELj64ELj4096ELj137ELj64ElidEEvT5_PKS1_S3_NS_24const_host_device_scalarIT6_EEPKT4_S3_PKS5_S9_S3_SB_S6_S9_S3_SB_S9_PS1_PS5_21rocsparse_index_base_SE_SE_SE_bbb, .Lfunc_end208-_ZN9rocsparseL26csrgemm_fill_block_per_rowILj1024ELj64ELj4096ELj137ELj64ElidEEvT5_PKS1_S3_NS_24const_host_device_scalarIT6_EEPKT4_S3_PKS5_S9_S3_SB_S6_S9_S3_SB_S9_PS1_PS5_21rocsparse_index_base_SE_SE_SE_bbb
                                        ; -- End function
	.section	.AMDGPU.csdata,"",@progbits
; Kernel info:
; codeLenInByte = 3768
; NumSgprs: 46
; NumVgprs: 28
; ScratchSize: 0
; MemoryBound: 0
; FloatMode: 240
; IeeeMode: 1
; LDSByteSize: 0 bytes/workgroup (compile time only)
; SGPRBlocks: 5
; VGPRBlocks: 3
; NumSGPRsForWavesPerEU: 46
; NumVGPRsForWavesPerEU: 28
; Occupancy: 16
; WaveLimiterHint : 1
; COMPUTE_PGM_RSRC2:SCRATCH_EN: 0
; COMPUTE_PGM_RSRC2:USER_SGPR: 15
; COMPUTE_PGM_RSRC2:TRAP_HANDLER: 0
; COMPUTE_PGM_RSRC2:TGID_X_EN: 1
; COMPUTE_PGM_RSRC2:TGID_Y_EN: 0
; COMPUTE_PGM_RSRC2:TGID_Z_EN: 0
; COMPUTE_PGM_RSRC2:TIDIG_COMP_CNT: 0
	.section	.text._ZN9rocsparseL26csrgemm_fill_block_per_rowILj1024ELj64ELj8192ELj137ELj32ElidEEvT5_PKS1_S3_NS_24const_host_device_scalarIT6_EEPKT4_S3_PKS5_S9_S3_SB_S6_S9_S3_SB_S9_PS1_PS5_21rocsparse_index_base_SE_SE_SE_bbb,"axG",@progbits,_ZN9rocsparseL26csrgemm_fill_block_per_rowILj1024ELj64ELj8192ELj137ELj32ElidEEvT5_PKS1_S3_NS_24const_host_device_scalarIT6_EEPKT4_S3_PKS5_S9_S3_SB_S6_S9_S3_SB_S9_PS1_PS5_21rocsparse_index_base_SE_SE_SE_bbb,comdat
	.globl	_ZN9rocsparseL26csrgemm_fill_block_per_rowILj1024ELj64ELj8192ELj137ELj32ElidEEvT5_PKS1_S3_NS_24const_host_device_scalarIT6_EEPKT4_S3_PKS5_S9_S3_SB_S6_S9_S3_SB_S9_PS1_PS5_21rocsparse_index_base_SE_SE_SE_bbb ; -- Begin function _ZN9rocsparseL26csrgemm_fill_block_per_rowILj1024ELj64ELj8192ELj137ELj32ElidEEvT5_PKS1_S3_NS_24const_host_device_scalarIT6_EEPKT4_S3_PKS5_S9_S3_SB_S6_S9_S3_SB_S9_PS1_PS5_21rocsparse_index_base_SE_SE_SE_bbb
	.p2align	8
	.type	_ZN9rocsparseL26csrgemm_fill_block_per_rowILj1024ELj64ELj8192ELj137ELj32ElidEEvT5_PKS1_S3_NS_24const_host_device_scalarIT6_EEPKT4_S3_PKS5_S9_S3_SB_S6_S9_S3_SB_S9_PS1_PS5_21rocsparse_index_base_SE_SE_SE_bbb,@function
_ZN9rocsparseL26csrgemm_fill_block_per_rowILj1024ELj64ELj8192ELj137ELj32ElidEEvT5_PKS1_S3_NS_24const_host_device_scalarIT6_EEPKT4_S3_PKS5_S9_S3_SB_S6_S9_S3_SB_S9_PS1_PS5_21rocsparse_index_base_SE_SE_SE_bbb: ; @_ZN9rocsparseL26csrgemm_fill_block_per_rowILj1024ELj64ELj8192ELj137ELj32ElidEEvT5_PKS1_S3_NS_24const_host_device_scalarIT6_EEPKT4_S3_PKS5_S9_S3_SB_S6_S9_S3_SB_S9_PS1_PS5_21rocsparse_index_base_SE_SE_SE_bbb
; %bb.0:
	s_clause 0x4
	s_load_b32 s11, s[0:1], 0x98
	s_load_b64 s[8:9], s[0:1], 0x18
	s_load_b128 s[4:7], s[0:1], 0x8
	s_load_b128 s[36:39], s[0:1], 0x88
	s_load_b64 s[2:3], s[0:1], 0x50
	s_waitcnt lgkmcnt(0)
	s_and_b32 s10, 1, s11
	s_bitcmp1_b32 s11, 16
	s_cselect_b32 s12, -1, 0
	s_cmp_eq_u32 s10, 1
	s_cselect_b32 s10, -1, 0
	s_delay_alu instid0(SALU_CYCLE_1)
	s_and_b32 s13, s10, exec_lo
	s_cselect_b32 s17, s9, 0
	s_cselect_b32 s16, s8, 0
	s_xor_b32 s13, s10, -1
	v_dual_mov_b32 v3, s16 :: v_dual_mov_b32 v4, s17
	s_or_b32 s13, s13, s12
	s_delay_alu instid0(SALU_CYCLE_1)
	s_and_b32 vcc_lo, exec_lo, s13
	s_cbranch_vccnz .LBB209_2
; %bb.1:
	v_dual_mov_b32 v1, s8 :: v_dual_mov_b32 v2, s9
	flat_load_b64 v[3:4], v[1:2]
.LBB209_2:
	s_bitcmp1_b32 s11, 8
	s_cselect_b32 s14, -1, 0
	s_delay_alu instid0(SALU_CYCLE_1)
	s_and_b32 s8, s14, exec_lo
	s_cselect_b32 s9, s3, 0
	s_cselect_b32 s8, s2, 0
	s_xor_b32 s11, s14, -1
	v_dual_mov_b32 v1, s8 :: v_dual_mov_b32 v2, s9
	s_or_b32 s11, s11, s12
	s_delay_alu instid0(SALU_CYCLE_1)
	s_and_b32 vcc_lo, exec_lo, s11
	s_cbranch_vccnz .LBB209_4
; %bb.3:
	v_dual_mov_b32 v1, s2 :: v_dual_mov_b32 v2, s3
	flat_load_b64 v[1:2], v[1:2]
.LBB209_4:
	s_load_b32 s33, s[0:1], 0x0
	s_mov_b32 s2, 0
	s_delay_alu instid0(SALU_CYCLE_1) | instskip(NEXT) | instid1(SALU_CYCLE_1)
	s_mov_b32 s3, s2
	v_dual_mov_b32 v6, s3 :: v_dual_lshlrev_b32 v7, 2, v0
	v_dual_mov_b32 v5, s2 :: v_dual_lshlrev_b32 v18, 3, v0
	s_delay_alu instid0(VALU_DEP_2) | instskip(NEXT) | instid1(VALU_DEP_2)
	v_add_nc_u32_e32 v17, 0, v7
	v_add3_u32 v8, 0, 0x8000, v18
	ds_store_2addr_stride64_b64 v8, v[5:6], v[5:6] offset0:16 offset1:32
	ds_store_2addr_stride64_b64 v8, v[5:6], v[5:6] offset0:48 offset1:64
	ds_store_2addr_stride64_b64 v8, v[5:6], v[5:6] offset0:80 offset1:96
	s_waitcnt lgkmcnt(0)
	v_dual_mov_b32 v10, s33 :: v_dual_add_nc_u32 v7, v17, v7
	v_dual_mov_b32 v12, s33 :: v_dual_mov_b32 v9, s33
	v_dual_mov_b32 v14, s33 :: v_dual_mov_b32 v11, s33
	;; [unrolled: 1-line block ×3, first 2 shown]
	v_mov_b32_e32 v15, s33
	ds_store_b64 v7, v[5:6] offset:32768
	ds_store_b64 v8, v[5:6] offset:57344
	ds_store_2addr_stride64_b32 v17, v9, v10 offset1:16
	ds_store_2addr_stride64_b32 v17, v11, v12 offset0:32 offset1:48
	ds_store_2addr_stride64_b32 v17, v13, v14 offset0:64 offset1:80
	;; [unrolled: 1-line block ×3, first 2 shown]
	s_waitcnt vmcnt(0) lgkmcnt(0)
	s_barrier
	buffer_gl0_inv
	s_load_b32 s3, s[4:5], 0x0
	s_mov_b32 s5, s2
	s_waitcnt lgkmcnt(0)
	s_add_i32 s4, s3, s15
	s_delay_alu instid0(SALU_CYCLE_1) | instskip(NEXT) | instid1(SALU_CYCLE_1)
	s_lshl_b64 s[2:3], s[4:5], 2
	s_add_u32 s2, s6, s2
	s_addc_u32 s3, s7, s3
	s_and_not1_b32 vcc_lo, exec_lo, s10
	s_load_b32 s34, s[2:3], 0x0
	s_cbranch_vccnz .LBB209_28
; %bb.5:
	s_load_b64 s[2:3], s[0:1], 0x20
	s_waitcnt lgkmcnt(0)
	s_ashr_i32 s35, s34, 31
	v_lshrrev_b32_e32 v5, 6, v0
	s_lshl_b64 s[4:5], s[34:35], 3
	s_mov_b32 s15, exec_lo
	s_add_u32 s2, s2, s4
	s_addc_u32 s3, s3, s5
	s_load_b128 s[4:7], s[2:3], 0x0
	v_sub_co_u32 v5, s2, v5, s36
	s_delay_alu instid0(VALU_DEP_1) | instskip(SKIP_1) | instid1(VALU_DEP_2)
	v_sub_co_ci_u32_e64 v6, null, 0, 0, s2
	s_waitcnt lgkmcnt(0)
	v_add_co_u32 v5, vcc_lo, s4, v5
	s_delay_alu instid0(VALU_DEP_2)
	v_add_co_ci_u32_e32 v6, vcc_lo, s5, v6, vcc_lo
	s_sub_u32 s2, s6, s36
	s_subb_u32 s3, s7, 0
	s_delay_alu instid0(VALU_DEP_1) | instid1(SALU_CYCLE_1)
	v_cmpx_gt_i64_e64 s[2:3], v[5:6]
	s_cbranch_execz .LBB209_27
; %bb.6:
	s_clause 0x1
	s_load_b64 s[12:13], s[0:1], 0x48
	s_load_b256 s[4:11], s[0:1], 0x28
	v_and_b32_e32 v7, 63, v0
	s_mov_b32 s17, s37
	s_delay_alu instid0(VALU_DEP_1) | instskip(NEXT) | instid1(VALU_DEP_1)
	v_sub_co_u32 v19, s16, v7, s37
	v_sub_co_ci_u32_e64 v20, null, 0, 0, s16
	s_mov_b32 s16, 0
	s_branch .LBB209_8
.LBB209_7:                              ;   in Loop: Header=BB209_8 Depth=1
	s_or_b32 exec_lo, exec_lo, s18
	v_add_co_u32 v5, vcc_lo, v5, 16
	v_add_co_ci_u32_e32 v6, vcc_lo, 0, v6, vcc_lo
	s_delay_alu instid0(VALU_DEP_1) | instskip(SKIP_1) | instid1(SALU_CYCLE_1)
	v_cmp_le_i64_e32 vcc_lo, s[2:3], v[5:6]
	s_or_b32 s16, vcc_lo, s16
	s_and_not1_b32 exec_lo, exec_lo, s16
	s_cbranch_execz .LBB209_27
.LBB209_8:                              ; =>This Loop Header: Depth=1
                                        ;     Child Loop BB209_11 Depth 2
                                        ;       Child Loop BB209_13 Depth 3
                                        ;         Child Loop BB209_19 Depth 4
                                        ;         Child Loop BB209_25 Depth 4
	v_lshlrev_b64 v[7:8], 2, v[5:6]
	s_mov_b32 s18, exec_lo
	s_waitcnt lgkmcnt(0)
	s_delay_alu instid0(VALU_DEP_1) | instskip(NEXT) | instid1(VALU_DEP_2)
	v_add_co_u32 v7, vcc_lo, s4, v7
	v_add_co_ci_u32_e32 v8, vcc_lo, s5, v8, vcc_lo
	global_load_b32 v7, v[7:8], off
	s_waitcnt vmcnt(0)
	v_subrev_nc_u32_e32 v7, s36, v7
	s_delay_alu instid0(VALU_DEP_1) | instskip(NEXT) | instid1(VALU_DEP_1)
	v_ashrrev_i32_e32 v8, 31, v7
	v_lshlrev_b64 v[7:8], 3, v[7:8]
	s_delay_alu instid0(VALU_DEP_1) | instskip(NEXT) | instid1(VALU_DEP_2)
	v_add_co_u32 v7, vcc_lo, s8, v7
	v_add_co_ci_u32_e32 v8, vcc_lo, s9, v8, vcc_lo
	global_load_b128 v[9:12], v[7:8], off
	s_waitcnt vmcnt(0)
	v_sub_co_u32 v7, vcc_lo, v11, s17
	v_subrev_co_ci_u32_e32 v8, vcc_lo, 0, v12, vcc_lo
	v_add_co_u32 v9, vcc_lo, v9, v19
	v_add_co_ci_u32_e32 v10, vcc_lo, v10, v20, vcc_lo
	s_delay_alu instid0(VALU_DEP_1)
	v_cmpx_lt_i64_e64 v[9:10], v[7:8]
	s_cbranch_execz .LBB209_7
; %bb.9:                                ;   in Loop: Header=BB209_8 Depth=1
	v_lshlrev_b64 v[11:12], 3, v[5:6]
	s_mov_b32 s19, 0
	s_delay_alu instid0(VALU_DEP_1) | instskip(NEXT) | instid1(VALU_DEP_2)
	v_add_co_u32 v11, vcc_lo, s6, v11
	v_add_co_ci_u32_e32 v12, vcc_lo, s7, v12, vcc_lo
	global_load_b64 v[11:12], v[11:12], off
	s_waitcnt vmcnt(0)
	v_mul_f64 v[11:12], v[3:4], v[11:12]
	s_branch .LBB209_11
.LBB209_10:                             ;   in Loop: Header=BB209_11 Depth=2
	s_or_b32 exec_lo, exec_lo, s20
	v_add_co_u32 v9, vcc_lo, v9, 64
	v_add_co_ci_u32_e32 v10, vcc_lo, 0, v10, vcc_lo
	s_delay_alu instid0(VALU_DEP_1) | instskip(SKIP_1) | instid1(SALU_CYCLE_1)
	v_cmp_ge_i64_e32 vcc_lo, v[9:10], v[7:8]
	s_or_b32 s19, vcc_lo, s19
	s_and_not1_b32 exec_lo, exec_lo, s19
	s_cbranch_execz .LBB209_7
.LBB209_11:                             ;   Parent Loop BB209_8 Depth=1
                                        ; =>  This Loop Header: Depth=2
                                        ;       Child Loop BB209_13 Depth 3
                                        ;         Child Loop BB209_19 Depth 4
                                        ;         Child Loop BB209_25 Depth 4
	v_lshlrev_b64 v[13:14], 3, v[9:10]
	v_lshlrev_b64 v[15:16], 2, v[9:10]
	s_mov_b32 s20, 0
	s_delay_alu instid0(VALU_DEP_2) | instskip(NEXT) | instid1(VALU_DEP_3)
	v_add_co_u32 v13, vcc_lo, s12, v13
	v_add_co_ci_u32_e32 v14, vcc_lo, s13, v14, vcc_lo
	s_delay_alu instid0(VALU_DEP_3) | instskip(NEXT) | instid1(VALU_DEP_4)
	v_add_co_u32 v15, vcc_lo, s10, v15
	v_add_co_ci_u32_e32 v16, vcc_lo, s11, v16, vcc_lo
	global_load_b64 v[13:14], v[13:14], off
	global_load_b32 v15, v[15:16], off
	s_waitcnt vmcnt(1)
	v_mul_f64 v[13:14], v[11:12], v[13:14]
	s_waitcnt vmcnt(0)
	v_subrev_nc_u32_e32 v21, s37, v15
	s_delay_alu instid0(VALU_DEP_1) | instskip(NEXT) | instid1(VALU_DEP_1)
	v_mul_lo_u32 v15, 0x89, v21
	v_and_b32_e32 v22, 0x1fff, v15
	s_branch .LBB209_13
.LBB209_12:                             ;   in Loop: Header=BB209_13 Depth=3
	s_or_b32 exec_lo, exec_lo, s21
	s_xor_b32 s21, s22, -1
	s_delay_alu instid0(SALU_CYCLE_1) | instskip(NEXT) | instid1(SALU_CYCLE_1)
	s_and_b32 s21, exec_lo, s21
	s_or_b32 s20, s21, s20
	s_delay_alu instid0(SALU_CYCLE_1)
	s_and_not1_b32 exec_lo, exec_lo, s20
	s_cbranch_execz .LBB209_10
.LBB209_13:                             ;   Parent Loop BB209_8 Depth=1
                                        ;     Parent Loop BB209_11 Depth=2
                                        ; =>    This Loop Header: Depth=3
                                        ;         Child Loop BB209_19 Depth 4
                                        ;         Child Loop BB209_25 Depth 4
	s_delay_alu instid0(VALU_DEP_1)
	v_lshl_add_u32 v15, v22, 2, 0
	s_mov_b32 s21, exec_lo
                                        ; implicit-def: $sgpr22
	ds_load_b32 v16, v15
	s_waitcnt lgkmcnt(0)
	v_cmpx_ne_u32_e64 v16, v21
	s_xor_b32 s21, exec_lo, s21
	s_cbranch_execz .LBB209_23
; %bb.14:                               ;   in Loop: Header=BB209_13 Depth=3
	s_mov_b32 s23, exec_lo
                                        ; implicit-def: $sgpr22
	v_cmpx_ne_u32_e64 s33, v16
	s_xor_b32 s23, exec_lo, s23
; %bb.15:                               ;   in Loop: Header=BB209_13 Depth=3
	v_add_nc_u32_e32 v15, 1, v22
	s_mov_b32 s22, -1
	s_delay_alu instid0(VALU_DEP_1)
	v_and_b32_e32 v22, 0x1fff, v15
                                        ; implicit-def: $vgpr15
; %bb.16:                               ;   in Loop: Header=BB209_13 Depth=3
	s_and_not1_saveexec_b32 s23, s23
	s_cbranch_execz .LBB209_22
; %bb.17:                               ;   in Loop: Header=BB209_13 Depth=3
	v_mov_b32_e32 v16, s33
	s_mov_b32 s25, -1
	s_mov_b32 s24, exec_lo
	ds_cmpstore_rtn_b32 v16, v15, v21, v16
	s_waitcnt lgkmcnt(0)
	v_cmpx_eq_u32_e64 s33, v16
	s_cbranch_execz .LBB209_21
; %bb.18:                               ;   in Loop: Header=BB209_13 Depth=3
	v_lshlrev_b32_e32 v16, 2, v22
	s_mov_b32 s25, 0
	s_delay_alu instid0(VALU_DEP_1)
	v_add_nc_u32_e32 v23, v15, v16
	ds_load_b64 v[15:16], v23 offset:32768
.LBB209_19:                             ;   Parent Loop BB209_8 Depth=1
                                        ;     Parent Loop BB209_11 Depth=2
                                        ;       Parent Loop BB209_13 Depth=3
                                        ; =>      This Inner Loop Header: Depth=4
	s_waitcnt lgkmcnt(0)
	v_add_f64 v[24:25], v[15:16], v[13:14]
	ds_cmpstore_rtn_b64 v[24:25], v23, v[24:25], v[15:16] offset:32768
	s_waitcnt lgkmcnt(0)
	v_cmp_eq_u64_e32 vcc_lo, v[24:25], v[15:16]
	v_dual_mov_b32 v15, v24 :: v_dual_mov_b32 v16, v25
	s_or_b32 s25, vcc_lo, s25
	s_delay_alu instid0(SALU_CYCLE_1)
	s_and_not1_b32 exec_lo, exec_lo, s25
	s_cbranch_execnz .LBB209_19
; %bb.20:                               ;   in Loop: Header=BB209_13 Depth=3
	s_or_b32 exec_lo, exec_lo, s25
	s_delay_alu instid0(SALU_CYCLE_1)
	s_xor_b32 s25, exec_lo, -1
.LBB209_21:                             ;   in Loop: Header=BB209_13 Depth=3
	s_or_b32 exec_lo, exec_lo, s24
	s_delay_alu instid0(SALU_CYCLE_1) | instskip(SKIP_1) | instid1(SALU_CYCLE_1)
	s_and_not1_b32 s22, s22, exec_lo
	s_and_b32 s24, s25, exec_lo
	s_or_b32 s22, s22, s24
.LBB209_22:                             ;   in Loop: Header=BB209_13 Depth=3
	s_or_b32 exec_lo, exec_lo, s23
	s_delay_alu instid0(SALU_CYCLE_1)
	s_and_b32 s22, s22, exec_lo
                                        ; implicit-def: $vgpr15
.LBB209_23:                             ;   in Loop: Header=BB209_13 Depth=3
	s_and_not1_saveexec_b32 s21, s21
	s_cbranch_execz .LBB209_12
; %bb.24:                               ;   in Loop: Header=BB209_13 Depth=3
	v_lshlrev_b32_e32 v16, 2, v22
	s_mov_b32 s23, 0
	s_delay_alu instid0(VALU_DEP_1)
	v_add_nc_u32_e32 v23, v15, v16
	ds_load_b64 v[15:16], v23 offset:32768
.LBB209_25:                             ;   Parent Loop BB209_8 Depth=1
                                        ;     Parent Loop BB209_11 Depth=2
                                        ;       Parent Loop BB209_13 Depth=3
                                        ; =>      This Inner Loop Header: Depth=4
	s_waitcnt lgkmcnt(0)
	v_add_f64 v[24:25], v[15:16], v[13:14]
	ds_cmpstore_rtn_b64 v[24:25], v23, v[24:25], v[15:16] offset:32768
	s_waitcnt lgkmcnt(0)
	v_cmp_eq_u64_e32 vcc_lo, v[24:25], v[15:16]
	v_dual_mov_b32 v15, v24 :: v_dual_mov_b32 v16, v25
	s_or_b32 s23, vcc_lo, s23
	s_delay_alu instid0(SALU_CYCLE_1)
	s_and_not1_b32 exec_lo, exec_lo, s23
	s_cbranch_execnz .LBB209_25
; %bb.26:                               ;   in Loop: Header=BB209_13 Depth=3
	s_or_b32 exec_lo, exec_lo, s23
	s_delay_alu instid0(SALU_CYCLE_1)
	s_and_not1_b32 s22, s22, exec_lo
	s_branch .LBB209_12
.LBB209_27:
	s_or_b32 exec_lo, exec_lo, s15
.LBB209_28:
	s_clause 0x1
	s_load_b64 s[36:37], s[0:1], 0x80
	s_load_b128 s[40:43], s[0:1], 0x70
	s_and_not1_b32 vcc_lo, exec_lo, s14
	s_cbranch_vccnz .LBB209_49
; %bb.29:
	s_load_b64 s[2:3], s[0:1], 0x58
	s_waitcnt lgkmcnt(0)
	s_ashr_i32 s35, s34, 31
	s_delay_alu instid0(SALU_CYCLE_1) | instskip(NEXT) | instid1(SALU_CYCLE_1)
	s_lshl_b64 s[4:5], s[34:35], 3
	s_add_u32 s2, s2, s4
	s_addc_u32 s3, s3, s5
	s_load_b128 s[4:7], s[2:3], 0x0
	v_sub_co_u32 v3, s2, v0, s39
	s_delay_alu instid0(VALU_DEP_1) | instskip(SKIP_1) | instid1(VALU_DEP_2)
	v_sub_co_ci_u32_e64 v4, null, 0, 0, s2
	s_waitcnt lgkmcnt(0)
	v_add_co_u32 v3, vcc_lo, s4, v3
	s_delay_alu instid0(VALU_DEP_2)
	v_add_co_ci_u32_e32 v4, vcc_lo, s5, v4, vcc_lo
	s_sub_u32 s4, s6, s39
	s_subb_u32 s5, s7, 0
	s_mov_b32 s7, 0
	s_mov_b32 s6, exec_lo
	v_cmpx_gt_i64_e64 s[4:5], v[3:4]
	s_cbranch_execz .LBB209_48
; %bb.30:
	s_load_b128 s[0:3], s[0:1], 0x60
	s_branch .LBB209_32
.LBB209_31:                             ;   in Loop: Header=BB209_32 Depth=1
	s_or_b32 exec_lo, exec_lo, s8
	v_add_co_u32 v3, vcc_lo, 0x400, v3
	v_add_co_ci_u32_e32 v4, vcc_lo, 0, v4, vcc_lo
	s_delay_alu instid0(VALU_DEP_1) | instskip(SKIP_1) | instid1(SALU_CYCLE_1)
	v_cmp_le_i64_e32 vcc_lo, s[4:5], v[3:4]
	s_or_b32 s7, vcc_lo, s7
	s_and_not1_b32 exec_lo, exec_lo, s7
	s_cbranch_execz .LBB209_48
.LBB209_32:                             ; =>This Loop Header: Depth=1
                                        ;     Child Loop BB209_34 Depth 2
                                        ;       Child Loop BB209_40 Depth 3
                                        ;       Child Loop BB209_46 Depth 3
	v_lshlrev_b64 v[5:6], 3, v[3:4]
	v_lshlrev_b64 v[7:8], 2, v[3:4]
	s_mov_b32 s8, 0
	s_waitcnt lgkmcnt(0)
	s_delay_alu instid0(VALU_DEP_2) | instskip(NEXT) | instid1(VALU_DEP_3)
	v_add_co_u32 v5, vcc_lo, s2, v5
	v_add_co_ci_u32_e32 v6, vcc_lo, s3, v6, vcc_lo
	s_delay_alu instid0(VALU_DEP_3)
	v_add_co_u32 v7, vcc_lo, s0, v7
	v_add_co_ci_u32_e32 v8, vcc_lo, s1, v8, vcc_lo
	global_load_b64 v[5:6], v[5:6], off
	global_load_b32 v7, v[7:8], off
	s_waitcnt vmcnt(1)
	v_mul_f64 v[5:6], v[1:2], v[5:6]
	s_waitcnt vmcnt(0)
	v_subrev_nc_u32_e32 v9, s39, v7
	s_delay_alu instid0(VALU_DEP_1) | instskip(NEXT) | instid1(VALU_DEP_1)
	v_mul_lo_u32 v7, 0x89, v9
	v_and_b32_e32 v10, 0x1fff, v7
	s_branch .LBB209_34
.LBB209_33:                             ;   in Loop: Header=BB209_34 Depth=2
	s_or_b32 exec_lo, exec_lo, s9
	s_xor_b32 s9, s10, -1
	s_delay_alu instid0(SALU_CYCLE_1) | instskip(NEXT) | instid1(SALU_CYCLE_1)
	s_and_b32 s9, exec_lo, s9
	s_or_b32 s8, s9, s8
	s_delay_alu instid0(SALU_CYCLE_1)
	s_and_not1_b32 exec_lo, exec_lo, s8
	s_cbranch_execz .LBB209_31
.LBB209_34:                             ;   Parent Loop BB209_32 Depth=1
                                        ; =>  This Loop Header: Depth=2
                                        ;       Child Loop BB209_40 Depth 3
                                        ;       Child Loop BB209_46 Depth 3
	s_delay_alu instid0(VALU_DEP_1)
	v_lshl_add_u32 v7, v10, 2, 0
	s_mov_b32 s9, exec_lo
                                        ; implicit-def: $sgpr10
	ds_load_b32 v8, v7
	s_waitcnt lgkmcnt(0)
	v_cmpx_ne_u32_e64 v8, v9
	s_xor_b32 s9, exec_lo, s9
	s_cbranch_execz .LBB209_44
; %bb.35:                               ;   in Loop: Header=BB209_34 Depth=2
	s_mov_b32 s11, exec_lo
                                        ; implicit-def: $sgpr10
	v_cmpx_ne_u32_e64 s33, v8
	s_xor_b32 s11, exec_lo, s11
; %bb.36:                               ;   in Loop: Header=BB209_34 Depth=2
	v_add_nc_u32_e32 v7, 1, v10
	s_mov_b32 s10, -1
	s_delay_alu instid0(VALU_DEP_1)
	v_and_b32_e32 v10, 0x1fff, v7
                                        ; implicit-def: $vgpr7
; %bb.37:                               ;   in Loop: Header=BB209_34 Depth=2
	s_and_not1_saveexec_b32 s11, s11
	s_cbranch_execz .LBB209_43
; %bb.38:                               ;   in Loop: Header=BB209_34 Depth=2
	v_mov_b32_e32 v8, s33
	s_mov_b32 s13, -1
	s_mov_b32 s12, exec_lo
	ds_cmpstore_rtn_b32 v8, v7, v9, v8
	s_waitcnt lgkmcnt(0)
	v_cmpx_eq_u32_e64 s33, v8
	s_cbranch_execz .LBB209_42
; %bb.39:                               ;   in Loop: Header=BB209_34 Depth=2
	v_lshlrev_b32_e32 v8, 2, v10
	s_mov_b32 s13, 0
	s_delay_alu instid0(VALU_DEP_1)
	v_add_nc_u32_e32 v11, v7, v8
	ds_load_b64 v[7:8], v11 offset:32768
.LBB209_40:                             ;   Parent Loop BB209_32 Depth=1
                                        ;     Parent Loop BB209_34 Depth=2
                                        ; =>    This Inner Loop Header: Depth=3
	s_waitcnt lgkmcnt(0)
	v_add_f64 v[12:13], v[7:8], v[5:6]
	ds_cmpstore_rtn_b64 v[12:13], v11, v[12:13], v[7:8] offset:32768
	s_waitcnt lgkmcnt(0)
	v_cmp_eq_u64_e32 vcc_lo, v[12:13], v[7:8]
	v_dual_mov_b32 v7, v12 :: v_dual_mov_b32 v8, v13
	s_or_b32 s13, vcc_lo, s13
	s_delay_alu instid0(SALU_CYCLE_1)
	s_and_not1_b32 exec_lo, exec_lo, s13
	s_cbranch_execnz .LBB209_40
; %bb.41:                               ;   in Loop: Header=BB209_34 Depth=2
	s_or_b32 exec_lo, exec_lo, s13
	s_delay_alu instid0(SALU_CYCLE_1)
	s_xor_b32 s13, exec_lo, -1
.LBB209_42:                             ;   in Loop: Header=BB209_34 Depth=2
	s_or_b32 exec_lo, exec_lo, s12
	s_delay_alu instid0(SALU_CYCLE_1) | instskip(SKIP_1) | instid1(SALU_CYCLE_1)
	s_and_not1_b32 s10, s10, exec_lo
	s_and_b32 s12, s13, exec_lo
	s_or_b32 s10, s10, s12
.LBB209_43:                             ;   in Loop: Header=BB209_34 Depth=2
	s_or_b32 exec_lo, exec_lo, s11
	s_delay_alu instid0(SALU_CYCLE_1)
	s_and_b32 s10, s10, exec_lo
                                        ; implicit-def: $vgpr7
.LBB209_44:                             ;   in Loop: Header=BB209_34 Depth=2
	s_and_not1_saveexec_b32 s9, s9
	s_cbranch_execz .LBB209_33
; %bb.45:                               ;   in Loop: Header=BB209_34 Depth=2
	v_lshlrev_b32_e32 v8, 2, v10
	s_mov_b32 s11, 0
	s_delay_alu instid0(VALU_DEP_1)
	v_add_nc_u32_e32 v11, v7, v8
	ds_load_b64 v[7:8], v11 offset:32768
.LBB209_46:                             ;   Parent Loop BB209_32 Depth=1
                                        ;     Parent Loop BB209_34 Depth=2
                                        ; =>    This Inner Loop Header: Depth=3
	s_waitcnt lgkmcnt(0)
	v_add_f64 v[12:13], v[7:8], v[5:6]
	ds_cmpstore_rtn_b64 v[12:13], v11, v[12:13], v[7:8] offset:32768
	s_waitcnt lgkmcnt(0)
	v_cmp_eq_u64_e32 vcc_lo, v[12:13], v[7:8]
	v_dual_mov_b32 v7, v12 :: v_dual_mov_b32 v8, v13
	s_or_b32 s11, vcc_lo, s11
	s_delay_alu instid0(SALU_CYCLE_1)
	s_and_not1_b32 exec_lo, exec_lo, s11
	s_cbranch_execnz .LBB209_46
; %bb.47:                               ;   in Loop: Header=BB209_34 Depth=2
	s_or_b32 exec_lo, exec_lo, s11
	s_delay_alu instid0(SALU_CYCLE_1)
	s_and_not1_b32 s10, s10, exec_lo
	s_branch .LBB209_33
.LBB209_48:
	s_or_b32 exec_lo, exec_lo, s6
.LBB209_49:
	v_mbcnt_lo_u32_b32 v1, -1, 0
	v_lshrrev_b32_e32 v2, 3, v0
	s_add_i32 s70, 0, 0x1807c
	v_cmp_eq_u32_e32 vcc_lo, 0x3ff, v0
	v_cmp_lt_u32_e64 s0, 31, v0
	v_xor_b32_e32 v1, 63, v1
	v_dual_mov_b32 v8, s70 :: v_dual_and_b32 v3, 0x7c, v2
	v_cmp_lt_u32_e64 s1, 63, v0
	v_cmp_lt_u32_e64 s2, 0x5f, v0
	s_delay_alu instid0(VALU_DEP_4) | instskip(NEXT) | instid1(VALU_DEP_4)
	v_lshrrev_b64 v[1:2], v1, -1
	v_add3_u32 v4, 0, 0x18000, v3
	v_cmp_lt_u32_e64 s3, 0x7f, v0
	v_cmp_lt_u32_e64 s4, 0x9f, v0
	;; [unrolled: 1-line block ×28, first 2 shown]
	v_add3_u32 v5, v18, 0, 0x8000
	v_or_b32_e32 v6, 0xfffffc00, v0
	v_mov_b32_e32 v7, 0
	s_mov_b32 s35, 0
	s_add_i32 s39, 0, 0x18000
	s_add_i32 s44, 0, 0x18004
	;; [unrolled: 1-line block ×31, first 2 shown]
	s_waitcnt lgkmcnt(0)
	s_barrier
	buffer_gl0_inv
	s_branch .LBB209_51
.LBB209_50:                             ;   in Loop: Header=BB209_51 Depth=1
	s_or_b32 exec_lo, exec_lo, s31
	s_waitcnt lgkmcnt(0)
	s_barrier
	buffer_gl0_inv
	ds_load_b32 v2, v8
	v_add_nc_u32_e32 v6, 0x400, v6
	v_add_nc_u32_e32 v5, 0x2000, v5
	;; [unrolled: 1-line block ×3, first 2 shown]
	s_delay_alu instid0(VALU_DEP_3) | instskip(NEXT) | instid1(VALU_DEP_1)
	v_cmp_lt_u32_e64 s31, 0x1bff, v6
	s_or_b32 s35, s31, s35
	s_waitcnt lgkmcnt(0)
	v_add_nc_u32_e32 v7, v2, v7
	s_and_not1_b32 exec_lo, exec_lo, s35
	s_cbranch_execz .LBB209_117
.LBB209_51:                             ; =>This Inner Loop Header: Depth=1
	ds_load_b32 v9, v17
	ds_load_b64 v[2:3], v5
	s_waitcnt lgkmcnt(0)
	s_barrier
	buffer_gl0_inv
	v_cmp_gt_i32_e64 s31, s33, v9
	s_delay_alu instid0(VALU_DEP_1) | instskip(NEXT) | instid1(SALU_CYCLE_1)
	s_bcnt1_i32_b32 s75, s31
	v_dual_mov_b32 v11, s75 :: v_dual_and_b32 v10, s31, v1
	s_delay_alu instid0(VALU_DEP_1)
	v_bcnt_u32_b32 v10, v10, 0
	ds_store_b32 v4, v11
	s_waitcnt lgkmcnt(0)
	s_barrier
	buffer_gl0_inv
	s_and_saveexec_b32 s75, s0
	s_cbranch_execnz .LBB209_84
; %bb.52:                               ;   in Loop: Header=BB209_51 Depth=1
	s_or_b32 exec_lo, exec_lo, s75
	s_and_saveexec_b32 s75, s1
	s_cbranch_execnz .LBB209_85
.LBB209_53:                             ;   in Loop: Header=BB209_51 Depth=1
	s_or_b32 exec_lo, exec_lo, s75
	s_and_saveexec_b32 s75, s2
	s_cbranch_execnz .LBB209_86
.LBB209_54:                             ;   in Loop: Header=BB209_51 Depth=1
	s_or_b32 exec_lo, exec_lo, s75
	s_and_saveexec_b32 s75, s3
	s_cbranch_execnz .LBB209_87
.LBB209_55:                             ;   in Loop: Header=BB209_51 Depth=1
	s_or_b32 exec_lo, exec_lo, s75
	s_and_saveexec_b32 s75, s4
	s_cbranch_execnz .LBB209_88
.LBB209_56:                             ;   in Loop: Header=BB209_51 Depth=1
	s_or_b32 exec_lo, exec_lo, s75
	s_and_saveexec_b32 s75, s5
	s_cbranch_execnz .LBB209_89
.LBB209_57:                             ;   in Loop: Header=BB209_51 Depth=1
	s_or_b32 exec_lo, exec_lo, s75
	s_and_saveexec_b32 s75, s6
	s_cbranch_execnz .LBB209_90
.LBB209_58:                             ;   in Loop: Header=BB209_51 Depth=1
	s_or_b32 exec_lo, exec_lo, s75
	s_and_saveexec_b32 s75, s7
	s_cbranch_execnz .LBB209_91
.LBB209_59:                             ;   in Loop: Header=BB209_51 Depth=1
	s_or_b32 exec_lo, exec_lo, s75
	s_and_saveexec_b32 s75, s8
	s_cbranch_execnz .LBB209_92
.LBB209_60:                             ;   in Loop: Header=BB209_51 Depth=1
	s_or_b32 exec_lo, exec_lo, s75
	s_and_saveexec_b32 s75, s9
	s_cbranch_execnz .LBB209_93
.LBB209_61:                             ;   in Loop: Header=BB209_51 Depth=1
	s_or_b32 exec_lo, exec_lo, s75
	s_and_saveexec_b32 s75, s10
	s_cbranch_execnz .LBB209_94
.LBB209_62:                             ;   in Loop: Header=BB209_51 Depth=1
	s_or_b32 exec_lo, exec_lo, s75
	s_and_saveexec_b32 s75, s11
	s_cbranch_execnz .LBB209_95
.LBB209_63:                             ;   in Loop: Header=BB209_51 Depth=1
	s_or_b32 exec_lo, exec_lo, s75
	s_and_saveexec_b32 s75, s12
	s_cbranch_execnz .LBB209_96
.LBB209_64:                             ;   in Loop: Header=BB209_51 Depth=1
	s_or_b32 exec_lo, exec_lo, s75
	s_and_saveexec_b32 s75, s13
	s_cbranch_execnz .LBB209_97
.LBB209_65:                             ;   in Loop: Header=BB209_51 Depth=1
	s_or_b32 exec_lo, exec_lo, s75
	s_and_saveexec_b32 s75, s14
	s_cbranch_execnz .LBB209_98
.LBB209_66:                             ;   in Loop: Header=BB209_51 Depth=1
	s_or_b32 exec_lo, exec_lo, s75
	s_and_saveexec_b32 s75, s15
	s_cbranch_execnz .LBB209_99
.LBB209_67:                             ;   in Loop: Header=BB209_51 Depth=1
	s_or_b32 exec_lo, exec_lo, s75
	s_and_saveexec_b32 s75, s16
	s_cbranch_execnz .LBB209_100
.LBB209_68:                             ;   in Loop: Header=BB209_51 Depth=1
	s_or_b32 exec_lo, exec_lo, s75
	s_and_saveexec_b32 s75, s17
	s_cbranch_execnz .LBB209_101
.LBB209_69:                             ;   in Loop: Header=BB209_51 Depth=1
	s_or_b32 exec_lo, exec_lo, s75
	s_and_saveexec_b32 s75, s18
	s_cbranch_execnz .LBB209_102
.LBB209_70:                             ;   in Loop: Header=BB209_51 Depth=1
	s_or_b32 exec_lo, exec_lo, s75
	s_and_saveexec_b32 s75, s19
	s_cbranch_execnz .LBB209_103
.LBB209_71:                             ;   in Loop: Header=BB209_51 Depth=1
	s_or_b32 exec_lo, exec_lo, s75
	s_and_saveexec_b32 s75, s20
	s_cbranch_execnz .LBB209_104
.LBB209_72:                             ;   in Loop: Header=BB209_51 Depth=1
	s_or_b32 exec_lo, exec_lo, s75
	s_and_saveexec_b32 s75, s21
	s_cbranch_execnz .LBB209_105
.LBB209_73:                             ;   in Loop: Header=BB209_51 Depth=1
	s_or_b32 exec_lo, exec_lo, s75
	s_and_saveexec_b32 s75, s22
	s_cbranch_execnz .LBB209_106
.LBB209_74:                             ;   in Loop: Header=BB209_51 Depth=1
	s_or_b32 exec_lo, exec_lo, s75
	s_and_saveexec_b32 s75, s23
	s_cbranch_execnz .LBB209_107
.LBB209_75:                             ;   in Loop: Header=BB209_51 Depth=1
	s_or_b32 exec_lo, exec_lo, s75
	s_and_saveexec_b32 s75, s24
	s_cbranch_execnz .LBB209_108
.LBB209_76:                             ;   in Loop: Header=BB209_51 Depth=1
	s_or_b32 exec_lo, exec_lo, s75
	s_and_saveexec_b32 s75, s25
	s_cbranch_execnz .LBB209_109
.LBB209_77:                             ;   in Loop: Header=BB209_51 Depth=1
	s_or_b32 exec_lo, exec_lo, s75
	s_and_saveexec_b32 s75, s26
	s_cbranch_execnz .LBB209_110
.LBB209_78:                             ;   in Loop: Header=BB209_51 Depth=1
	s_or_b32 exec_lo, exec_lo, s75
	s_and_saveexec_b32 s75, s27
	s_cbranch_execnz .LBB209_111
.LBB209_79:                             ;   in Loop: Header=BB209_51 Depth=1
	s_or_b32 exec_lo, exec_lo, s75
	s_and_saveexec_b32 s75, s28
	s_cbranch_execnz .LBB209_112
.LBB209_80:                             ;   in Loop: Header=BB209_51 Depth=1
	s_or_b32 exec_lo, exec_lo, s75
	s_and_saveexec_b32 s75, s29
	s_cbranch_execnz .LBB209_113
.LBB209_81:                             ;   in Loop: Header=BB209_51 Depth=1
	s_or_b32 exec_lo, exec_lo, s75
	s_and_saveexec_b32 s75, s30
	s_cbranch_execnz .LBB209_114
.LBB209_82:                             ;   in Loop: Header=BB209_51 Depth=1
	s_or_b32 exec_lo, exec_lo, s75
	s_and_saveexec_b32 s75, s31
	s_cbranch_execnz .LBB209_115
.LBB209_83:                             ;   in Loop: Header=BB209_51 Depth=1
	s_or_b32 exec_lo, exec_lo, s75
	s_and_saveexec_b32 s31, vcc_lo
	s_cbranch_execz .LBB209_50
	s_branch .LBB209_116
.LBB209_84:                             ;   in Loop: Header=BB209_51 Depth=1
	v_mov_b32_e32 v11, s39
	ds_load_b32 v11, v11
	s_waitcnt lgkmcnt(0)
	v_add_nc_u32_e32 v10, v11, v10
	s_or_b32 exec_lo, exec_lo, s75
	s_and_saveexec_b32 s75, s1
	s_cbranch_execz .LBB209_53
.LBB209_85:                             ;   in Loop: Header=BB209_51 Depth=1
	v_mov_b32_e32 v11, s44
	ds_load_b32 v11, v11
	s_waitcnt lgkmcnt(0)
	v_add_nc_u32_e32 v10, v11, v10
	s_or_b32 exec_lo, exec_lo, s75
	s_and_saveexec_b32 s75, s2
	s_cbranch_execz .LBB209_54
.LBB209_86:                             ;   in Loop: Header=BB209_51 Depth=1
	v_mov_b32_e32 v11, s45
	ds_load_b32 v11, v11
	s_waitcnt lgkmcnt(0)
	v_add_nc_u32_e32 v10, v11, v10
	s_or_b32 exec_lo, exec_lo, s75
	s_and_saveexec_b32 s75, s3
	s_cbranch_execz .LBB209_55
.LBB209_87:                             ;   in Loop: Header=BB209_51 Depth=1
	v_mov_b32_e32 v11, s46
	ds_load_b32 v11, v11
	s_waitcnt lgkmcnt(0)
	v_add_nc_u32_e32 v10, v11, v10
	s_or_b32 exec_lo, exec_lo, s75
	s_and_saveexec_b32 s75, s4
	s_cbranch_execz .LBB209_56
.LBB209_88:                             ;   in Loop: Header=BB209_51 Depth=1
	v_mov_b32_e32 v11, s47
	ds_load_b32 v11, v11
	s_waitcnt lgkmcnt(0)
	v_add_nc_u32_e32 v10, v11, v10
	s_or_b32 exec_lo, exec_lo, s75
	s_and_saveexec_b32 s75, s5
	s_cbranch_execz .LBB209_57
.LBB209_89:                             ;   in Loop: Header=BB209_51 Depth=1
	v_mov_b32_e32 v11, s48
	ds_load_b32 v11, v11
	s_waitcnt lgkmcnt(0)
	v_add_nc_u32_e32 v10, v11, v10
	s_or_b32 exec_lo, exec_lo, s75
	s_and_saveexec_b32 s75, s6
	s_cbranch_execz .LBB209_58
.LBB209_90:                             ;   in Loop: Header=BB209_51 Depth=1
	v_mov_b32_e32 v11, s49
	ds_load_b32 v11, v11
	s_waitcnt lgkmcnt(0)
	v_add_nc_u32_e32 v10, v11, v10
	s_or_b32 exec_lo, exec_lo, s75
	s_and_saveexec_b32 s75, s7
	s_cbranch_execz .LBB209_59
.LBB209_91:                             ;   in Loop: Header=BB209_51 Depth=1
	v_mov_b32_e32 v11, s50
	ds_load_b32 v11, v11
	s_waitcnt lgkmcnt(0)
	v_add_nc_u32_e32 v10, v11, v10
	s_or_b32 exec_lo, exec_lo, s75
	s_and_saveexec_b32 s75, s8
	s_cbranch_execz .LBB209_60
.LBB209_92:                             ;   in Loop: Header=BB209_51 Depth=1
	v_mov_b32_e32 v11, s51
	ds_load_b32 v11, v11
	s_waitcnt lgkmcnt(0)
	v_add_nc_u32_e32 v10, v11, v10
	s_or_b32 exec_lo, exec_lo, s75
	s_and_saveexec_b32 s75, s9
	s_cbranch_execz .LBB209_61
.LBB209_93:                             ;   in Loop: Header=BB209_51 Depth=1
	v_mov_b32_e32 v11, s52
	ds_load_b32 v11, v11
	s_waitcnt lgkmcnt(0)
	v_add_nc_u32_e32 v10, v11, v10
	s_or_b32 exec_lo, exec_lo, s75
	s_and_saveexec_b32 s75, s10
	s_cbranch_execz .LBB209_62
.LBB209_94:                             ;   in Loop: Header=BB209_51 Depth=1
	v_mov_b32_e32 v11, s53
	ds_load_b32 v11, v11
	s_waitcnt lgkmcnt(0)
	v_add_nc_u32_e32 v10, v11, v10
	s_or_b32 exec_lo, exec_lo, s75
	s_and_saveexec_b32 s75, s11
	s_cbranch_execz .LBB209_63
.LBB209_95:                             ;   in Loop: Header=BB209_51 Depth=1
	v_mov_b32_e32 v11, s54
	ds_load_b32 v11, v11
	s_waitcnt lgkmcnt(0)
	v_add_nc_u32_e32 v10, v11, v10
	s_or_b32 exec_lo, exec_lo, s75
	s_and_saveexec_b32 s75, s12
	s_cbranch_execz .LBB209_64
.LBB209_96:                             ;   in Loop: Header=BB209_51 Depth=1
	v_mov_b32_e32 v11, s55
	ds_load_b32 v11, v11
	s_waitcnt lgkmcnt(0)
	v_add_nc_u32_e32 v10, v11, v10
	s_or_b32 exec_lo, exec_lo, s75
	s_and_saveexec_b32 s75, s13
	s_cbranch_execz .LBB209_65
.LBB209_97:                             ;   in Loop: Header=BB209_51 Depth=1
	v_mov_b32_e32 v11, s56
	ds_load_b32 v11, v11
	s_waitcnt lgkmcnt(0)
	v_add_nc_u32_e32 v10, v11, v10
	s_or_b32 exec_lo, exec_lo, s75
	s_and_saveexec_b32 s75, s14
	s_cbranch_execz .LBB209_66
.LBB209_98:                             ;   in Loop: Header=BB209_51 Depth=1
	v_mov_b32_e32 v11, s57
	ds_load_b32 v11, v11
	s_waitcnt lgkmcnt(0)
	v_add_nc_u32_e32 v10, v11, v10
	s_or_b32 exec_lo, exec_lo, s75
	s_and_saveexec_b32 s75, s15
	s_cbranch_execz .LBB209_67
.LBB209_99:                             ;   in Loop: Header=BB209_51 Depth=1
	v_mov_b32_e32 v11, s58
	ds_load_b32 v11, v11
	s_waitcnt lgkmcnt(0)
	v_add_nc_u32_e32 v10, v11, v10
	s_or_b32 exec_lo, exec_lo, s75
	s_and_saveexec_b32 s75, s16
	s_cbranch_execz .LBB209_68
.LBB209_100:                            ;   in Loop: Header=BB209_51 Depth=1
	v_mov_b32_e32 v11, s59
	ds_load_b32 v11, v11
	s_waitcnt lgkmcnt(0)
	v_add_nc_u32_e32 v10, v11, v10
	s_or_b32 exec_lo, exec_lo, s75
	s_and_saveexec_b32 s75, s17
	s_cbranch_execz .LBB209_69
.LBB209_101:                            ;   in Loop: Header=BB209_51 Depth=1
	v_mov_b32_e32 v11, s60
	ds_load_b32 v11, v11
	s_waitcnt lgkmcnt(0)
	v_add_nc_u32_e32 v10, v11, v10
	s_or_b32 exec_lo, exec_lo, s75
	s_and_saveexec_b32 s75, s18
	s_cbranch_execz .LBB209_70
.LBB209_102:                            ;   in Loop: Header=BB209_51 Depth=1
	v_mov_b32_e32 v11, s61
	ds_load_b32 v11, v11
	s_waitcnt lgkmcnt(0)
	v_add_nc_u32_e32 v10, v11, v10
	s_or_b32 exec_lo, exec_lo, s75
	s_and_saveexec_b32 s75, s19
	s_cbranch_execz .LBB209_71
.LBB209_103:                            ;   in Loop: Header=BB209_51 Depth=1
	v_mov_b32_e32 v11, s62
	ds_load_b32 v11, v11
	s_waitcnt lgkmcnt(0)
	v_add_nc_u32_e32 v10, v11, v10
	s_or_b32 exec_lo, exec_lo, s75
	s_and_saveexec_b32 s75, s20
	s_cbranch_execz .LBB209_72
.LBB209_104:                            ;   in Loop: Header=BB209_51 Depth=1
	v_mov_b32_e32 v11, s63
	ds_load_b32 v11, v11
	s_waitcnt lgkmcnt(0)
	v_add_nc_u32_e32 v10, v11, v10
	s_or_b32 exec_lo, exec_lo, s75
	s_and_saveexec_b32 s75, s21
	s_cbranch_execz .LBB209_73
.LBB209_105:                            ;   in Loop: Header=BB209_51 Depth=1
	v_mov_b32_e32 v11, s64
	ds_load_b32 v11, v11
	s_waitcnt lgkmcnt(0)
	v_add_nc_u32_e32 v10, v11, v10
	s_or_b32 exec_lo, exec_lo, s75
	s_and_saveexec_b32 s75, s22
	s_cbranch_execz .LBB209_74
.LBB209_106:                            ;   in Loop: Header=BB209_51 Depth=1
	v_mov_b32_e32 v11, s65
	ds_load_b32 v11, v11
	s_waitcnt lgkmcnt(0)
	v_add_nc_u32_e32 v10, v11, v10
	s_or_b32 exec_lo, exec_lo, s75
	s_and_saveexec_b32 s75, s23
	s_cbranch_execz .LBB209_75
.LBB209_107:                            ;   in Loop: Header=BB209_51 Depth=1
	v_mov_b32_e32 v11, s66
	ds_load_b32 v11, v11
	s_waitcnt lgkmcnt(0)
	v_add_nc_u32_e32 v10, v11, v10
	s_or_b32 exec_lo, exec_lo, s75
	s_and_saveexec_b32 s75, s24
	s_cbranch_execz .LBB209_76
.LBB209_108:                            ;   in Loop: Header=BB209_51 Depth=1
	v_mov_b32_e32 v11, s67
	ds_load_b32 v11, v11
	s_waitcnt lgkmcnt(0)
	v_add_nc_u32_e32 v10, v11, v10
	s_or_b32 exec_lo, exec_lo, s75
	s_and_saveexec_b32 s75, s25
	s_cbranch_execz .LBB209_77
.LBB209_109:                            ;   in Loop: Header=BB209_51 Depth=1
	v_mov_b32_e32 v11, s68
	ds_load_b32 v11, v11
	s_waitcnt lgkmcnt(0)
	v_add_nc_u32_e32 v10, v11, v10
	s_or_b32 exec_lo, exec_lo, s75
	s_and_saveexec_b32 s75, s26
	s_cbranch_execz .LBB209_78
.LBB209_110:                            ;   in Loop: Header=BB209_51 Depth=1
	v_mov_b32_e32 v11, s69
	ds_load_b32 v11, v11
	s_waitcnt lgkmcnt(0)
	v_add_nc_u32_e32 v10, v11, v10
	s_or_b32 exec_lo, exec_lo, s75
	s_and_saveexec_b32 s75, s27
	s_cbranch_execz .LBB209_79
.LBB209_111:                            ;   in Loop: Header=BB209_51 Depth=1
	v_mov_b32_e32 v11, s71
	ds_load_b32 v11, v11
	s_waitcnt lgkmcnt(0)
	v_add_nc_u32_e32 v10, v11, v10
	s_or_b32 exec_lo, exec_lo, s75
	s_and_saveexec_b32 s75, s28
	s_cbranch_execz .LBB209_80
.LBB209_112:                            ;   in Loop: Header=BB209_51 Depth=1
	v_mov_b32_e32 v11, s72
	ds_load_b32 v11, v11
	s_waitcnt lgkmcnt(0)
	v_add_nc_u32_e32 v10, v11, v10
	s_or_b32 exec_lo, exec_lo, s75
	s_and_saveexec_b32 s75, s29
	s_cbranch_execz .LBB209_81
.LBB209_113:                            ;   in Loop: Header=BB209_51 Depth=1
	v_mov_b32_e32 v11, s73
	ds_load_b32 v11, v11
	s_waitcnt lgkmcnt(0)
	v_add_nc_u32_e32 v10, v11, v10
	s_or_b32 exec_lo, exec_lo, s75
	s_and_saveexec_b32 s75, s30
	s_cbranch_execz .LBB209_82
.LBB209_114:                            ;   in Loop: Header=BB209_51 Depth=1
	v_mov_b32_e32 v11, s74
	ds_load_b32 v11, v11
	s_waitcnt lgkmcnt(0)
	v_add_nc_u32_e32 v10, v11, v10
	s_or_b32 exec_lo, exec_lo, s75
	s_and_saveexec_b32 s75, s31
	s_cbranch_execz .LBB209_83
.LBB209_115:                            ;   in Loop: Header=BB209_51 Depth=1
	s_delay_alu instid0(VALU_DEP_1) | instskip(NEXT) | instid1(VALU_DEP_1)
	v_add3_u32 v11, v7, -1, v10
	v_lshl_add_u32 v12, v11, 2, 0
	v_lshl_add_u32 v11, v11, 3, 0
	ds_store_b32 v12, v9
	ds_store_b64 v11, v[2:3] offset:32768
	s_or_b32 exec_lo, exec_lo, s75
	s_and_saveexec_b32 s31, vcc_lo
	s_cbranch_execz .LBB209_50
.LBB209_116:                            ;   in Loop: Header=BB209_51 Depth=1
	v_mov_b32_e32 v2, s70
	ds_store_b32 v2, v10
	s_branch .LBB209_50
.LBB209_117:
	s_or_b32 exec_lo, exec_lo, s35
	s_ashr_i32 s35, s34, 31
	s_mov_b32 s4, exec_lo
	s_lshl_b64 s[0:1], s[34:35], 3
	s_delay_alu instid0(SALU_CYCLE_1) | instskip(SKIP_4) | instid1(SALU_CYCLE_1)
	s_add_u32 s0, s40, s0
	s_addc_u32 s1, s41, s1
	s_load_b128 s[0:3], s[0:1], 0x0
	s_waitcnt lgkmcnt(0)
	s_sub_i32 s3, s2, s0
	v_cmpx_gt_i32_e64 s3, v0
	s_cbranch_execz .LBB209_127
; %bb.118:
	s_sub_u32 s4, s0, s38
	s_subb_u32 s5, s1, 0
	s_sub_i32 s0, s0, s2
	s_and_b32 s1, s3, 7
	s_cmp_lt_u32 s0, -7
	s_mov_b32 s8, 0
	s_cselect_b32 s2, -1, 0
	s_and_b32 s6, s3, -8
	s_cmp_lg_u32 s1, 0
	s_cselect_b32 s7, -1, 0
	s_branch .LBB209_120
.LBB209_119:                            ;   in Loop: Header=BB209_120 Depth=1
	s_delay_alu instid0(VALU_DEP_1) | instskip(SKIP_4) | instid1(VALU_DEP_4)
	v_lshlrev_b64 v[6:7], 2, v[3:4]
	v_lshlrev_b64 v[3:4], 3, v[3:4]
	v_add_nc_u32_e32 v0, 0x400, v0
	s_waitcnt lgkmcnt(1)
	v_add_nc_u32_e32 v8, s38, v5
	v_add_co_u32 v5, vcc_lo, s42, v6
	v_add_co_ci_u32_e32 v6, vcc_lo, s43, v7, vcc_lo
	v_cmp_le_i32_e32 vcc_lo, s3, v0
	v_add_co_u32 v3, s0, s36, v3
	s_delay_alu instid0(VALU_DEP_1)
	v_add_co_ci_u32_e64 v4, s0, s37, v4, s0
	s_or_b32 s8, vcc_lo, s8
	global_store_b32 v[5:6], v8, off
	s_waitcnt lgkmcnt(0)
	global_store_b64 v[3:4], v[1:2], off
	s_and_not1_b32 exec_lo, exec_lo, s8
	s_cbranch_execz .LBB209_127
.LBB209_120:                            ; =>This Loop Header: Depth=1
                                        ;     Child Loop BB209_122 Depth 2
                                        ;     Child Loop BB209_126 Depth 2
	v_lshlrev_b32_e32 v1, 2, v0
	v_dual_mov_b32 v3, s4 :: v_dual_mov_b32 v4, s5
	s_and_not1_b32 vcc_lo, exec_lo, s2
	s_mov_b32 s0, 0
	s_delay_alu instid0(VALU_DEP_2) | instskip(NEXT) | instid1(VALU_DEP_1)
	v_add_nc_u32_e32 v2, 0, v1
	v_add_nc_u32_e32 v1, v2, v1
	ds_load_b32 v5, v2
	ds_load_b64 v[1:2], v1 offset:32768
	s_cbranch_vccnz .LBB209_124
; %bb.121:                              ;   in Loop: Header=BB209_120 Depth=1
	v_dual_mov_b32 v3, s4 :: v_dual_mov_b32 v4, s5
	s_mov_b32 s9, 0
	s_mov_b32 s10, 0
.LBB209_122:                            ;   Parent Loop BB209_120 Depth=1
                                        ; =>  This Inner Loop Header: Depth=2
	s_delay_alu instid0(SALU_CYCLE_1)
	v_mov_b32_e32 v12, s10
	s_add_i32 s9, s9, 8
	s_add_i32 s10, s10, 32
	s_cmp_eq_u32 s6, s9
	ds_load_2addr_b32 v[6:7], v12 offset1:1
	ds_load_2addr_b32 v[8:9], v12 offset0:2 offset1:3
	ds_load_2addr_b32 v[10:11], v12 offset0:4 offset1:5
	;; [unrolled: 1-line block ×3, first 2 shown]
	s_waitcnt lgkmcnt(3)
	v_cmp_gt_i32_e32 vcc_lo, v5, v6
	v_cndmask_b32_e64 v6, 0, 1, vcc_lo
	v_cmp_gt_i32_e32 vcc_lo, v5, v7
	v_cndmask_b32_e64 v7, 0, 1, vcc_lo
	s_waitcnt lgkmcnt(2)
	v_cmp_gt_i32_e32 vcc_lo, v5, v8
	v_cndmask_b32_e64 v8, 0, 1, vcc_lo
	v_cmp_gt_i32_e32 vcc_lo, v5, v9
	v_cndmask_b32_e64 v9, 0, 1, vcc_lo
	s_waitcnt lgkmcnt(1)
	v_cmp_gt_i32_e32 vcc_lo, v5, v10
	v_cndmask_b32_e64 v10, 0, 1, vcc_lo
	v_add_co_u32 v3, vcc_lo, v3, v6
	v_add_co_ci_u32_e32 v4, vcc_lo, 0, v4, vcc_lo
	v_cmp_gt_i32_e32 vcc_lo, v5, v11
	s_delay_alu instid0(VALU_DEP_3) | instskip(NEXT) | instid1(VALU_DEP_1)
	v_add_co_u32 v3, s0, v3, v7
	v_add_co_ci_u32_e64 v4, s0, 0, v4, s0
	v_cndmask_b32_e64 v6, 0, 1, vcc_lo
	s_delay_alu instid0(VALU_DEP_3) | instskip(NEXT) | instid1(VALU_DEP_3)
	v_add_co_u32 v3, vcc_lo, v3, v8
	v_add_co_ci_u32_e32 v4, vcc_lo, 0, v4, vcc_lo
	s_waitcnt lgkmcnt(0)
	v_cmp_gt_i32_e32 vcc_lo, v5, v12
	s_delay_alu instid0(VALU_DEP_3) | instskip(NEXT) | instid1(VALU_DEP_1)
	v_add_co_u32 v3, s0, v3, v9
	v_add_co_ci_u32_e64 v4, s0, 0, v4, s0
	v_cndmask_b32_e64 v7, 0, 1, vcc_lo
	s_delay_alu instid0(VALU_DEP_3) | instskip(NEXT) | instid1(VALU_DEP_3)
	v_add_co_u32 v3, vcc_lo, v3, v10
	v_add_co_ci_u32_e32 v4, vcc_lo, 0, v4, vcc_lo
	v_cmp_gt_i32_e32 vcc_lo, v5, v13
	s_delay_alu instid0(VALU_DEP_3) | instskip(NEXT) | instid1(VALU_DEP_1)
	v_add_co_u32 v3, s0, v3, v6
	v_add_co_ci_u32_e64 v4, s0, 0, v4, s0
	v_cndmask_b32_e64 v6, 0, 1, vcc_lo
	s_delay_alu instid0(VALU_DEP_3) | instskip(NEXT) | instid1(VALU_DEP_3)
	v_add_co_u32 v3, vcc_lo, v3, v7
	v_add_co_ci_u32_e32 v4, vcc_lo, 0, v4, vcc_lo
	s_delay_alu instid0(VALU_DEP_2) | instskip(NEXT) | instid1(VALU_DEP_2)
	v_add_co_u32 v3, vcc_lo, v3, v6
	v_add_co_ci_u32_e32 v4, vcc_lo, 0, v4, vcc_lo
	s_cbranch_scc0 .LBB209_122
; %bb.123:                              ;   in Loop: Header=BB209_120 Depth=1
	s_mov_b32 s0, s6
.LBB209_124:                            ;   in Loop: Header=BB209_120 Depth=1
	s_and_not1_b32 vcc_lo, exec_lo, s7
	s_cbranch_vccnz .LBB209_119
; %bb.125:                              ;   in Loop: Header=BB209_120 Depth=1
	s_lshl_b32 s0, s0, 2
	s_mov_b32 s9, s1
	s_add_i32 s0, s0, 0
.LBB209_126:                            ;   Parent Loop BB209_120 Depth=1
                                        ; =>  This Inner Loop Header: Depth=2
	s_delay_alu instid0(SALU_CYCLE_1)
	v_mov_b32_e32 v6, s0
	s_add_i32 s9, s9, -1
	s_add_i32 s0, s0, 4
	s_cmp_lg_u32 s9, 0
	ds_load_b32 v6, v6
	s_waitcnt lgkmcnt(0)
	v_cmp_gt_i32_e32 vcc_lo, v5, v6
	v_cndmask_b32_e64 v6, 0, 1, vcc_lo
	s_delay_alu instid0(VALU_DEP_1)
	v_add_co_u32 v3, vcc_lo, v3, v6
	v_add_co_ci_u32_e32 v4, vcc_lo, 0, v4, vcc_lo
	s_cbranch_scc1 .LBB209_126
	s_branch .LBB209_119
.LBB209_127:
	s_nop 0
	s_sendmsg sendmsg(MSG_DEALLOC_VGPRS)
	s_endpgm
	.section	.rodata,"a",@progbits
	.p2align	6, 0x0
	.amdhsa_kernel _ZN9rocsparseL26csrgemm_fill_block_per_rowILj1024ELj64ELj8192ELj137ELj32ElidEEvT5_PKS1_S3_NS_24const_host_device_scalarIT6_EEPKT4_S3_PKS5_S9_S3_SB_S6_S9_S3_SB_S9_PS1_PS5_21rocsparse_index_base_SE_SE_SE_bbb
		.amdhsa_group_segment_fixed_size 0
		.amdhsa_private_segment_fixed_size 0
		.amdhsa_kernarg_size 156
		.amdhsa_user_sgpr_count 15
		.amdhsa_user_sgpr_dispatch_ptr 0
		.amdhsa_user_sgpr_queue_ptr 0
		.amdhsa_user_sgpr_kernarg_segment_ptr 1
		.amdhsa_user_sgpr_dispatch_id 0
		.amdhsa_user_sgpr_private_segment_size 0
		.amdhsa_wavefront_size32 1
		.amdhsa_uses_dynamic_stack 0
		.amdhsa_enable_private_segment 0
		.amdhsa_system_sgpr_workgroup_id_x 1
		.amdhsa_system_sgpr_workgroup_id_y 0
		.amdhsa_system_sgpr_workgroup_id_z 0
		.amdhsa_system_sgpr_workgroup_info 0
		.amdhsa_system_vgpr_workitem_id 0
		.amdhsa_next_free_vgpr 26
		.amdhsa_next_free_sgpr 76
		.amdhsa_reserve_vcc 1
		.amdhsa_float_round_mode_32 0
		.amdhsa_float_round_mode_16_64 0
		.amdhsa_float_denorm_mode_32 3
		.amdhsa_float_denorm_mode_16_64 3
		.amdhsa_dx10_clamp 1
		.amdhsa_ieee_mode 1
		.amdhsa_fp16_overflow 0
		.amdhsa_workgroup_processor_mode 1
		.amdhsa_memory_ordered 1
		.amdhsa_forward_progress 0
		.amdhsa_shared_vgpr_count 0
		.amdhsa_exception_fp_ieee_invalid_op 0
		.amdhsa_exception_fp_denorm_src 0
		.amdhsa_exception_fp_ieee_div_zero 0
		.amdhsa_exception_fp_ieee_overflow 0
		.amdhsa_exception_fp_ieee_underflow 0
		.amdhsa_exception_fp_ieee_inexact 0
		.amdhsa_exception_int_div_zero 0
	.end_amdhsa_kernel
	.section	.text._ZN9rocsparseL26csrgemm_fill_block_per_rowILj1024ELj64ELj8192ELj137ELj32ElidEEvT5_PKS1_S3_NS_24const_host_device_scalarIT6_EEPKT4_S3_PKS5_S9_S3_SB_S6_S9_S3_SB_S9_PS1_PS5_21rocsparse_index_base_SE_SE_SE_bbb,"axG",@progbits,_ZN9rocsparseL26csrgemm_fill_block_per_rowILj1024ELj64ELj8192ELj137ELj32ElidEEvT5_PKS1_S3_NS_24const_host_device_scalarIT6_EEPKT4_S3_PKS5_S9_S3_SB_S6_S9_S3_SB_S9_PS1_PS5_21rocsparse_index_base_SE_SE_SE_bbb,comdat
.Lfunc_end209:
	.size	_ZN9rocsparseL26csrgemm_fill_block_per_rowILj1024ELj64ELj8192ELj137ELj32ElidEEvT5_PKS1_S3_NS_24const_host_device_scalarIT6_EEPKT4_S3_PKS5_S9_S3_SB_S6_S9_S3_SB_S9_PS1_PS5_21rocsparse_index_base_SE_SE_SE_bbb, .Lfunc_end209-_ZN9rocsparseL26csrgemm_fill_block_per_rowILj1024ELj64ELj8192ELj137ELj32ElidEEvT5_PKS1_S3_NS_24const_host_device_scalarIT6_EEPKT4_S3_PKS5_S9_S3_SB_S6_S9_S3_SB_S9_PS1_PS5_21rocsparse_index_base_SE_SE_SE_bbb
                                        ; -- End function
	.section	.AMDGPU.csdata,"",@progbits
; Kernel info:
; codeLenInByte = 5084
; NumSgprs: 78
; NumVgprs: 26
; ScratchSize: 0
; MemoryBound: 0
; FloatMode: 240
; IeeeMode: 1
; LDSByteSize: 0 bytes/workgroup (compile time only)
; SGPRBlocks: 9
; VGPRBlocks: 3
; NumSGPRsForWavesPerEU: 78
; NumVGPRsForWavesPerEU: 26
; Occupancy: 16
; WaveLimiterHint : 1
; COMPUTE_PGM_RSRC2:SCRATCH_EN: 0
; COMPUTE_PGM_RSRC2:USER_SGPR: 15
; COMPUTE_PGM_RSRC2:TRAP_HANDLER: 0
; COMPUTE_PGM_RSRC2:TGID_X_EN: 1
; COMPUTE_PGM_RSRC2:TGID_Y_EN: 0
; COMPUTE_PGM_RSRC2:TGID_Z_EN: 0
; COMPUTE_PGM_RSRC2:TIDIG_COMP_CNT: 0
	.section	.text._ZN9rocsparseL26csrgemm_fill_block_per_rowILj1024ELj64ELj8192ELj137ELj64ElidEEvT5_PKS1_S3_NS_24const_host_device_scalarIT6_EEPKT4_S3_PKS5_S9_S3_SB_S6_S9_S3_SB_S9_PS1_PS5_21rocsparse_index_base_SE_SE_SE_bbb,"axG",@progbits,_ZN9rocsparseL26csrgemm_fill_block_per_rowILj1024ELj64ELj8192ELj137ELj64ElidEEvT5_PKS1_S3_NS_24const_host_device_scalarIT6_EEPKT4_S3_PKS5_S9_S3_SB_S6_S9_S3_SB_S9_PS1_PS5_21rocsparse_index_base_SE_SE_SE_bbb,comdat
	.globl	_ZN9rocsparseL26csrgemm_fill_block_per_rowILj1024ELj64ELj8192ELj137ELj64ElidEEvT5_PKS1_S3_NS_24const_host_device_scalarIT6_EEPKT4_S3_PKS5_S9_S3_SB_S6_S9_S3_SB_S9_PS1_PS5_21rocsparse_index_base_SE_SE_SE_bbb ; -- Begin function _ZN9rocsparseL26csrgemm_fill_block_per_rowILj1024ELj64ELj8192ELj137ELj64ElidEEvT5_PKS1_S3_NS_24const_host_device_scalarIT6_EEPKT4_S3_PKS5_S9_S3_SB_S6_S9_S3_SB_S9_PS1_PS5_21rocsparse_index_base_SE_SE_SE_bbb
	.p2align	8
	.type	_ZN9rocsparseL26csrgemm_fill_block_per_rowILj1024ELj64ELj8192ELj137ELj64ElidEEvT5_PKS1_S3_NS_24const_host_device_scalarIT6_EEPKT4_S3_PKS5_S9_S3_SB_S6_S9_S3_SB_S9_PS1_PS5_21rocsparse_index_base_SE_SE_SE_bbb,@function
_ZN9rocsparseL26csrgemm_fill_block_per_rowILj1024ELj64ELj8192ELj137ELj64ElidEEvT5_PKS1_S3_NS_24const_host_device_scalarIT6_EEPKT4_S3_PKS5_S9_S3_SB_S6_S9_S3_SB_S9_PS1_PS5_21rocsparse_index_base_SE_SE_SE_bbb: ; @_ZN9rocsparseL26csrgemm_fill_block_per_rowILj1024ELj64ELj8192ELj137ELj64ElidEEvT5_PKS1_S3_NS_24const_host_device_scalarIT6_EEPKT4_S3_PKS5_S9_S3_SB_S6_S9_S3_SB_S9_PS1_PS5_21rocsparse_index_base_SE_SE_SE_bbb
; %bb.0:
	s_clause 0x4
	s_load_b32 s11, s[0:1], 0x98
	s_load_b64 s[8:9], s[0:1], 0x18
	s_load_b128 s[4:7], s[0:1], 0x8
	s_load_b128 s[16:19], s[0:1], 0x88
	s_load_b64 s[2:3], s[0:1], 0x50
	s_waitcnt lgkmcnt(0)
	s_and_b32 s10, 1, s11
	s_bitcmp1_b32 s11, 16
	s_cselect_b32 s12, -1, 0
	s_cmp_eq_u32 s10, 1
	s_cselect_b32 s10, -1, 0
	s_delay_alu instid0(SALU_CYCLE_1)
	s_and_b32 s13, s10, exec_lo
	s_cselect_b32 s21, s9, 0
	s_cselect_b32 s20, s8, 0
	s_xor_b32 s13, s10, -1
	v_dual_mov_b32 v3, s20 :: v_dual_mov_b32 v4, s21
	s_or_b32 s13, s13, s12
	s_delay_alu instid0(SALU_CYCLE_1)
	s_and_b32 vcc_lo, exec_lo, s13
	s_cbranch_vccnz .LBB210_2
; %bb.1:
	v_dual_mov_b32 v1, s8 :: v_dual_mov_b32 v2, s9
	flat_load_b64 v[3:4], v[1:2]
.LBB210_2:
	s_bitcmp1_b32 s11, 8
	s_cselect_b32 s14, -1, 0
	s_delay_alu instid0(SALU_CYCLE_1)
	s_and_b32 s8, s14, exec_lo
	s_cselect_b32 s9, s3, 0
	s_cselect_b32 s8, s2, 0
	s_xor_b32 s11, s14, -1
	v_dual_mov_b32 v1, s8 :: v_dual_mov_b32 v2, s9
	s_or_b32 s11, s11, s12
	s_delay_alu instid0(SALU_CYCLE_1)
	s_and_b32 vcc_lo, exec_lo, s11
	s_cbranch_vccnz .LBB210_4
; %bb.3:
	v_dual_mov_b32 v1, s2 :: v_dual_mov_b32 v2, s3
	flat_load_b64 v[1:2], v[1:2]
.LBB210_4:
	s_load_b32 s26, s[0:1], 0x0
	s_mov_b32 s2, 0
	v_lshrrev_b32_e32 v19, 6, v0
	s_mov_b32 s3, s2
	s_delay_alu instid0(SALU_CYCLE_1) | instskip(SKIP_1) | instid1(VALU_DEP_2)
	v_dual_mov_b32 v6, s3 :: v_dual_lshlrev_b32 v7, 2, v0
	v_dual_mov_b32 v5, s2 :: v_dual_lshlrev_b32 v18, 3, v0
	v_add_nc_u32_e32 v17, 0, v7
	s_delay_alu instid0(VALU_DEP_2)
	v_add3_u32 v8, 0, 0x8000, v18
	ds_store_2addr_stride64_b64 v8, v[5:6], v[5:6] offset0:16 offset1:32
	ds_store_2addr_stride64_b64 v8, v[5:6], v[5:6] offset0:48 offset1:64
	;; [unrolled: 1-line block ×3, first 2 shown]
	s_waitcnt lgkmcnt(0)
	v_dual_mov_b32 v10, s26 :: v_dual_add_nc_u32 v7, v17, v7
	v_dual_mov_b32 v12, s26 :: v_dual_mov_b32 v9, s26
	v_dual_mov_b32 v14, s26 :: v_dual_mov_b32 v11, s26
	;; [unrolled: 1-line block ×3, first 2 shown]
	v_mov_b32_e32 v15, s26
	ds_store_b64 v7, v[5:6] offset:32768
	ds_store_b64 v8, v[5:6] offset:57344
	ds_store_2addr_stride64_b32 v17, v9, v10 offset1:16
	ds_store_2addr_stride64_b32 v17, v11, v12 offset0:32 offset1:48
	ds_store_2addr_stride64_b32 v17, v13, v14 offset0:64 offset1:80
	;; [unrolled: 1-line block ×3, first 2 shown]
	s_waitcnt vmcnt(0) lgkmcnt(0)
	s_barrier
	buffer_gl0_inv
	s_load_b32 s3, s[4:5], 0x0
	s_mov_b32 s5, s2
	s_waitcnt lgkmcnt(0)
	s_add_i32 s4, s3, s15
	s_delay_alu instid0(SALU_CYCLE_1) | instskip(NEXT) | instid1(SALU_CYCLE_1)
	s_lshl_b64 s[2:3], s[4:5], 2
	s_add_u32 s2, s6, s2
	s_addc_u32 s3, s7, s3
	s_and_not1_b32 vcc_lo, exec_lo, s10
	s_load_b32 s24, s[2:3], 0x0
	s_cbranch_vccnz .LBB210_28
; %bb.5:
	s_load_b64 s[2:3], s[0:1], 0x20
	s_waitcnt lgkmcnt(0)
	s_ashr_i32 s25, s24, 31
	s_mov_b32 s15, exec_lo
	s_lshl_b64 s[4:5], s[24:25], 3
	s_delay_alu instid0(SALU_CYCLE_1) | instskip(SKIP_3) | instid1(VALU_DEP_1)
	s_add_u32 s2, s2, s4
	s_addc_u32 s3, s3, s5
	s_load_b128 s[4:7], s[2:3], 0x0
	v_sub_co_u32 v5, s2, v19, s16
	v_sub_co_ci_u32_e64 v6, null, 0, 0, s2
	s_waitcnt lgkmcnt(0)
	s_delay_alu instid0(VALU_DEP_2) | instskip(NEXT) | instid1(VALU_DEP_2)
	v_add_co_u32 v5, vcc_lo, s4, v5
	v_add_co_ci_u32_e32 v6, vcc_lo, s5, v6, vcc_lo
	s_sub_u32 s2, s6, s16
	s_subb_u32 s3, s7, 0
	s_delay_alu instid0(VALU_DEP_1) | instid1(SALU_CYCLE_1)
	v_cmpx_gt_i64_e64 s[2:3], v[5:6]
	s_cbranch_execz .LBB210_27
; %bb.6:
	s_clause 0x1
	s_load_b64 s[12:13], s[0:1], 0x48
	s_load_b256 s[4:11], s[0:1], 0x28
	v_and_b32_e32 v7, 63, v0
	s_mov_b32 s21, s17
	s_delay_alu instid0(VALU_DEP_1) | instskip(NEXT) | instid1(VALU_DEP_1)
	v_sub_co_u32 v20, s20, v7, s17
	v_sub_co_ci_u32_e64 v21, null, 0, 0, s20
	s_mov_b32 s20, 0
	s_branch .LBB210_8
.LBB210_7:                              ;   in Loop: Header=BB210_8 Depth=1
	s_or_b32 exec_lo, exec_lo, s22
	v_add_co_u32 v5, vcc_lo, v5, 16
	v_add_co_ci_u32_e32 v6, vcc_lo, 0, v6, vcc_lo
	s_delay_alu instid0(VALU_DEP_1) | instskip(SKIP_1) | instid1(SALU_CYCLE_1)
	v_cmp_le_i64_e32 vcc_lo, s[2:3], v[5:6]
	s_or_b32 s20, vcc_lo, s20
	s_and_not1_b32 exec_lo, exec_lo, s20
	s_cbranch_execz .LBB210_27
.LBB210_8:                              ; =>This Loop Header: Depth=1
                                        ;     Child Loop BB210_11 Depth 2
                                        ;       Child Loop BB210_13 Depth 3
                                        ;         Child Loop BB210_19 Depth 4
                                        ;         Child Loop BB210_25 Depth 4
	v_lshlrev_b64 v[7:8], 2, v[5:6]
	s_mov_b32 s22, exec_lo
	s_waitcnt lgkmcnt(0)
	s_delay_alu instid0(VALU_DEP_1) | instskip(NEXT) | instid1(VALU_DEP_2)
	v_add_co_u32 v7, vcc_lo, s4, v7
	v_add_co_ci_u32_e32 v8, vcc_lo, s5, v8, vcc_lo
	global_load_b32 v7, v[7:8], off
	s_waitcnt vmcnt(0)
	v_subrev_nc_u32_e32 v7, s16, v7
	s_delay_alu instid0(VALU_DEP_1) | instskip(NEXT) | instid1(VALU_DEP_1)
	v_ashrrev_i32_e32 v8, 31, v7
	v_lshlrev_b64 v[7:8], 3, v[7:8]
	s_delay_alu instid0(VALU_DEP_1) | instskip(NEXT) | instid1(VALU_DEP_2)
	v_add_co_u32 v7, vcc_lo, s8, v7
	v_add_co_ci_u32_e32 v8, vcc_lo, s9, v8, vcc_lo
	global_load_b128 v[9:12], v[7:8], off
	s_waitcnt vmcnt(0)
	v_sub_co_u32 v7, vcc_lo, v11, s21
	v_subrev_co_ci_u32_e32 v8, vcc_lo, 0, v12, vcc_lo
	v_add_co_u32 v9, vcc_lo, v9, v20
	v_add_co_ci_u32_e32 v10, vcc_lo, v10, v21, vcc_lo
	s_delay_alu instid0(VALU_DEP_1)
	v_cmpx_lt_i64_e64 v[9:10], v[7:8]
	s_cbranch_execz .LBB210_7
; %bb.9:                                ;   in Loop: Header=BB210_8 Depth=1
	v_lshlrev_b64 v[11:12], 3, v[5:6]
	s_mov_b32 s23, 0
	s_delay_alu instid0(VALU_DEP_1) | instskip(NEXT) | instid1(VALU_DEP_2)
	v_add_co_u32 v11, vcc_lo, s6, v11
	v_add_co_ci_u32_e32 v12, vcc_lo, s7, v12, vcc_lo
	global_load_b64 v[11:12], v[11:12], off
	s_waitcnt vmcnt(0)
	v_mul_f64 v[11:12], v[3:4], v[11:12]
	s_branch .LBB210_11
.LBB210_10:                             ;   in Loop: Header=BB210_11 Depth=2
	s_or_b32 exec_lo, exec_lo, s25
	v_add_co_u32 v9, vcc_lo, v9, 64
	v_add_co_ci_u32_e32 v10, vcc_lo, 0, v10, vcc_lo
	s_delay_alu instid0(VALU_DEP_1) | instskip(SKIP_1) | instid1(SALU_CYCLE_1)
	v_cmp_ge_i64_e32 vcc_lo, v[9:10], v[7:8]
	s_or_b32 s23, vcc_lo, s23
	s_and_not1_b32 exec_lo, exec_lo, s23
	s_cbranch_execz .LBB210_7
.LBB210_11:                             ;   Parent Loop BB210_8 Depth=1
                                        ; =>  This Loop Header: Depth=2
                                        ;       Child Loop BB210_13 Depth 3
                                        ;         Child Loop BB210_19 Depth 4
                                        ;         Child Loop BB210_25 Depth 4
	v_lshlrev_b64 v[13:14], 3, v[9:10]
	v_lshlrev_b64 v[15:16], 2, v[9:10]
	s_mov_b32 s25, 0
	s_delay_alu instid0(VALU_DEP_2) | instskip(NEXT) | instid1(VALU_DEP_3)
	v_add_co_u32 v13, vcc_lo, s12, v13
	v_add_co_ci_u32_e32 v14, vcc_lo, s13, v14, vcc_lo
	s_delay_alu instid0(VALU_DEP_3) | instskip(NEXT) | instid1(VALU_DEP_4)
	v_add_co_u32 v15, vcc_lo, s10, v15
	v_add_co_ci_u32_e32 v16, vcc_lo, s11, v16, vcc_lo
	global_load_b64 v[13:14], v[13:14], off
	global_load_b32 v15, v[15:16], off
	s_waitcnt vmcnt(1)
	v_mul_f64 v[13:14], v[11:12], v[13:14]
	s_waitcnt vmcnt(0)
	v_subrev_nc_u32_e32 v22, s17, v15
	s_delay_alu instid0(VALU_DEP_1) | instskip(NEXT) | instid1(VALU_DEP_1)
	v_mul_lo_u32 v15, 0x89, v22
	v_and_b32_e32 v23, 0x1fff, v15
	s_branch .LBB210_13
.LBB210_12:                             ;   in Loop: Header=BB210_13 Depth=3
	s_or_b32 exec_lo, exec_lo, s27
	s_xor_b32 s27, s28, -1
	s_delay_alu instid0(SALU_CYCLE_1) | instskip(NEXT) | instid1(SALU_CYCLE_1)
	s_and_b32 s27, exec_lo, s27
	s_or_b32 s25, s27, s25
	s_delay_alu instid0(SALU_CYCLE_1)
	s_and_not1_b32 exec_lo, exec_lo, s25
	s_cbranch_execz .LBB210_10
.LBB210_13:                             ;   Parent Loop BB210_8 Depth=1
                                        ;     Parent Loop BB210_11 Depth=2
                                        ; =>    This Loop Header: Depth=3
                                        ;         Child Loop BB210_19 Depth 4
                                        ;         Child Loop BB210_25 Depth 4
	s_delay_alu instid0(VALU_DEP_1)
	v_lshl_add_u32 v15, v23, 2, 0
	s_mov_b32 s27, exec_lo
                                        ; implicit-def: $sgpr28
	ds_load_b32 v16, v15
	s_waitcnt lgkmcnt(0)
	v_cmpx_ne_u32_e64 v16, v22
	s_xor_b32 s27, exec_lo, s27
	s_cbranch_execz .LBB210_23
; %bb.14:                               ;   in Loop: Header=BB210_13 Depth=3
	s_mov_b32 s29, exec_lo
                                        ; implicit-def: $sgpr28
	v_cmpx_ne_u32_e64 s26, v16
	s_xor_b32 s29, exec_lo, s29
; %bb.15:                               ;   in Loop: Header=BB210_13 Depth=3
	v_add_nc_u32_e32 v15, 1, v23
	s_mov_b32 s28, -1
	s_delay_alu instid0(VALU_DEP_1)
	v_and_b32_e32 v23, 0x1fff, v15
                                        ; implicit-def: $vgpr15
; %bb.16:                               ;   in Loop: Header=BB210_13 Depth=3
	s_and_not1_saveexec_b32 s29, s29
	s_cbranch_execz .LBB210_22
; %bb.17:                               ;   in Loop: Header=BB210_13 Depth=3
	v_mov_b32_e32 v16, s26
	s_mov_b32 s31, -1
	s_mov_b32 s30, exec_lo
	ds_cmpstore_rtn_b32 v16, v15, v22, v16
	s_waitcnt lgkmcnt(0)
	v_cmpx_eq_u32_e64 s26, v16
	s_cbranch_execz .LBB210_21
; %bb.18:                               ;   in Loop: Header=BB210_13 Depth=3
	v_lshlrev_b32_e32 v16, 2, v23
	s_mov_b32 s31, 0
	s_delay_alu instid0(VALU_DEP_1)
	v_add_nc_u32_e32 v24, v15, v16
	ds_load_b64 v[15:16], v24 offset:32768
.LBB210_19:                             ;   Parent Loop BB210_8 Depth=1
                                        ;     Parent Loop BB210_11 Depth=2
                                        ;       Parent Loop BB210_13 Depth=3
                                        ; =>      This Inner Loop Header: Depth=4
	s_waitcnt lgkmcnt(0)
	v_add_f64 v[25:26], v[15:16], v[13:14]
	ds_cmpstore_rtn_b64 v[25:26], v24, v[25:26], v[15:16] offset:32768
	s_waitcnt lgkmcnt(0)
	v_cmp_eq_u64_e32 vcc_lo, v[25:26], v[15:16]
	v_dual_mov_b32 v15, v25 :: v_dual_mov_b32 v16, v26
	s_or_b32 s31, vcc_lo, s31
	s_delay_alu instid0(SALU_CYCLE_1)
	s_and_not1_b32 exec_lo, exec_lo, s31
	s_cbranch_execnz .LBB210_19
; %bb.20:                               ;   in Loop: Header=BB210_13 Depth=3
	s_or_b32 exec_lo, exec_lo, s31
	s_delay_alu instid0(SALU_CYCLE_1)
	s_xor_b32 s31, exec_lo, -1
.LBB210_21:                             ;   in Loop: Header=BB210_13 Depth=3
	s_or_b32 exec_lo, exec_lo, s30
	s_delay_alu instid0(SALU_CYCLE_1) | instskip(SKIP_1) | instid1(SALU_CYCLE_1)
	s_and_not1_b32 s28, s28, exec_lo
	s_and_b32 s30, s31, exec_lo
	s_or_b32 s28, s28, s30
.LBB210_22:                             ;   in Loop: Header=BB210_13 Depth=3
	s_or_b32 exec_lo, exec_lo, s29
	s_delay_alu instid0(SALU_CYCLE_1)
	s_and_b32 s28, s28, exec_lo
                                        ; implicit-def: $vgpr15
.LBB210_23:                             ;   in Loop: Header=BB210_13 Depth=3
	s_and_not1_saveexec_b32 s27, s27
	s_cbranch_execz .LBB210_12
; %bb.24:                               ;   in Loop: Header=BB210_13 Depth=3
	v_lshlrev_b32_e32 v16, 2, v23
	s_mov_b32 s29, 0
	s_delay_alu instid0(VALU_DEP_1)
	v_add_nc_u32_e32 v24, v15, v16
	ds_load_b64 v[15:16], v24 offset:32768
.LBB210_25:                             ;   Parent Loop BB210_8 Depth=1
                                        ;     Parent Loop BB210_11 Depth=2
                                        ;       Parent Loop BB210_13 Depth=3
                                        ; =>      This Inner Loop Header: Depth=4
	s_waitcnt lgkmcnt(0)
	v_add_f64 v[25:26], v[15:16], v[13:14]
	ds_cmpstore_rtn_b64 v[25:26], v24, v[25:26], v[15:16] offset:32768
	s_waitcnt lgkmcnt(0)
	v_cmp_eq_u64_e32 vcc_lo, v[25:26], v[15:16]
	v_dual_mov_b32 v15, v25 :: v_dual_mov_b32 v16, v26
	s_or_b32 s29, vcc_lo, s29
	s_delay_alu instid0(SALU_CYCLE_1)
	s_and_not1_b32 exec_lo, exec_lo, s29
	s_cbranch_execnz .LBB210_25
; %bb.26:                               ;   in Loop: Header=BB210_13 Depth=3
	s_or_b32 exec_lo, exec_lo, s29
	s_delay_alu instid0(SALU_CYCLE_1)
	s_and_not1_b32 s28, s28, exec_lo
	s_branch .LBB210_12
.LBB210_27:
	s_or_b32 exec_lo, exec_lo, s15
.LBB210_28:
	s_clause 0x1
	s_load_b64 s[16:17], s[0:1], 0x80
	s_load_b128 s[20:23], s[0:1], 0x70
	s_and_not1_b32 vcc_lo, exec_lo, s14
	s_cbranch_vccnz .LBB210_49
; %bb.29:
	s_load_b64 s[2:3], s[0:1], 0x58
	s_waitcnt lgkmcnt(0)
	s_ashr_i32 s25, s24, 31
	s_delay_alu instid0(SALU_CYCLE_1) | instskip(NEXT) | instid1(SALU_CYCLE_1)
	s_lshl_b64 s[4:5], s[24:25], 3
	s_add_u32 s2, s2, s4
	s_addc_u32 s3, s3, s5
	s_load_b128 s[4:7], s[2:3], 0x0
	v_sub_co_u32 v3, s2, v0, s19
	s_delay_alu instid0(VALU_DEP_1) | instskip(SKIP_1) | instid1(VALU_DEP_2)
	v_sub_co_ci_u32_e64 v4, null, 0, 0, s2
	s_waitcnt lgkmcnt(0)
	v_add_co_u32 v3, vcc_lo, s4, v3
	s_delay_alu instid0(VALU_DEP_2)
	v_add_co_ci_u32_e32 v4, vcc_lo, s5, v4, vcc_lo
	s_sub_u32 s4, s6, s19
	s_subb_u32 s5, s7, 0
	s_mov_b32 s7, 0
	s_mov_b32 s6, exec_lo
	v_cmpx_gt_i64_e64 s[4:5], v[3:4]
	s_cbranch_execz .LBB210_48
; %bb.30:
	s_load_b128 s[0:3], s[0:1], 0x60
	s_branch .LBB210_32
.LBB210_31:                             ;   in Loop: Header=BB210_32 Depth=1
	s_or_b32 exec_lo, exec_lo, s8
	v_add_co_u32 v3, vcc_lo, 0x400, v3
	v_add_co_ci_u32_e32 v4, vcc_lo, 0, v4, vcc_lo
	s_delay_alu instid0(VALU_DEP_1) | instskip(SKIP_1) | instid1(SALU_CYCLE_1)
	v_cmp_le_i64_e32 vcc_lo, s[4:5], v[3:4]
	s_or_b32 s7, vcc_lo, s7
	s_and_not1_b32 exec_lo, exec_lo, s7
	s_cbranch_execz .LBB210_48
.LBB210_32:                             ; =>This Loop Header: Depth=1
                                        ;     Child Loop BB210_34 Depth 2
                                        ;       Child Loop BB210_40 Depth 3
                                        ;       Child Loop BB210_46 Depth 3
	v_lshlrev_b64 v[5:6], 3, v[3:4]
	v_lshlrev_b64 v[7:8], 2, v[3:4]
	s_mov_b32 s8, 0
	s_waitcnt lgkmcnt(0)
	s_delay_alu instid0(VALU_DEP_2) | instskip(NEXT) | instid1(VALU_DEP_3)
	v_add_co_u32 v5, vcc_lo, s2, v5
	v_add_co_ci_u32_e32 v6, vcc_lo, s3, v6, vcc_lo
	s_delay_alu instid0(VALU_DEP_3)
	v_add_co_u32 v7, vcc_lo, s0, v7
	v_add_co_ci_u32_e32 v8, vcc_lo, s1, v8, vcc_lo
	global_load_b64 v[5:6], v[5:6], off
	global_load_b32 v7, v[7:8], off
	s_waitcnt vmcnt(1)
	v_mul_f64 v[5:6], v[1:2], v[5:6]
	s_waitcnt vmcnt(0)
	v_subrev_nc_u32_e32 v9, s19, v7
	s_delay_alu instid0(VALU_DEP_1) | instskip(NEXT) | instid1(VALU_DEP_1)
	v_mul_lo_u32 v7, 0x89, v9
	v_and_b32_e32 v10, 0x1fff, v7
	s_branch .LBB210_34
.LBB210_33:                             ;   in Loop: Header=BB210_34 Depth=2
	s_or_b32 exec_lo, exec_lo, s9
	s_xor_b32 s9, s10, -1
	s_delay_alu instid0(SALU_CYCLE_1) | instskip(NEXT) | instid1(SALU_CYCLE_1)
	s_and_b32 s9, exec_lo, s9
	s_or_b32 s8, s9, s8
	s_delay_alu instid0(SALU_CYCLE_1)
	s_and_not1_b32 exec_lo, exec_lo, s8
	s_cbranch_execz .LBB210_31
.LBB210_34:                             ;   Parent Loop BB210_32 Depth=1
                                        ; =>  This Loop Header: Depth=2
                                        ;       Child Loop BB210_40 Depth 3
                                        ;       Child Loop BB210_46 Depth 3
	s_delay_alu instid0(VALU_DEP_1)
	v_lshl_add_u32 v7, v10, 2, 0
	s_mov_b32 s9, exec_lo
                                        ; implicit-def: $sgpr10
	ds_load_b32 v8, v7
	s_waitcnt lgkmcnt(0)
	v_cmpx_ne_u32_e64 v8, v9
	s_xor_b32 s9, exec_lo, s9
	s_cbranch_execz .LBB210_44
; %bb.35:                               ;   in Loop: Header=BB210_34 Depth=2
	s_mov_b32 s11, exec_lo
                                        ; implicit-def: $sgpr10
	v_cmpx_ne_u32_e64 s26, v8
	s_xor_b32 s11, exec_lo, s11
; %bb.36:                               ;   in Loop: Header=BB210_34 Depth=2
	v_add_nc_u32_e32 v7, 1, v10
	s_mov_b32 s10, -1
	s_delay_alu instid0(VALU_DEP_1)
	v_and_b32_e32 v10, 0x1fff, v7
                                        ; implicit-def: $vgpr7
; %bb.37:                               ;   in Loop: Header=BB210_34 Depth=2
	s_and_not1_saveexec_b32 s11, s11
	s_cbranch_execz .LBB210_43
; %bb.38:                               ;   in Loop: Header=BB210_34 Depth=2
	v_mov_b32_e32 v8, s26
	s_mov_b32 s13, -1
	s_mov_b32 s12, exec_lo
	ds_cmpstore_rtn_b32 v8, v7, v9, v8
	s_waitcnt lgkmcnt(0)
	v_cmpx_eq_u32_e64 s26, v8
	s_cbranch_execz .LBB210_42
; %bb.39:                               ;   in Loop: Header=BB210_34 Depth=2
	v_lshlrev_b32_e32 v8, 2, v10
	s_mov_b32 s13, 0
	s_delay_alu instid0(VALU_DEP_1)
	v_add_nc_u32_e32 v11, v7, v8
	ds_load_b64 v[7:8], v11 offset:32768
.LBB210_40:                             ;   Parent Loop BB210_32 Depth=1
                                        ;     Parent Loop BB210_34 Depth=2
                                        ; =>    This Inner Loop Header: Depth=3
	s_waitcnt lgkmcnt(0)
	v_add_f64 v[12:13], v[7:8], v[5:6]
	ds_cmpstore_rtn_b64 v[12:13], v11, v[12:13], v[7:8] offset:32768
	s_waitcnt lgkmcnt(0)
	v_cmp_eq_u64_e32 vcc_lo, v[12:13], v[7:8]
	v_dual_mov_b32 v7, v12 :: v_dual_mov_b32 v8, v13
	s_or_b32 s13, vcc_lo, s13
	s_delay_alu instid0(SALU_CYCLE_1)
	s_and_not1_b32 exec_lo, exec_lo, s13
	s_cbranch_execnz .LBB210_40
; %bb.41:                               ;   in Loop: Header=BB210_34 Depth=2
	s_or_b32 exec_lo, exec_lo, s13
	s_delay_alu instid0(SALU_CYCLE_1)
	s_xor_b32 s13, exec_lo, -1
.LBB210_42:                             ;   in Loop: Header=BB210_34 Depth=2
	s_or_b32 exec_lo, exec_lo, s12
	s_delay_alu instid0(SALU_CYCLE_1) | instskip(SKIP_1) | instid1(SALU_CYCLE_1)
	s_and_not1_b32 s10, s10, exec_lo
	s_and_b32 s12, s13, exec_lo
	s_or_b32 s10, s10, s12
.LBB210_43:                             ;   in Loop: Header=BB210_34 Depth=2
	s_or_b32 exec_lo, exec_lo, s11
	s_delay_alu instid0(SALU_CYCLE_1)
	s_and_b32 s10, s10, exec_lo
                                        ; implicit-def: $vgpr7
.LBB210_44:                             ;   in Loop: Header=BB210_34 Depth=2
	s_and_not1_saveexec_b32 s9, s9
	s_cbranch_execz .LBB210_33
; %bb.45:                               ;   in Loop: Header=BB210_34 Depth=2
	v_lshlrev_b32_e32 v8, 2, v10
	s_mov_b32 s11, 0
	s_delay_alu instid0(VALU_DEP_1)
	v_add_nc_u32_e32 v11, v7, v8
	ds_load_b64 v[7:8], v11 offset:32768
.LBB210_46:                             ;   Parent Loop BB210_32 Depth=1
                                        ;     Parent Loop BB210_34 Depth=2
                                        ; =>    This Inner Loop Header: Depth=3
	s_waitcnt lgkmcnt(0)
	v_add_f64 v[12:13], v[7:8], v[5:6]
	ds_cmpstore_rtn_b64 v[12:13], v11, v[12:13], v[7:8] offset:32768
	s_waitcnt lgkmcnt(0)
	v_cmp_eq_u64_e32 vcc_lo, v[12:13], v[7:8]
	v_dual_mov_b32 v7, v12 :: v_dual_mov_b32 v8, v13
	s_or_b32 s11, vcc_lo, s11
	s_delay_alu instid0(SALU_CYCLE_1)
	s_and_not1_b32 exec_lo, exec_lo, s11
	s_cbranch_execnz .LBB210_46
; %bb.47:                               ;   in Loop: Header=BB210_34 Depth=2
	s_or_b32 exec_lo, exec_lo, s11
	s_delay_alu instid0(SALU_CYCLE_1)
	s_and_not1_b32 s10, s10, exec_lo
	s_branch .LBB210_33
.LBB210_48:
	s_or_b32 exec_lo, exec_lo, s6
.LBB210_49:
	v_mbcnt_lo_u32_b32 v1, -1, 0
	v_dual_mov_b32 v7, 0 :: v_dual_lshlrev_b32 v2, 2, v19
	s_add_i32 s38, 0, 0x1803c
	v_cmp_eq_u32_e32 vcc_lo, 0x3ff, v0
	s_delay_alu instid0(VALU_DEP_3) | instskip(NEXT) | instid1(VALU_DEP_3)
	v_xor_b32_e32 v1, 63, v1
	v_add3_u32 v4, 0, 0x18000, v2
	v_cmp_lt_u32_e64 s0, 63, v0
	v_cmp_lt_u32_e64 s1, 0x7f, v0
	;; [unrolled: 1-line block ×3, first 2 shown]
	v_lshrrev_b64 v[1:2], v1, -1
	v_cmp_lt_u32_e64 s3, 0xff, v0
	v_cmp_lt_u32_e64 s4, 0x13f, v0
	;; [unrolled: 1-line block ×12, first 2 shown]
	v_add3_u32 v5, v18, 0, 0x8000
	v_or_b32_e32 v6, 0xfffffc00, v0
	v_mov_b32_e32 v8, s38
	s_mov_b32 s19, 0
	s_add_i32 s25, 0, 0x18000
	s_add_i32 s27, 0, 0x18004
	;; [unrolled: 1-line block ×15, first 2 shown]
	s_waitcnt lgkmcnt(0)
	s_barrier
	buffer_gl0_inv
	s_branch .LBB210_51
.LBB210_50:                             ;   in Loop: Header=BB210_51 Depth=1
	s_or_b32 exec_lo, exec_lo, s15
	s_waitcnt lgkmcnt(0)
	s_barrier
	buffer_gl0_inv
	ds_load_b32 v2, v8
	v_add_nc_u32_e32 v6, 0x400, v6
	v_add_nc_u32_e32 v5, 0x2000, v5
	;; [unrolled: 1-line block ×3, first 2 shown]
	s_delay_alu instid0(VALU_DEP_3) | instskip(NEXT) | instid1(VALU_DEP_1)
	v_cmp_lt_u32_e64 s15, 0x1bff, v6
	s_or_b32 s19, s15, s19
	s_waitcnt lgkmcnt(0)
	v_add_nc_u32_e32 v7, v2, v7
	s_and_not1_b32 exec_lo, exec_lo, s19
	s_cbranch_execz .LBB210_85
.LBB210_51:                             ; =>This Inner Loop Header: Depth=1
	ds_load_b32 v9, v17
	ds_load_b64 v[2:3], v5
	s_waitcnt lgkmcnt(0)
	s_barrier
	buffer_gl0_inv
	v_cmp_gt_i32_e64 s15, s26, v9
	s_delay_alu instid0(VALU_DEP_1) | instskip(NEXT) | instid1(SALU_CYCLE_1)
	s_bcnt1_i32_b32 s43, s15
	v_dual_mov_b32 v11, s43 :: v_dual_and_b32 v10, s15, v1
	s_delay_alu instid0(VALU_DEP_1)
	v_bcnt_u32_b32 v10, v10, 0
	ds_store_b32 v4, v11
	s_waitcnt lgkmcnt(0)
	s_barrier
	buffer_gl0_inv
	s_and_saveexec_b32 s43, s0
	s_cbranch_execnz .LBB210_68
; %bb.52:                               ;   in Loop: Header=BB210_51 Depth=1
	s_or_b32 exec_lo, exec_lo, s43
	s_and_saveexec_b32 s43, s1
	s_cbranch_execnz .LBB210_69
.LBB210_53:                             ;   in Loop: Header=BB210_51 Depth=1
	s_or_b32 exec_lo, exec_lo, s43
	s_and_saveexec_b32 s43, s2
	s_cbranch_execnz .LBB210_70
.LBB210_54:                             ;   in Loop: Header=BB210_51 Depth=1
	s_or_b32 exec_lo, exec_lo, s43
	s_and_saveexec_b32 s43, s3
	s_cbranch_execnz .LBB210_71
.LBB210_55:                             ;   in Loop: Header=BB210_51 Depth=1
	s_or_b32 exec_lo, exec_lo, s43
	s_and_saveexec_b32 s43, s4
	s_cbranch_execnz .LBB210_72
.LBB210_56:                             ;   in Loop: Header=BB210_51 Depth=1
	s_or_b32 exec_lo, exec_lo, s43
	s_and_saveexec_b32 s43, s5
	s_cbranch_execnz .LBB210_73
.LBB210_57:                             ;   in Loop: Header=BB210_51 Depth=1
	s_or_b32 exec_lo, exec_lo, s43
	s_and_saveexec_b32 s43, s6
	s_cbranch_execnz .LBB210_74
.LBB210_58:                             ;   in Loop: Header=BB210_51 Depth=1
	s_or_b32 exec_lo, exec_lo, s43
	s_and_saveexec_b32 s43, s7
	s_cbranch_execnz .LBB210_75
.LBB210_59:                             ;   in Loop: Header=BB210_51 Depth=1
	s_or_b32 exec_lo, exec_lo, s43
	s_and_saveexec_b32 s43, s8
	s_cbranch_execnz .LBB210_76
.LBB210_60:                             ;   in Loop: Header=BB210_51 Depth=1
	s_or_b32 exec_lo, exec_lo, s43
	s_and_saveexec_b32 s43, s9
	s_cbranch_execnz .LBB210_77
.LBB210_61:                             ;   in Loop: Header=BB210_51 Depth=1
	s_or_b32 exec_lo, exec_lo, s43
	s_and_saveexec_b32 s43, s10
	s_cbranch_execnz .LBB210_78
.LBB210_62:                             ;   in Loop: Header=BB210_51 Depth=1
	s_or_b32 exec_lo, exec_lo, s43
	s_and_saveexec_b32 s43, s11
	s_cbranch_execnz .LBB210_79
.LBB210_63:                             ;   in Loop: Header=BB210_51 Depth=1
	s_or_b32 exec_lo, exec_lo, s43
	s_and_saveexec_b32 s43, s12
	s_cbranch_execnz .LBB210_80
.LBB210_64:                             ;   in Loop: Header=BB210_51 Depth=1
	s_or_b32 exec_lo, exec_lo, s43
	s_and_saveexec_b32 s43, s13
	s_cbranch_execnz .LBB210_81
.LBB210_65:                             ;   in Loop: Header=BB210_51 Depth=1
	s_or_b32 exec_lo, exec_lo, s43
	s_and_saveexec_b32 s43, s14
	s_cbranch_execnz .LBB210_82
.LBB210_66:                             ;   in Loop: Header=BB210_51 Depth=1
	s_or_b32 exec_lo, exec_lo, s43
	s_and_saveexec_b32 s43, s15
	s_cbranch_execnz .LBB210_83
.LBB210_67:                             ;   in Loop: Header=BB210_51 Depth=1
	s_or_b32 exec_lo, exec_lo, s43
	s_and_saveexec_b32 s15, vcc_lo
	s_cbranch_execz .LBB210_50
	s_branch .LBB210_84
.LBB210_68:                             ;   in Loop: Header=BB210_51 Depth=1
	v_mov_b32_e32 v11, s25
	ds_load_b32 v11, v11
	s_waitcnt lgkmcnt(0)
	v_add_nc_u32_e32 v10, v11, v10
	s_or_b32 exec_lo, exec_lo, s43
	s_and_saveexec_b32 s43, s1
	s_cbranch_execz .LBB210_53
.LBB210_69:                             ;   in Loop: Header=BB210_51 Depth=1
	v_mov_b32_e32 v11, s27
	ds_load_b32 v11, v11
	s_waitcnt lgkmcnt(0)
	v_add_nc_u32_e32 v10, v11, v10
	s_or_b32 exec_lo, exec_lo, s43
	s_and_saveexec_b32 s43, s2
	s_cbranch_execz .LBB210_54
.LBB210_70:                             ;   in Loop: Header=BB210_51 Depth=1
	v_mov_b32_e32 v11, s28
	ds_load_b32 v11, v11
	s_waitcnt lgkmcnt(0)
	v_add_nc_u32_e32 v10, v11, v10
	s_or_b32 exec_lo, exec_lo, s43
	s_and_saveexec_b32 s43, s3
	s_cbranch_execz .LBB210_55
.LBB210_71:                             ;   in Loop: Header=BB210_51 Depth=1
	v_mov_b32_e32 v11, s29
	ds_load_b32 v11, v11
	s_waitcnt lgkmcnt(0)
	v_add_nc_u32_e32 v10, v11, v10
	s_or_b32 exec_lo, exec_lo, s43
	s_and_saveexec_b32 s43, s4
	s_cbranch_execz .LBB210_56
.LBB210_72:                             ;   in Loop: Header=BB210_51 Depth=1
	v_mov_b32_e32 v11, s30
	ds_load_b32 v11, v11
	s_waitcnt lgkmcnt(0)
	v_add_nc_u32_e32 v10, v11, v10
	s_or_b32 exec_lo, exec_lo, s43
	s_and_saveexec_b32 s43, s5
	s_cbranch_execz .LBB210_57
.LBB210_73:                             ;   in Loop: Header=BB210_51 Depth=1
	v_mov_b32_e32 v11, s31
	ds_load_b32 v11, v11
	s_waitcnt lgkmcnt(0)
	v_add_nc_u32_e32 v10, v11, v10
	s_or_b32 exec_lo, exec_lo, s43
	s_and_saveexec_b32 s43, s6
	s_cbranch_execz .LBB210_58
.LBB210_74:                             ;   in Loop: Header=BB210_51 Depth=1
	v_mov_b32_e32 v11, s33
	ds_load_b32 v11, v11
	s_waitcnt lgkmcnt(0)
	v_add_nc_u32_e32 v10, v11, v10
	s_or_b32 exec_lo, exec_lo, s43
	s_and_saveexec_b32 s43, s7
	s_cbranch_execz .LBB210_59
.LBB210_75:                             ;   in Loop: Header=BB210_51 Depth=1
	v_mov_b32_e32 v11, s34
	ds_load_b32 v11, v11
	s_waitcnt lgkmcnt(0)
	v_add_nc_u32_e32 v10, v11, v10
	s_or_b32 exec_lo, exec_lo, s43
	s_and_saveexec_b32 s43, s8
	s_cbranch_execz .LBB210_60
.LBB210_76:                             ;   in Loop: Header=BB210_51 Depth=1
	v_mov_b32_e32 v11, s35
	ds_load_b32 v11, v11
	s_waitcnt lgkmcnt(0)
	v_add_nc_u32_e32 v10, v11, v10
	s_or_b32 exec_lo, exec_lo, s43
	s_and_saveexec_b32 s43, s9
	s_cbranch_execz .LBB210_61
.LBB210_77:                             ;   in Loop: Header=BB210_51 Depth=1
	v_mov_b32_e32 v11, s36
	ds_load_b32 v11, v11
	s_waitcnt lgkmcnt(0)
	v_add_nc_u32_e32 v10, v11, v10
	s_or_b32 exec_lo, exec_lo, s43
	s_and_saveexec_b32 s43, s10
	s_cbranch_execz .LBB210_62
.LBB210_78:                             ;   in Loop: Header=BB210_51 Depth=1
	v_mov_b32_e32 v11, s37
	ds_load_b32 v11, v11
	s_waitcnt lgkmcnt(0)
	v_add_nc_u32_e32 v10, v11, v10
	s_or_b32 exec_lo, exec_lo, s43
	s_and_saveexec_b32 s43, s11
	s_cbranch_execz .LBB210_63
.LBB210_79:                             ;   in Loop: Header=BB210_51 Depth=1
	v_mov_b32_e32 v11, s39
	ds_load_b32 v11, v11
	s_waitcnt lgkmcnt(0)
	v_add_nc_u32_e32 v10, v11, v10
	s_or_b32 exec_lo, exec_lo, s43
	s_and_saveexec_b32 s43, s12
	s_cbranch_execz .LBB210_64
.LBB210_80:                             ;   in Loop: Header=BB210_51 Depth=1
	v_mov_b32_e32 v11, s40
	ds_load_b32 v11, v11
	s_waitcnt lgkmcnt(0)
	v_add_nc_u32_e32 v10, v11, v10
	s_or_b32 exec_lo, exec_lo, s43
	s_and_saveexec_b32 s43, s13
	s_cbranch_execz .LBB210_65
.LBB210_81:                             ;   in Loop: Header=BB210_51 Depth=1
	v_mov_b32_e32 v11, s41
	ds_load_b32 v11, v11
	s_waitcnt lgkmcnt(0)
	v_add_nc_u32_e32 v10, v11, v10
	s_or_b32 exec_lo, exec_lo, s43
	s_and_saveexec_b32 s43, s14
	s_cbranch_execz .LBB210_66
.LBB210_82:                             ;   in Loop: Header=BB210_51 Depth=1
	v_mov_b32_e32 v11, s42
	ds_load_b32 v11, v11
	s_waitcnt lgkmcnt(0)
	v_add_nc_u32_e32 v10, v11, v10
	s_or_b32 exec_lo, exec_lo, s43
	s_and_saveexec_b32 s43, s15
	s_cbranch_execz .LBB210_67
.LBB210_83:                             ;   in Loop: Header=BB210_51 Depth=1
	s_delay_alu instid0(VALU_DEP_1) | instskip(NEXT) | instid1(VALU_DEP_1)
	v_add3_u32 v11, v7, -1, v10
	v_lshl_add_u32 v12, v11, 2, 0
	v_lshl_add_u32 v11, v11, 3, 0
	ds_store_b32 v12, v9
	ds_store_b64 v11, v[2:3] offset:32768
	s_or_b32 exec_lo, exec_lo, s43
	s_and_saveexec_b32 s15, vcc_lo
	s_cbranch_execz .LBB210_50
.LBB210_84:                             ;   in Loop: Header=BB210_51 Depth=1
	v_mov_b32_e32 v2, s38
	ds_store_b32 v2, v10
	s_branch .LBB210_50
.LBB210_85:
	s_or_b32 exec_lo, exec_lo, s19
	s_ashr_i32 s25, s24, 31
	s_mov_b32 s4, exec_lo
	s_lshl_b64 s[0:1], s[24:25], 3
	s_delay_alu instid0(SALU_CYCLE_1) | instskip(SKIP_4) | instid1(SALU_CYCLE_1)
	s_add_u32 s0, s20, s0
	s_addc_u32 s1, s21, s1
	s_load_b128 s[0:3], s[0:1], 0x0
	s_waitcnt lgkmcnt(0)
	s_sub_i32 s3, s2, s0
	v_cmpx_gt_i32_e64 s3, v0
	s_cbranch_execz .LBB210_95
; %bb.86:
	s_sub_u32 s4, s0, s18
	s_subb_u32 s5, s1, 0
	s_sub_i32 s0, s0, s2
	s_and_b32 s1, s3, 7
	s_cmp_lt_u32 s0, -7
	s_mov_b32 s8, 0
	s_cselect_b32 s2, -1, 0
	s_and_b32 s6, s3, -8
	s_cmp_lg_u32 s1, 0
	s_cselect_b32 s7, -1, 0
	s_branch .LBB210_88
.LBB210_87:                             ;   in Loop: Header=BB210_88 Depth=1
	s_delay_alu instid0(VALU_DEP_1) | instskip(SKIP_4) | instid1(VALU_DEP_4)
	v_lshlrev_b64 v[6:7], 2, v[3:4]
	v_lshlrev_b64 v[3:4], 3, v[3:4]
	v_add_nc_u32_e32 v0, 0x400, v0
	s_waitcnt lgkmcnt(1)
	v_add_nc_u32_e32 v8, s18, v5
	v_add_co_u32 v5, vcc_lo, s22, v6
	v_add_co_ci_u32_e32 v6, vcc_lo, s23, v7, vcc_lo
	v_cmp_le_i32_e32 vcc_lo, s3, v0
	v_add_co_u32 v3, s0, s16, v3
	s_delay_alu instid0(VALU_DEP_1)
	v_add_co_ci_u32_e64 v4, s0, s17, v4, s0
	s_or_b32 s8, vcc_lo, s8
	global_store_b32 v[5:6], v8, off
	s_waitcnt lgkmcnt(0)
	global_store_b64 v[3:4], v[1:2], off
	s_and_not1_b32 exec_lo, exec_lo, s8
	s_cbranch_execz .LBB210_95
.LBB210_88:                             ; =>This Loop Header: Depth=1
                                        ;     Child Loop BB210_90 Depth 2
                                        ;     Child Loop BB210_94 Depth 2
	v_lshlrev_b32_e32 v1, 2, v0
	v_dual_mov_b32 v3, s4 :: v_dual_mov_b32 v4, s5
	s_and_not1_b32 vcc_lo, exec_lo, s2
	s_mov_b32 s0, 0
	s_delay_alu instid0(VALU_DEP_2) | instskip(NEXT) | instid1(VALU_DEP_1)
	v_add_nc_u32_e32 v2, 0, v1
	v_add_nc_u32_e32 v1, v2, v1
	ds_load_b32 v5, v2
	ds_load_b64 v[1:2], v1 offset:32768
	s_cbranch_vccnz .LBB210_92
; %bb.89:                               ;   in Loop: Header=BB210_88 Depth=1
	v_dual_mov_b32 v3, s4 :: v_dual_mov_b32 v4, s5
	s_mov_b32 s9, 0
	s_mov_b32 s10, 0
.LBB210_90:                             ;   Parent Loop BB210_88 Depth=1
                                        ; =>  This Inner Loop Header: Depth=2
	s_delay_alu instid0(SALU_CYCLE_1)
	v_mov_b32_e32 v12, s10
	s_add_i32 s9, s9, 8
	s_add_i32 s10, s10, 32
	s_cmp_eq_u32 s6, s9
	ds_load_2addr_b32 v[6:7], v12 offset1:1
	ds_load_2addr_b32 v[8:9], v12 offset0:2 offset1:3
	ds_load_2addr_b32 v[10:11], v12 offset0:4 offset1:5
	;; [unrolled: 1-line block ×3, first 2 shown]
	s_waitcnt lgkmcnt(3)
	v_cmp_gt_i32_e32 vcc_lo, v5, v6
	v_cndmask_b32_e64 v6, 0, 1, vcc_lo
	v_cmp_gt_i32_e32 vcc_lo, v5, v7
	v_cndmask_b32_e64 v7, 0, 1, vcc_lo
	s_waitcnt lgkmcnt(2)
	v_cmp_gt_i32_e32 vcc_lo, v5, v8
	v_cndmask_b32_e64 v8, 0, 1, vcc_lo
	v_cmp_gt_i32_e32 vcc_lo, v5, v9
	v_cndmask_b32_e64 v9, 0, 1, vcc_lo
	s_waitcnt lgkmcnt(1)
	v_cmp_gt_i32_e32 vcc_lo, v5, v10
	v_cndmask_b32_e64 v10, 0, 1, vcc_lo
	v_add_co_u32 v3, vcc_lo, v3, v6
	v_add_co_ci_u32_e32 v4, vcc_lo, 0, v4, vcc_lo
	v_cmp_gt_i32_e32 vcc_lo, v5, v11
	s_delay_alu instid0(VALU_DEP_3) | instskip(NEXT) | instid1(VALU_DEP_1)
	v_add_co_u32 v3, s0, v3, v7
	v_add_co_ci_u32_e64 v4, s0, 0, v4, s0
	v_cndmask_b32_e64 v6, 0, 1, vcc_lo
	s_delay_alu instid0(VALU_DEP_3) | instskip(NEXT) | instid1(VALU_DEP_3)
	v_add_co_u32 v3, vcc_lo, v3, v8
	v_add_co_ci_u32_e32 v4, vcc_lo, 0, v4, vcc_lo
	s_waitcnt lgkmcnt(0)
	v_cmp_gt_i32_e32 vcc_lo, v5, v12
	s_delay_alu instid0(VALU_DEP_3) | instskip(NEXT) | instid1(VALU_DEP_1)
	v_add_co_u32 v3, s0, v3, v9
	v_add_co_ci_u32_e64 v4, s0, 0, v4, s0
	v_cndmask_b32_e64 v7, 0, 1, vcc_lo
	s_delay_alu instid0(VALU_DEP_3) | instskip(NEXT) | instid1(VALU_DEP_3)
	v_add_co_u32 v3, vcc_lo, v3, v10
	v_add_co_ci_u32_e32 v4, vcc_lo, 0, v4, vcc_lo
	v_cmp_gt_i32_e32 vcc_lo, v5, v13
	s_delay_alu instid0(VALU_DEP_3) | instskip(NEXT) | instid1(VALU_DEP_1)
	v_add_co_u32 v3, s0, v3, v6
	v_add_co_ci_u32_e64 v4, s0, 0, v4, s0
	v_cndmask_b32_e64 v6, 0, 1, vcc_lo
	s_delay_alu instid0(VALU_DEP_3) | instskip(NEXT) | instid1(VALU_DEP_3)
	v_add_co_u32 v3, vcc_lo, v3, v7
	v_add_co_ci_u32_e32 v4, vcc_lo, 0, v4, vcc_lo
	s_delay_alu instid0(VALU_DEP_2) | instskip(NEXT) | instid1(VALU_DEP_2)
	v_add_co_u32 v3, vcc_lo, v3, v6
	v_add_co_ci_u32_e32 v4, vcc_lo, 0, v4, vcc_lo
	s_cbranch_scc0 .LBB210_90
; %bb.91:                               ;   in Loop: Header=BB210_88 Depth=1
	s_mov_b32 s0, s6
.LBB210_92:                             ;   in Loop: Header=BB210_88 Depth=1
	s_and_not1_b32 vcc_lo, exec_lo, s7
	s_cbranch_vccnz .LBB210_87
; %bb.93:                               ;   in Loop: Header=BB210_88 Depth=1
	s_lshl_b32 s0, s0, 2
	s_mov_b32 s9, s1
	s_add_i32 s0, s0, 0
.LBB210_94:                             ;   Parent Loop BB210_88 Depth=1
                                        ; =>  This Inner Loop Header: Depth=2
	s_delay_alu instid0(SALU_CYCLE_1)
	v_mov_b32_e32 v6, s0
	s_add_i32 s9, s9, -1
	s_add_i32 s0, s0, 4
	s_cmp_lg_u32 s9, 0
	ds_load_b32 v6, v6
	s_waitcnt lgkmcnt(0)
	v_cmp_gt_i32_e32 vcc_lo, v5, v6
	v_cndmask_b32_e64 v6, 0, 1, vcc_lo
	s_delay_alu instid0(VALU_DEP_1)
	v_add_co_u32 v3, vcc_lo, v3, v6
	v_add_co_ci_u32_e32 v4, vcc_lo, 0, v4, vcc_lo
	s_cbranch_scc1 .LBB210_94
	s_branch .LBB210_87
.LBB210_95:
	s_nop 0
	s_sendmsg sendmsg(MSG_DEALLOC_VGPRS)
	s_endpgm
	.section	.rodata,"a",@progbits
	.p2align	6, 0x0
	.amdhsa_kernel _ZN9rocsparseL26csrgemm_fill_block_per_rowILj1024ELj64ELj8192ELj137ELj64ElidEEvT5_PKS1_S3_NS_24const_host_device_scalarIT6_EEPKT4_S3_PKS5_S9_S3_SB_S6_S9_S3_SB_S9_PS1_PS5_21rocsparse_index_base_SE_SE_SE_bbb
		.amdhsa_group_segment_fixed_size 0
		.amdhsa_private_segment_fixed_size 0
		.amdhsa_kernarg_size 156
		.amdhsa_user_sgpr_count 15
		.amdhsa_user_sgpr_dispatch_ptr 0
		.amdhsa_user_sgpr_queue_ptr 0
		.amdhsa_user_sgpr_kernarg_segment_ptr 1
		.amdhsa_user_sgpr_dispatch_id 0
		.amdhsa_user_sgpr_private_segment_size 0
		.amdhsa_wavefront_size32 1
		.amdhsa_uses_dynamic_stack 0
		.amdhsa_enable_private_segment 0
		.amdhsa_system_sgpr_workgroup_id_x 1
		.amdhsa_system_sgpr_workgroup_id_y 0
		.amdhsa_system_sgpr_workgroup_id_z 0
		.amdhsa_system_sgpr_workgroup_info 0
		.amdhsa_system_vgpr_workitem_id 0
		.amdhsa_next_free_vgpr 27
		.amdhsa_next_free_sgpr 44
		.amdhsa_reserve_vcc 1
		.amdhsa_float_round_mode_32 0
		.amdhsa_float_round_mode_16_64 0
		.amdhsa_float_denorm_mode_32 3
		.amdhsa_float_denorm_mode_16_64 3
		.amdhsa_dx10_clamp 1
		.amdhsa_ieee_mode 1
		.amdhsa_fp16_overflow 0
		.amdhsa_workgroup_processor_mode 1
		.amdhsa_memory_ordered 1
		.amdhsa_forward_progress 0
		.amdhsa_shared_vgpr_count 0
		.amdhsa_exception_fp_ieee_invalid_op 0
		.amdhsa_exception_fp_denorm_src 0
		.amdhsa_exception_fp_ieee_div_zero 0
		.amdhsa_exception_fp_ieee_overflow 0
		.amdhsa_exception_fp_ieee_underflow 0
		.amdhsa_exception_fp_ieee_inexact 0
		.amdhsa_exception_int_div_zero 0
	.end_amdhsa_kernel
	.section	.text._ZN9rocsparseL26csrgemm_fill_block_per_rowILj1024ELj64ELj8192ELj137ELj64ElidEEvT5_PKS1_S3_NS_24const_host_device_scalarIT6_EEPKT4_S3_PKS5_S9_S3_SB_S6_S9_S3_SB_S9_PS1_PS5_21rocsparse_index_base_SE_SE_SE_bbb,"axG",@progbits,_ZN9rocsparseL26csrgemm_fill_block_per_rowILj1024ELj64ELj8192ELj137ELj64ElidEEvT5_PKS1_S3_NS_24const_host_device_scalarIT6_EEPKT4_S3_PKS5_S9_S3_SB_S6_S9_S3_SB_S9_PS1_PS5_21rocsparse_index_base_SE_SE_SE_bbb,comdat
.Lfunc_end210:
	.size	_ZN9rocsparseL26csrgemm_fill_block_per_rowILj1024ELj64ELj8192ELj137ELj64ElidEEvT5_PKS1_S3_NS_24const_host_device_scalarIT6_EEPKT4_S3_PKS5_S9_S3_SB_S6_S9_S3_SB_S9_PS1_PS5_21rocsparse_index_base_SE_SE_SE_bbb, .Lfunc_end210-_ZN9rocsparseL26csrgemm_fill_block_per_rowILj1024ELj64ELj8192ELj137ELj64ElidEEvT5_PKS1_S3_NS_24const_host_device_scalarIT6_EEPKT4_S3_PKS5_S9_S3_SB_S6_S9_S3_SB_S9_PS1_PS5_21rocsparse_index_base_SE_SE_SE_bbb
                                        ; -- End function
	.section	.AMDGPU.csdata,"",@progbits
; Kernel info:
; codeLenInByte = 4056
; NumSgprs: 46
; NumVgprs: 27
; ScratchSize: 0
; MemoryBound: 0
; FloatMode: 240
; IeeeMode: 1
; LDSByteSize: 0 bytes/workgroup (compile time only)
; SGPRBlocks: 5
; VGPRBlocks: 3
; NumSGPRsForWavesPerEU: 46
; NumVGPRsForWavesPerEU: 27
; Occupancy: 16
; WaveLimiterHint : 1
; COMPUTE_PGM_RSRC2:SCRATCH_EN: 0
; COMPUTE_PGM_RSRC2:USER_SGPR: 15
; COMPUTE_PGM_RSRC2:TRAP_HANDLER: 0
; COMPUTE_PGM_RSRC2:TGID_X_EN: 1
; COMPUTE_PGM_RSRC2:TGID_Y_EN: 0
; COMPUTE_PGM_RSRC2:TGID_Z_EN: 0
; COMPUTE_PGM_RSRC2:TIDIG_COMP_CNT: 0
	.section	.text._ZN9rocsparseL26csrgemm_fill_block_per_rowILj1024ELj64ELj16384ELj137ELj32ElidEEvT5_PKS1_S3_NS_24const_host_device_scalarIT6_EEPKT4_S3_PKS5_S9_S3_SB_S6_S9_S3_SB_S9_PS1_PS5_21rocsparse_index_base_SE_SE_SE_bbb,"axG",@progbits,_ZN9rocsparseL26csrgemm_fill_block_per_rowILj1024ELj64ELj16384ELj137ELj32ElidEEvT5_PKS1_S3_NS_24const_host_device_scalarIT6_EEPKT4_S3_PKS5_S9_S3_SB_S6_S9_S3_SB_S9_PS1_PS5_21rocsparse_index_base_SE_SE_SE_bbb,comdat
	.globl	_ZN9rocsparseL26csrgemm_fill_block_per_rowILj1024ELj64ELj16384ELj137ELj32ElidEEvT5_PKS1_S3_NS_24const_host_device_scalarIT6_EEPKT4_S3_PKS5_S9_S3_SB_S6_S9_S3_SB_S9_PS1_PS5_21rocsparse_index_base_SE_SE_SE_bbb ; -- Begin function _ZN9rocsparseL26csrgemm_fill_block_per_rowILj1024ELj64ELj16384ELj137ELj32ElidEEvT5_PKS1_S3_NS_24const_host_device_scalarIT6_EEPKT4_S3_PKS5_S9_S3_SB_S6_S9_S3_SB_S9_PS1_PS5_21rocsparse_index_base_SE_SE_SE_bbb
	.p2align	8
	.type	_ZN9rocsparseL26csrgemm_fill_block_per_rowILj1024ELj64ELj16384ELj137ELj32ElidEEvT5_PKS1_S3_NS_24const_host_device_scalarIT6_EEPKT4_S3_PKS5_S9_S3_SB_S6_S9_S3_SB_S9_PS1_PS5_21rocsparse_index_base_SE_SE_SE_bbb,@function
_ZN9rocsparseL26csrgemm_fill_block_per_rowILj1024ELj64ELj16384ELj137ELj32ElidEEvT5_PKS1_S3_NS_24const_host_device_scalarIT6_EEPKT4_S3_PKS5_S9_S3_SB_S6_S9_S3_SB_S9_PS1_PS5_21rocsparse_index_base_SE_SE_SE_bbb: ; @_ZN9rocsparseL26csrgemm_fill_block_per_rowILj1024ELj64ELj16384ELj137ELj32ElidEEvT5_PKS1_S3_NS_24const_host_device_scalarIT6_EEPKT4_S3_PKS5_S9_S3_SB_S6_S9_S3_SB_S9_PS1_PS5_21rocsparse_index_base_SE_SE_SE_bbb
; %bb.0:
	s_clause 0x3
	s_load_b32 s12, s[0:1], 0x98
	s_load_b64 s[4:5], s[0:1], 0x18
	s_load_b128 s[44:47], s[0:1], 0x88
	s_load_b64 s[2:3], s[0:1], 0x50
	s_waitcnt lgkmcnt(0)
	s_and_b32 s6, 1, s12
	s_bitcmp1_b32 s12, 16
	s_cselect_b32 s14, -1, 0
	s_cmp_eq_u32 s6, 1
	s_cselect_b32 s13, -1, 0
	s_delay_alu instid0(SALU_CYCLE_1)
	s_and_b32 s6, s13, exec_lo
	s_cselect_b32 s7, s5, 0
	s_cselect_b32 s6, s4, 0
	s_xor_b32 s8, s13, -1
	v_dual_mov_b32 v3, s6 :: v_dual_mov_b32 v4, s7
	s_or_b32 s8, s8, s14
	s_delay_alu instid0(SALU_CYCLE_1)
	s_and_b32 vcc_lo, exec_lo, s8
	s_cbranch_vccnz .LBB211_2
; %bb.1:
	v_dual_mov_b32 v1, s4 :: v_dual_mov_b32 v2, s5
	flat_load_b64 v[3:4], v[1:2]
.LBB211_2:
	s_clause 0x4
	s_load_b128 s[48:51], s[0:1], 0x78
	s_load_b256 s[36:43], s[0:1], 0x58
	s_load_b128 s[16:19], s[0:1], 0x40
	s_load_b128 s[20:23], s[0:1], 0x8
	s_load_b256 s[4:11], s[0:1], 0x20
	s_bitcmp1_b32 s12, 8
	s_cselect_b32 s12, -1, 0
	s_delay_alu instid0(SALU_CYCLE_1)
	s_and_b32 s24, s12, exec_lo
	s_cselect_b32 s25, s3, 0
	s_cselect_b32 s24, s2, 0
	s_xor_b32 s26, s12, -1
	v_dual_mov_b32 v1, s24 :: v_dual_mov_b32 v2, s25
	s_or_b32 s14, s26, s14
	s_delay_alu instid0(SALU_CYCLE_1)
	s_and_b32 vcc_lo, exec_lo, s14
	s_cbranch_vccnz .LBB211_4
; %bb.3:
	v_dual_mov_b32 v1, s2 :: v_dual_mov_b32 v2, s3
	flat_load_b64 v[1:2], v[1:2]
.LBB211_4:
	s_load_b32 s33, s[0:1], 0x0
	v_dual_mov_b32 v5, 0 :: v_dual_lshlrev_b32 v6, 3, v0
	v_lshl_add_u32 v17, v0, 2, 0
	v_or_b32_e32 v19, 0xfffffc00, v0
	s_mov_b32 s0, 0
	s_delay_alu instid0(VALU_DEP_3) | instskip(SKIP_1) | instid1(VALU_DEP_3)
	v_add3_u32 v18, v6, 0, 0x10000
	v_mov_b32_e32 v6, v5
	v_dual_mov_b32 v7, v17 :: v_dual_mov_b32 v10, v19
	s_waitcnt lgkmcnt(0)
	s_delay_alu instid0(VALU_DEP_3)
	v_dual_mov_b32 v8, v18 :: v_dual_mov_b32 v9, s33
.LBB211_5:                              ; =>This Inner Loop Header: Depth=1
	s_delay_alu instid0(VALU_DEP_2)
	v_add_nc_u32_e32 v10, 0x400, v10
	ds_store_b32 v7, v9
	ds_store_b64 v8, v[5:6]
	v_add_nc_u32_e32 v8, 0x2000, v8
	v_add_nc_u32_e32 v7, 0x1000, v7
	v_cmp_lt_u32_e32 vcc_lo, 0x3bff, v10
	s_or_b32 s0, vcc_lo, s0
	s_delay_alu instid0(SALU_CYCLE_1)
	s_and_not1_b32 exec_lo, exec_lo, s0
	s_cbranch_execnz .LBB211_5
; %bb.6:
	s_or_b32 exec_lo, exec_lo, s0
	s_waitcnt vmcnt(0) lgkmcnt(0)
	s_barrier
	buffer_gl0_inv
	s_load_b32 s0, s[20:21], 0x0
	s_mov_b32 s1, 0
	s_waitcnt lgkmcnt(0)
	s_add_i32 s0, s0, s15
	s_delay_alu instid0(SALU_CYCLE_1) | instskip(NEXT) | instid1(SALU_CYCLE_1)
	s_lshl_b64 s[0:1], s[0:1], 2
	s_add_u32 s0, s22, s0
	s_addc_u32 s1, s23, s1
	s_and_b32 vcc_lo, exec_lo, s13
	s_load_b32 s34, s[0:1], 0x0
	s_cbranch_vccz .LBB211_30
; %bb.7:
	s_waitcnt lgkmcnt(0)
	s_ashr_i32 s35, s34, 31
	v_lshrrev_b32_e32 v5, 6, v0
	s_lshl_b64 s[0:1], s[34:35], 3
	s_delay_alu instid0(SALU_CYCLE_1) | instskip(SKIP_1) | instid1(VALU_DEP_1)
	s_add_u32 s0, s4, s0
	s_addc_u32 s1, s5, s1
	v_sub_co_u32 v5, s4, v5, s44
	s_load_b128 s[0:3], s[0:1], 0x0
	v_sub_co_ci_u32_e64 v6, null, 0, 0, s4
	s_waitcnt lgkmcnt(0)
	s_delay_alu instid0(VALU_DEP_2) | instskip(NEXT) | instid1(VALU_DEP_2)
	v_add_co_u32 v5, vcc_lo, s0, v5
	v_add_co_ci_u32_e32 v6, vcc_lo, s1, v6, vcc_lo
	s_sub_u32 s0, s2, s44
	s_subb_u32 s1, s3, 0
	s_mov_b32 s2, exec_lo
	s_delay_alu instid0(VALU_DEP_1)
	v_cmpx_gt_i64_e64 s[0:1], v[5:6]
	s_cbranch_execz .LBB211_29
; %bb.8:
	v_and_b32_e32 v7, 63, v0
	s_mov_b32 s4, s45
	s_delay_alu instid0(VALU_DEP_1) | instskip(NEXT) | instid1(VALU_DEP_1)
	v_sub_co_u32 v20, s3, v7, s45
	v_sub_co_ci_u32_e64 v21, null, 0, 0, s3
	s_mov_b32 s3, 0
	s_branch .LBB211_10
.LBB211_9:                              ;   in Loop: Header=BB211_10 Depth=1
	s_or_b32 exec_lo, exec_lo, s5
	v_add_co_u32 v5, vcc_lo, v5, 16
	v_add_co_ci_u32_e32 v6, vcc_lo, 0, v6, vcc_lo
	s_delay_alu instid0(VALU_DEP_1) | instskip(SKIP_1) | instid1(SALU_CYCLE_1)
	v_cmp_le_i64_e32 vcc_lo, s[0:1], v[5:6]
	s_or_b32 s3, vcc_lo, s3
	s_and_not1_b32 exec_lo, exec_lo, s3
	s_cbranch_execz .LBB211_29
.LBB211_10:                             ; =>This Loop Header: Depth=1
                                        ;     Child Loop BB211_13 Depth 2
                                        ;       Child Loop BB211_15 Depth 3
                                        ;         Child Loop BB211_21 Depth 4
                                        ;         Child Loop BB211_27 Depth 4
	v_lshlrev_b64 v[7:8], 2, v[5:6]
	s_mov_b32 s5, exec_lo
	s_delay_alu instid0(VALU_DEP_1) | instskip(NEXT) | instid1(VALU_DEP_2)
	v_add_co_u32 v7, vcc_lo, s6, v7
	v_add_co_ci_u32_e32 v8, vcc_lo, s7, v8, vcc_lo
	global_load_b32 v7, v[7:8], off
	s_waitcnt vmcnt(0)
	v_subrev_nc_u32_e32 v7, s44, v7
	s_delay_alu instid0(VALU_DEP_1) | instskip(NEXT) | instid1(VALU_DEP_1)
	v_ashrrev_i32_e32 v8, 31, v7
	v_lshlrev_b64 v[7:8], 3, v[7:8]
	s_delay_alu instid0(VALU_DEP_1) | instskip(NEXT) | instid1(VALU_DEP_2)
	v_add_co_u32 v7, vcc_lo, s10, v7
	v_add_co_ci_u32_e32 v8, vcc_lo, s11, v8, vcc_lo
	global_load_b128 v[9:12], v[7:8], off
	s_waitcnt vmcnt(0)
	v_sub_co_u32 v7, vcc_lo, v11, s4
	v_subrev_co_ci_u32_e32 v8, vcc_lo, 0, v12, vcc_lo
	v_add_co_u32 v9, vcc_lo, v9, v20
	v_add_co_ci_u32_e32 v10, vcc_lo, v10, v21, vcc_lo
	s_delay_alu instid0(VALU_DEP_1)
	v_cmpx_lt_i64_e64 v[9:10], v[7:8]
	s_cbranch_execz .LBB211_9
; %bb.11:                               ;   in Loop: Header=BB211_10 Depth=1
	v_lshlrev_b64 v[11:12], 3, v[5:6]
	s_mov_b32 s13, 0
	s_delay_alu instid0(VALU_DEP_1) | instskip(NEXT) | instid1(VALU_DEP_2)
	v_add_co_u32 v11, vcc_lo, s8, v11
	v_add_co_ci_u32_e32 v12, vcc_lo, s9, v12, vcc_lo
	global_load_b64 v[11:12], v[11:12], off
	s_waitcnt vmcnt(0)
	v_mul_f64 v[11:12], v[3:4], v[11:12]
	s_branch .LBB211_13
.LBB211_12:                             ;   in Loop: Header=BB211_13 Depth=2
	s_or_b32 exec_lo, exec_lo, s14
	v_add_co_u32 v9, vcc_lo, v9, 64
	v_add_co_ci_u32_e32 v10, vcc_lo, 0, v10, vcc_lo
	s_delay_alu instid0(VALU_DEP_1) | instskip(SKIP_1) | instid1(SALU_CYCLE_1)
	v_cmp_ge_i64_e32 vcc_lo, v[9:10], v[7:8]
	s_or_b32 s13, vcc_lo, s13
	s_and_not1_b32 exec_lo, exec_lo, s13
	s_cbranch_execz .LBB211_9
.LBB211_13:                             ;   Parent Loop BB211_10 Depth=1
                                        ; =>  This Loop Header: Depth=2
                                        ;       Child Loop BB211_15 Depth 3
                                        ;         Child Loop BB211_21 Depth 4
                                        ;         Child Loop BB211_27 Depth 4
	v_lshlrev_b64 v[13:14], 3, v[9:10]
	v_lshlrev_b64 v[15:16], 2, v[9:10]
	s_mov_b32 s14, 0
	s_delay_alu instid0(VALU_DEP_2) | instskip(NEXT) | instid1(VALU_DEP_3)
	v_add_co_u32 v13, vcc_lo, s18, v13
	v_add_co_ci_u32_e32 v14, vcc_lo, s19, v14, vcc_lo
	s_delay_alu instid0(VALU_DEP_3) | instskip(NEXT) | instid1(VALU_DEP_4)
	v_add_co_u32 v15, vcc_lo, s16, v15
	v_add_co_ci_u32_e32 v16, vcc_lo, s17, v16, vcc_lo
	global_load_b64 v[13:14], v[13:14], off
	global_load_b32 v15, v[15:16], off
	s_waitcnt vmcnt(1)
	v_mul_f64 v[13:14], v[11:12], v[13:14]
	s_waitcnt vmcnt(0)
	v_subrev_nc_u32_e32 v22, s45, v15
	s_delay_alu instid0(VALU_DEP_1) | instskip(NEXT) | instid1(VALU_DEP_1)
	v_mul_lo_u32 v15, 0x89, v22
	v_and_b32_e32 v23, 0x3fff, v15
	s_branch .LBB211_15
.LBB211_14:                             ;   in Loop: Header=BB211_15 Depth=3
	s_or_b32 exec_lo, exec_lo, s15
	s_xor_b32 s15, s20, -1
	s_delay_alu instid0(SALU_CYCLE_1) | instskip(NEXT) | instid1(SALU_CYCLE_1)
	s_and_b32 s15, exec_lo, s15
	s_or_b32 s14, s15, s14
	s_delay_alu instid0(SALU_CYCLE_1)
	s_and_not1_b32 exec_lo, exec_lo, s14
	s_cbranch_execz .LBB211_12
.LBB211_15:                             ;   Parent Loop BB211_10 Depth=1
                                        ;     Parent Loop BB211_13 Depth=2
                                        ; =>    This Loop Header: Depth=3
                                        ;         Child Loop BB211_21 Depth 4
                                        ;         Child Loop BB211_27 Depth 4
	s_delay_alu instid0(VALU_DEP_1)
	v_lshl_add_u32 v15, v23, 2, 0
	s_mov_b32 s15, exec_lo
                                        ; implicit-def: $sgpr20
	ds_load_b32 v16, v15
	s_waitcnt lgkmcnt(0)
	v_cmpx_ne_u32_e64 v16, v22
	s_xor_b32 s15, exec_lo, s15
	s_cbranch_execz .LBB211_25
; %bb.16:                               ;   in Loop: Header=BB211_15 Depth=3
	s_mov_b32 s21, exec_lo
                                        ; implicit-def: $sgpr20
	v_cmpx_ne_u32_e64 s33, v16
	s_xor_b32 s21, exec_lo, s21
; %bb.17:                               ;   in Loop: Header=BB211_15 Depth=3
	v_add_nc_u32_e32 v15, 1, v23
	s_mov_b32 s20, -1
	s_delay_alu instid0(VALU_DEP_1)
	v_and_b32_e32 v23, 0x3fff, v15
                                        ; implicit-def: $vgpr15
; %bb.18:                               ;   in Loop: Header=BB211_15 Depth=3
	s_and_not1_saveexec_b32 s21, s21
	s_cbranch_execz .LBB211_24
; %bb.19:                               ;   in Loop: Header=BB211_15 Depth=3
	v_mov_b32_e32 v16, s33
	s_mov_b32 s23, -1
	s_mov_b32 s22, exec_lo
	ds_cmpstore_rtn_b32 v15, v15, v22, v16
	s_waitcnt lgkmcnt(0)
	v_cmpx_eq_u32_e64 s33, v15
	s_cbranch_execz .LBB211_23
; %bb.20:                               ;   in Loop: Header=BB211_15 Depth=3
	v_lshlrev_b32_e32 v15, 3, v23
	s_mov_b32 s23, 0
	s_delay_alu instid0(VALU_DEP_1)
	v_add3_u32 v24, 0, v15, 0x10000
	ds_load_b64 v[15:16], v24
.LBB211_21:                             ;   Parent Loop BB211_10 Depth=1
                                        ;     Parent Loop BB211_13 Depth=2
                                        ;       Parent Loop BB211_15 Depth=3
                                        ; =>      This Inner Loop Header: Depth=4
	s_waitcnt lgkmcnt(0)
	v_add_f64 v[25:26], v[15:16], v[13:14]
	ds_cmpstore_rtn_b64 v[25:26], v24, v[25:26], v[15:16]
	s_waitcnt lgkmcnt(0)
	v_cmp_eq_u64_e32 vcc_lo, v[25:26], v[15:16]
	v_dual_mov_b32 v15, v25 :: v_dual_mov_b32 v16, v26
	s_or_b32 s23, vcc_lo, s23
	s_delay_alu instid0(SALU_CYCLE_1)
	s_and_not1_b32 exec_lo, exec_lo, s23
	s_cbranch_execnz .LBB211_21
; %bb.22:                               ;   in Loop: Header=BB211_15 Depth=3
	s_or_b32 exec_lo, exec_lo, s23
	s_delay_alu instid0(SALU_CYCLE_1)
	s_xor_b32 s23, exec_lo, -1
.LBB211_23:                             ;   in Loop: Header=BB211_15 Depth=3
	s_or_b32 exec_lo, exec_lo, s22
	s_delay_alu instid0(SALU_CYCLE_1) | instskip(SKIP_1) | instid1(SALU_CYCLE_1)
	s_and_not1_b32 s20, s20, exec_lo
	s_and_b32 s22, s23, exec_lo
	s_or_b32 s20, s20, s22
.LBB211_24:                             ;   in Loop: Header=BB211_15 Depth=3
	s_or_b32 exec_lo, exec_lo, s21
	s_delay_alu instid0(SALU_CYCLE_1)
	s_and_b32 s20, s20, exec_lo
.LBB211_25:                             ;   in Loop: Header=BB211_15 Depth=3
	s_and_not1_saveexec_b32 s15, s15
	s_cbranch_execz .LBB211_14
; %bb.26:                               ;   in Loop: Header=BB211_15 Depth=3
	v_lshlrev_b32_e32 v15, 3, v23
	s_mov_b32 s21, 0
	s_delay_alu instid0(VALU_DEP_1)
	v_add3_u32 v24, 0, v15, 0x10000
	ds_load_b64 v[15:16], v24
.LBB211_27:                             ;   Parent Loop BB211_10 Depth=1
                                        ;     Parent Loop BB211_13 Depth=2
                                        ;       Parent Loop BB211_15 Depth=3
                                        ; =>      This Inner Loop Header: Depth=4
	s_waitcnt lgkmcnt(0)
	v_add_f64 v[25:26], v[15:16], v[13:14]
	ds_cmpstore_rtn_b64 v[25:26], v24, v[25:26], v[15:16]
	s_waitcnt lgkmcnt(0)
	v_cmp_eq_u64_e32 vcc_lo, v[25:26], v[15:16]
	v_dual_mov_b32 v15, v25 :: v_dual_mov_b32 v16, v26
	s_or_b32 s21, vcc_lo, s21
	s_delay_alu instid0(SALU_CYCLE_1)
	s_and_not1_b32 exec_lo, exec_lo, s21
	s_cbranch_execnz .LBB211_27
; %bb.28:                               ;   in Loop: Header=BB211_15 Depth=3
	s_or_b32 exec_lo, exec_lo, s21
	s_delay_alu instid0(SALU_CYCLE_1)
	s_and_not1_b32 s20, s20, exec_lo
	s_branch .LBB211_14
.LBB211_29:
	s_or_b32 exec_lo, exec_lo, s2
.LBB211_30:
	s_delay_alu instid0(SALU_CYCLE_1)
	s_and_not1_b32 vcc_lo, exec_lo, s12
	s_cbranch_vccnz .LBB211_33
; %bb.31:
	s_waitcnt lgkmcnt(0)
	s_ashr_i32 s35, s34, 31
	v_sub_co_u32 v3, s4, v0, s47
	s_lshl_b64 s[0:1], s[34:35], 3
	v_sub_co_ci_u32_e64 v4, null, 0, 0, s4
	s_add_u32 s0, s36, s0
	s_addc_u32 s1, s37, s1
	s_load_b128 s[0:3], s[0:1], 0x0
	s_waitcnt lgkmcnt(0)
	v_add_co_u32 v3, vcc_lo, s0, v3
	v_add_co_ci_u32_e32 v4, vcc_lo, s1, v4, vcc_lo
	s_sub_u32 s0, s2, s47
	s_subb_u32 s1, s3, 0
	s_mov_b32 s3, 0
	s_mov_b32 s2, exec_lo
	v_cmpx_gt_i64_e64 s[0:1], v[3:4]
	s_cbranch_execnz .LBB211_102
.LBB211_32:
	s_or_b32 exec_lo, exec_lo, s2
.LBB211_33:
	v_mbcnt_lo_u32_b32 v1, -1, 0
	v_lshrrev_b32_e32 v2, 3, v0
	s_add_i32 s70, 0, 0x3007c
	v_cmp_eq_u32_e32 vcc_lo, 0x3ff, v0
	v_cmp_lt_u32_e64 s0, 31, v0
	v_xor_b32_e32 v1, 63, v1
	v_dual_mov_b32 v6, s70 :: v_dual_and_b32 v3, 0x7c, v2
	v_cmp_lt_u32_e64 s1, 63, v0
	v_cmp_lt_u32_e64 s2, 0x5f, v0
	s_delay_alu instid0(VALU_DEP_4) | instskip(NEXT) | instid1(VALU_DEP_4)
	v_lshrrev_b64 v[1:2], v1, -1
	v_add3_u32 v4, 0, 0x30000, v3
	v_cmp_lt_u32_e64 s3, 0x7f, v0
	v_cmp_lt_u32_e64 s4, 0x9f, v0
	;; [unrolled: 1-line block ×28, first 2 shown]
	v_mov_b32_e32 v5, 0
	s_mov_b32 s35, 0
	s_add_i32 s36, 0, 0x30000
	s_add_i32 s37, 0, 0x30004
	;; [unrolled: 1-line block ×31, first 2 shown]
	s_waitcnt lgkmcnt(0)
	s_barrier
	buffer_gl0_inv
	s_branch .LBB211_35
.LBB211_34:                             ;   in Loop: Header=BB211_35 Depth=1
	s_or_b32 exec_lo, exec_lo, s31
	s_waitcnt lgkmcnt(0)
	s_barrier
	buffer_gl0_inv
	ds_load_b32 v2, v6
	v_add_nc_u32_e32 v19, 0x400, v19
	v_add_nc_u32_e32 v18, 0x2000, v18
	v_add_nc_u32_e32 v17, 0x1000, v17
	s_delay_alu instid0(VALU_DEP_3) | instskip(NEXT) | instid1(VALU_DEP_1)
	v_cmp_lt_u32_e64 s31, 0x3bff, v19
	s_or_b32 s35, s31, s35
	s_waitcnt lgkmcnt(0)
	v_add_nc_u32_e32 v5, v2, v5
	s_and_not1_b32 exec_lo, exec_lo, s35
	s_cbranch_execz .LBB211_118
.LBB211_35:                             ; =>This Inner Loop Header: Depth=1
	ds_load_b32 v7, v17
	ds_load_b64 v[2:3], v18
	s_waitcnt lgkmcnt(0)
	s_barrier
	buffer_gl0_inv
	v_cmp_gt_i32_e64 s31, s33, v7
	s_delay_alu instid0(VALU_DEP_1) | instskip(NEXT) | instid1(SALU_CYCLE_1)
	s_bcnt1_i32_b32 s75, s31
	v_dual_mov_b32 v9, s75 :: v_dual_and_b32 v8, s31, v1
	s_delay_alu instid0(VALU_DEP_1)
	v_bcnt_u32_b32 v8, v8, 0
	ds_store_b32 v4, v9
	s_waitcnt lgkmcnt(0)
	s_barrier
	buffer_gl0_inv
	s_and_saveexec_b32 s75, s0
	s_cbranch_execnz .LBB211_68
; %bb.36:                               ;   in Loop: Header=BB211_35 Depth=1
	s_or_b32 exec_lo, exec_lo, s75
	s_and_saveexec_b32 s75, s1
	s_cbranch_execnz .LBB211_69
.LBB211_37:                             ;   in Loop: Header=BB211_35 Depth=1
	s_or_b32 exec_lo, exec_lo, s75
	s_and_saveexec_b32 s75, s2
	s_cbranch_execnz .LBB211_70
.LBB211_38:                             ;   in Loop: Header=BB211_35 Depth=1
	s_or_b32 exec_lo, exec_lo, s75
	s_and_saveexec_b32 s75, s3
	s_cbranch_execnz .LBB211_71
.LBB211_39:                             ;   in Loop: Header=BB211_35 Depth=1
	s_or_b32 exec_lo, exec_lo, s75
	s_and_saveexec_b32 s75, s4
	s_cbranch_execnz .LBB211_72
.LBB211_40:                             ;   in Loop: Header=BB211_35 Depth=1
	s_or_b32 exec_lo, exec_lo, s75
	s_and_saveexec_b32 s75, s5
	s_cbranch_execnz .LBB211_73
.LBB211_41:                             ;   in Loop: Header=BB211_35 Depth=1
	s_or_b32 exec_lo, exec_lo, s75
	s_and_saveexec_b32 s75, s6
	s_cbranch_execnz .LBB211_74
.LBB211_42:                             ;   in Loop: Header=BB211_35 Depth=1
	s_or_b32 exec_lo, exec_lo, s75
	s_and_saveexec_b32 s75, s7
	s_cbranch_execnz .LBB211_75
.LBB211_43:                             ;   in Loop: Header=BB211_35 Depth=1
	s_or_b32 exec_lo, exec_lo, s75
	s_and_saveexec_b32 s75, s8
	s_cbranch_execnz .LBB211_76
.LBB211_44:                             ;   in Loop: Header=BB211_35 Depth=1
	s_or_b32 exec_lo, exec_lo, s75
	s_and_saveexec_b32 s75, s9
	s_cbranch_execnz .LBB211_77
.LBB211_45:                             ;   in Loop: Header=BB211_35 Depth=1
	s_or_b32 exec_lo, exec_lo, s75
	s_and_saveexec_b32 s75, s10
	s_cbranch_execnz .LBB211_78
.LBB211_46:                             ;   in Loop: Header=BB211_35 Depth=1
	s_or_b32 exec_lo, exec_lo, s75
	s_and_saveexec_b32 s75, s11
	s_cbranch_execnz .LBB211_79
.LBB211_47:                             ;   in Loop: Header=BB211_35 Depth=1
	s_or_b32 exec_lo, exec_lo, s75
	s_and_saveexec_b32 s75, s12
	s_cbranch_execnz .LBB211_80
.LBB211_48:                             ;   in Loop: Header=BB211_35 Depth=1
	s_or_b32 exec_lo, exec_lo, s75
	s_and_saveexec_b32 s75, s13
	s_cbranch_execnz .LBB211_81
.LBB211_49:                             ;   in Loop: Header=BB211_35 Depth=1
	s_or_b32 exec_lo, exec_lo, s75
	s_and_saveexec_b32 s75, s14
	s_cbranch_execnz .LBB211_82
.LBB211_50:                             ;   in Loop: Header=BB211_35 Depth=1
	s_or_b32 exec_lo, exec_lo, s75
	s_and_saveexec_b32 s75, s15
	s_cbranch_execnz .LBB211_83
.LBB211_51:                             ;   in Loop: Header=BB211_35 Depth=1
	s_or_b32 exec_lo, exec_lo, s75
	s_and_saveexec_b32 s75, s16
	s_cbranch_execnz .LBB211_84
.LBB211_52:                             ;   in Loop: Header=BB211_35 Depth=1
	s_or_b32 exec_lo, exec_lo, s75
	s_and_saveexec_b32 s75, s17
	s_cbranch_execnz .LBB211_85
.LBB211_53:                             ;   in Loop: Header=BB211_35 Depth=1
	s_or_b32 exec_lo, exec_lo, s75
	s_and_saveexec_b32 s75, s18
	s_cbranch_execnz .LBB211_86
.LBB211_54:                             ;   in Loop: Header=BB211_35 Depth=1
	s_or_b32 exec_lo, exec_lo, s75
	s_and_saveexec_b32 s75, s19
	s_cbranch_execnz .LBB211_87
.LBB211_55:                             ;   in Loop: Header=BB211_35 Depth=1
	s_or_b32 exec_lo, exec_lo, s75
	s_and_saveexec_b32 s75, s20
	s_cbranch_execnz .LBB211_88
.LBB211_56:                             ;   in Loop: Header=BB211_35 Depth=1
	s_or_b32 exec_lo, exec_lo, s75
	s_and_saveexec_b32 s75, s21
	s_cbranch_execnz .LBB211_89
.LBB211_57:                             ;   in Loop: Header=BB211_35 Depth=1
	s_or_b32 exec_lo, exec_lo, s75
	s_and_saveexec_b32 s75, s22
	s_cbranch_execnz .LBB211_90
.LBB211_58:                             ;   in Loop: Header=BB211_35 Depth=1
	s_or_b32 exec_lo, exec_lo, s75
	s_and_saveexec_b32 s75, s23
	s_cbranch_execnz .LBB211_91
.LBB211_59:                             ;   in Loop: Header=BB211_35 Depth=1
	s_or_b32 exec_lo, exec_lo, s75
	s_and_saveexec_b32 s75, s24
	s_cbranch_execnz .LBB211_92
.LBB211_60:                             ;   in Loop: Header=BB211_35 Depth=1
	s_or_b32 exec_lo, exec_lo, s75
	s_and_saveexec_b32 s75, s25
	s_cbranch_execnz .LBB211_93
.LBB211_61:                             ;   in Loop: Header=BB211_35 Depth=1
	s_or_b32 exec_lo, exec_lo, s75
	s_and_saveexec_b32 s75, s26
	s_cbranch_execnz .LBB211_94
.LBB211_62:                             ;   in Loop: Header=BB211_35 Depth=1
	s_or_b32 exec_lo, exec_lo, s75
	s_and_saveexec_b32 s75, s27
	s_cbranch_execnz .LBB211_95
.LBB211_63:                             ;   in Loop: Header=BB211_35 Depth=1
	s_or_b32 exec_lo, exec_lo, s75
	s_and_saveexec_b32 s75, s28
	s_cbranch_execnz .LBB211_96
.LBB211_64:                             ;   in Loop: Header=BB211_35 Depth=1
	s_or_b32 exec_lo, exec_lo, s75
	s_and_saveexec_b32 s75, s29
	s_cbranch_execnz .LBB211_97
.LBB211_65:                             ;   in Loop: Header=BB211_35 Depth=1
	s_or_b32 exec_lo, exec_lo, s75
	s_and_saveexec_b32 s75, s30
	s_cbranch_execnz .LBB211_98
.LBB211_66:                             ;   in Loop: Header=BB211_35 Depth=1
	s_or_b32 exec_lo, exec_lo, s75
	s_and_saveexec_b32 s75, s31
	s_cbranch_execnz .LBB211_99
.LBB211_67:                             ;   in Loop: Header=BB211_35 Depth=1
	s_or_b32 exec_lo, exec_lo, s75
	s_and_saveexec_b32 s31, vcc_lo
	s_cbranch_execz .LBB211_34
	s_branch .LBB211_100
.LBB211_68:                             ;   in Loop: Header=BB211_35 Depth=1
	v_mov_b32_e32 v9, s36
	ds_load_b32 v9, v9
	s_waitcnt lgkmcnt(0)
	v_add_nc_u32_e32 v8, v9, v8
	s_or_b32 exec_lo, exec_lo, s75
	s_and_saveexec_b32 s75, s1
	s_cbranch_execz .LBB211_37
.LBB211_69:                             ;   in Loop: Header=BB211_35 Depth=1
	v_mov_b32_e32 v9, s37
	ds_load_b32 v9, v9
	s_waitcnt lgkmcnt(0)
	v_add_nc_u32_e32 v8, v9, v8
	s_or_b32 exec_lo, exec_lo, s75
	s_and_saveexec_b32 s75, s2
	s_cbranch_execz .LBB211_38
.LBB211_70:                             ;   in Loop: Header=BB211_35 Depth=1
	v_mov_b32_e32 v9, s38
	ds_load_b32 v9, v9
	s_waitcnt lgkmcnt(0)
	v_add_nc_u32_e32 v8, v9, v8
	s_or_b32 exec_lo, exec_lo, s75
	s_and_saveexec_b32 s75, s3
	s_cbranch_execz .LBB211_39
.LBB211_71:                             ;   in Loop: Header=BB211_35 Depth=1
	v_mov_b32_e32 v9, s39
	ds_load_b32 v9, v9
	s_waitcnt lgkmcnt(0)
	v_add_nc_u32_e32 v8, v9, v8
	s_or_b32 exec_lo, exec_lo, s75
	s_and_saveexec_b32 s75, s4
	s_cbranch_execz .LBB211_40
.LBB211_72:                             ;   in Loop: Header=BB211_35 Depth=1
	v_mov_b32_e32 v9, s40
	ds_load_b32 v9, v9
	s_waitcnt lgkmcnt(0)
	v_add_nc_u32_e32 v8, v9, v8
	s_or_b32 exec_lo, exec_lo, s75
	s_and_saveexec_b32 s75, s5
	s_cbranch_execz .LBB211_41
.LBB211_73:                             ;   in Loop: Header=BB211_35 Depth=1
	v_mov_b32_e32 v9, s41
	ds_load_b32 v9, v9
	s_waitcnt lgkmcnt(0)
	v_add_nc_u32_e32 v8, v9, v8
	s_or_b32 exec_lo, exec_lo, s75
	s_and_saveexec_b32 s75, s6
	s_cbranch_execz .LBB211_42
.LBB211_74:                             ;   in Loop: Header=BB211_35 Depth=1
	v_mov_b32_e32 v9, s44
	ds_load_b32 v9, v9
	s_waitcnt lgkmcnt(0)
	v_add_nc_u32_e32 v8, v9, v8
	s_or_b32 exec_lo, exec_lo, s75
	s_and_saveexec_b32 s75, s7
	s_cbranch_execz .LBB211_43
.LBB211_75:                             ;   in Loop: Header=BB211_35 Depth=1
	v_mov_b32_e32 v9, s45
	ds_load_b32 v9, v9
	s_waitcnt lgkmcnt(0)
	v_add_nc_u32_e32 v8, v9, v8
	s_or_b32 exec_lo, exec_lo, s75
	s_and_saveexec_b32 s75, s8
	s_cbranch_execz .LBB211_44
.LBB211_76:                             ;   in Loop: Header=BB211_35 Depth=1
	v_mov_b32_e32 v9, s47
	ds_load_b32 v9, v9
	s_waitcnt lgkmcnt(0)
	v_add_nc_u32_e32 v8, v9, v8
	s_or_b32 exec_lo, exec_lo, s75
	s_and_saveexec_b32 s75, s9
	s_cbranch_execz .LBB211_45
.LBB211_77:                             ;   in Loop: Header=BB211_35 Depth=1
	v_mov_b32_e32 v9, s52
	ds_load_b32 v9, v9
	s_waitcnt lgkmcnt(0)
	v_add_nc_u32_e32 v8, v9, v8
	s_or_b32 exec_lo, exec_lo, s75
	s_and_saveexec_b32 s75, s10
	s_cbranch_execz .LBB211_46
.LBB211_78:                             ;   in Loop: Header=BB211_35 Depth=1
	v_mov_b32_e32 v9, s53
	ds_load_b32 v9, v9
	s_waitcnt lgkmcnt(0)
	v_add_nc_u32_e32 v8, v9, v8
	s_or_b32 exec_lo, exec_lo, s75
	s_and_saveexec_b32 s75, s11
	s_cbranch_execz .LBB211_47
.LBB211_79:                             ;   in Loop: Header=BB211_35 Depth=1
	v_mov_b32_e32 v9, s54
	ds_load_b32 v9, v9
	s_waitcnt lgkmcnt(0)
	v_add_nc_u32_e32 v8, v9, v8
	s_or_b32 exec_lo, exec_lo, s75
	s_and_saveexec_b32 s75, s12
	s_cbranch_execz .LBB211_48
.LBB211_80:                             ;   in Loop: Header=BB211_35 Depth=1
	v_mov_b32_e32 v9, s55
	ds_load_b32 v9, v9
	s_waitcnt lgkmcnt(0)
	v_add_nc_u32_e32 v8, v9, v8
	s_or_b32 exec_lo, exec_lo, s75
	s_and_saveexec_b32 s75, s13
	s_cbranch_execz .LBB211_49
.LBB211_81:                             ;   in Loop: Header=BB211_35 Depth=1
	v_mov_b32_e32 v9, s56
	ds_load_b32 v9, v9
	s_waitcnt lgkmcnt(0)
	v_add_nc_u32_e32 v8, v9, v8
	s_or_b32 exec_lo, exec_lo, s75
	s_and_saveexec_b32 s75, s14
	s_cbranch_execz .LBB211_50
.LBB211_82:                             ;   in Loop: Header=BB211_35 Depth=1
	v_mov_b32_e32 v9, s57
	ds_load_b32 v9, v9
	s_waitcnt lgkmcnt(0)
	v_add_nc_u32_e32 v8, v9, v8
	s_or_b32 exec_lo, exec_lo, s75
	s_and_saveexec_b32 s75, s15
	s_cbranch_execz .LBB211_51
.LBB211_83:                             ;   in Loop: Header=BB211_35 Depth=1
	v_mov_b32_e32 v9, s58
	ds_load_b32 v9, v9
	s_waitcnt lgkmcnt(0)
	v_add_nc_u32_e32 v8, v9, v8
	s_or_b32 exec_lo, exec_lo, s75
	s_and_saveexec_b32 s75, s16
	s_cbranch_execz .LBB211_52
.LBB211_84:                             ;   in Loop: Header=BB211_35 Depth=1
	v_mov_b32_e32 v9, s59
	ds_load_b32 v9, v9
	s_waitcnt lgkmcnt(0)
	v_add_nc_u32_e32 v8, v9, v8
	s_or_b32 exec_lo, exec_lo, s75
	s_and_saveexec_b32 s75, s17
	s_cbranch_execz .LBB211_53
.LBB211_85:                             ;   in Loop: Header=BB211_35 Depth=1
	v_mov_b32_e32 v9, s60
	ds_load_b32 v9, v9
	s_waitcnt lgkmcnt(0)
	v_add_nc_u32_e32 v8, v9, v8
	s_or_b32 exec_lo, exec_lo, s75
	s_and_saveexec_b32 s75, s18
	s_cbranch_execz .LBB211_54
.LBB211_86:                             ;   in Loop: Header=BB211_35 Depth=1
	v_mov_b32_e32 v9, s61
	ds_load_b32 v9, v9
	s_waitcnt lgkmcnt(0)
	v_add_nc_u32_e32 v8, v9, v8
	s_or_b32 exec_lo, exec_lo, s75
	s_and_saveexec_b32 s75, s19
	s_cbranch_execz .LBB211_55
.LBB211_87:                             ;   in Loop: Header=BB211_35 Depth=1
	v_mov_b32_e32 v9, s62
	ds_load_b32 v9, v9
	s_waitcnt lgkmcnt(0)
	v_add_nc_u32_e32 v8, v9, v8
	s_or_b32 exec_lo, exec_lo, s75
	s_and_saveexec_b32 s75, s20
	s_cbranch_execz .LBB211_56
.LBB211_88:                             ;   in Loop: Header=BB211_35 Depth=1
	v_mov_b32_e32 v9, s63
	ds_load_b32 v9, v9
	s_waitcnt lgkmcnt(0)
	v_add_nc_u32_e32 v8, v9, v8
	s_or_b32 exec_lo, exec_lo, s75
	s_and_saveexec_b32 s75, s21
	s_cbranch_execz .LBB211_57
.LBB211_89:                             ;   in Loop: Header=BB211_35 Depth=1
	v_mov_b32_e32 v9, s64
	ds_load_b32 v9, v9
	s_waitcnt lgkmcnt(0)
	v_add_nc_u32_e32 v8, v9, v8
	s_or_b32 exec_lo, exec_lo, s75
	s_and_saveexec_b32 s75, s22
	s_cbranch_execz .LBB211_58
.LBB211_90:                             ;   in Loop: Header=BB211_35 Depth=1
	v_mov_b32_e32 v9, s65
	ds_load_b32 v9, v9
	s_waitcnt lgkmcnt(0)
	v_add_nc_u32_e32 v8, v9, v8
	s_or_b32 exec_lo, exec_lo, s75
	s_and_saveexec_b32 s75, s23
	s_cbranch_execz .LBB211_59
.LBB211_91:                             ;   in Loop: Header=BB211_35 Depth=1
	v_mov_b32_e32 v9, s66
	ds_load_b32 v9, v9
	s_waitcnt lgkmcnt(0)
	v_add_nc_u32_e32 v8, v9, v8
	s_or_b32 exec_lo, exec_lo, s75
	s_and_saveexec_b32 s75, s24
	s_cbranch_execz .LBB211_60
.LBB211_92:                             ;   in Loop: Header=BB211_35 Depth=1
	v_mov_b32_e32 v9, s67
	ds_load_b32 v9, v9
	s_waitcnt lgkmcnt(0)
	v_add_nc_u32_e32 v8, v9, v8
	s_or_b32 exec_lo, exec_lo, s75
	s_and_saveexec_b32 s75, s25
	s_cbranch_execz .LBB211_61
.LBB211_93:                             ;   in Loop: Header=BB211_35 Depth=1
	v_mov_b32_e32 v9, s68
	ds_load_b32 v9, v9
	s_waitcnt lgkmcnt(0)
	v_add_nc_u32_e32 v8, v9, v8
	s_or_b32 exec_lo, exec_lo, s75
	s_and_saveexec_b32 s75, s26
	s_cbranch_execz .LBB211_62
.LBB211_94:                             ;   in Loop: Header=BB211_35 Depth=1
	v_mov_b32_e32 v9, s69
	ds_load_b32 v9, v9
	s_waitcnt lgkmcnt(0)
	v_add_nc_u32_e32 v8, v9, v8
	s_or_b32 exec_lo, exec_lo, s75
	s_and_saveexec_b32 s75, s27
	s_cbranch_execz .LBB211_63
.LBB211_95:                             ;   in Loop: Header=BB211_35 Depth=1
	v_mov_b32_e32 v9, s71
	ds_load_b32 v9, v9
	s_waitcnt lgkmcnt(0)
	v_add_nc_u32_e32 v8, v9, v8
	s_or_b32 exec_lo, exec_lo, s75
	s_and_saveexec_b32 s75, s28
	s_cbranch_execz .LBB211_64
.LBB211_96:                             ;   in Loop: Header=BB211_35 Depth=1
	v_mov_b32_e32 v9, s72
	ds_load_b32 v9, v9
	s_waitcnt lgkmcnt(0)
	v_add_nc_u32_e32 v8, v9, v8
	s_or_b32 exec_lo, exec_lo, s75
	s_and_saveexec_b32 s75, s29
	s_cbranch_execz .LBB211_65
.LBB211_97:                             ;   in Loop: Header=BB211_35 Depth=1
	v_mov_b32_e32 v9, s73
	ds_load_b32 v9, v9
	s_waitcnt lgkmcnt(0)
	v_add_nc_u32_e32 v8, v9, v8
	s_or_b32 exec_lo, exec_lo, s75
	s_and_saveexec_b32 s75, s30
	s_cbranch_execz .LBB211_66
.LBB211_98:                             ;   in Loop: Header=BB211_35 Depth=1
	v_mov_b32_e32 v9, s74
	ds_load_b32 v9, v9
	s_waitcnt lgkmcnt(0)
	v_add_nc_u32_e32 v8, v9, v8
	s_or_b32 exec_lo, exec_lo, s75
	s_and_saveexec_b32 s75, s31
	s_cbranch_execz .LBB211_67
.LBB211_99:                             ;   in Loop: Header=BB211_35 Depth=1
	s_delay_alu instid0(VALU_DEP_1) | instskip(NEXT) | instid1(VALU_DEP_1)
	v_add3_u32 v9, v5, -1, v8
	v_lshlrev_b32_e32 v10, 3, v9
	v_lshl_add_u32 v9, v9, 2, 0
	s_delay_alu instid0(VALU_DEP_2)
	v_add3_u32 v10, 0, v10, 0x10000
	ds_store_b32 v9, v7
	ds_store_b64 v10, v[2:3]
	s_or_b32 exec_lo, exec_lo, s75
	s_and_saveexec_b32 s31, vcc_lo
	s_cbranch_execz .LBB211_34
.LBB211_100:                            ;   in Loop: Header=BB211_35 Depth=1
	v_mov_b32_e32 v2, s70
	ds_store_b32 v2, v8
	s_branch .LBB211_34
.LBB211_101:                            ;   in Loop: Header=BB211_102 Depth=1
	s_or_b32 exec_lo, exec_lo, s4
	v_add_co_u32 v3, vcc_lo, 0x400, v3
	v_add_co_ci_u32_e32 v4, vcc_lo, 0, v4, vcc_lo
	s_delay_alu instid0(VALU_DEP_1) | instskip(SKIP_1) | instid1(SALU_CYCLE_1)
	v_cmp_le_i64_e32 vcc_lo, s[0:1], v[3:4]
	s_or_b32 s3, vcc_lo, s3
	s_and_not1_b32 exec_lo, exec_lo, s3
	s_cbranch_execz .LBB211_32
.LBB211_102:                            ; =>This Loop Header: Depth=1
                                        ;     Child Loop BB211_104 Depth 2
                                        ;       Child Loop BB211_110 Depth 3
                                        ;       Child Loop BB211_116 Depth 3
	v_lshlrev_b64 v[5:6], 3, v[3:4]
	v_lshlrev_b64 v[7:8], 2, v[3:4]
	s_mov_b32 s4, 0
	s_delay_alu instid0(VALU_DEP_2) | instskip(NEXT) | instid1(VALU_DEP_3)
	v_add_co_u32 v5, vcc_lo, s40, v5
	v_add_co_ci_u32_e32 v6, vcc_lo, s41, v6, vcc_lo
	s_delay_alu instid0(VALU_DEP_3) | instskip(NEXT) | instid1(VALU_DEP_4)
	v_add_co_u32 v7, vcc_lo, s38, v7
	v_add_co_ci_u32_e32 v8, vcc_lo, s39, v8, vcc_lo
	global_load_b64 v[5:6], v[5:6], off
	global_load_b32 v7, v[7:8], off
	s_waitcnt vmcnt(1)
	v_mul_f64 v[5:6], v[1:2], v[5:6]
	s_waitcnt vmcnt(0)
	v_subrev_nc_u32_e32 v9, s47, v7
	s_delay_alu instid0(VALU_DEP_1) | instskip(NEXT) | instid1(VALU_DEP_1)
	v_mul_lo_u32 v7, 0x89, v9
	v_and_b32_e32 v10, 0x3fff, v7
	s_branch .LBB211_104
.LBB211_103:                            ;   in Loop: Header=BB211_104 Depth=2
	s_or_b32 exec_lo, exec_lo, s5
	s_xor_b32 s5, s6, -1
	s_delay_alu instid0(SALU_CYCLE_1) | instskip(NEXT) | instid1(SALU_CYCLE_1)
	s_and_b32 s5, exec_lo, s5
	s_or_b32 s4, s5, s4
	s_delay_alu instid0(SALU_CYCLE_1)
	s_and_not1_b32 exec_lo, exec_lo, s4
	s_cbranch_execz .LBB211_101
.LBB211_104:                            ;   Parent Loop BB211_102 Depth=1
                                        ; =>  This Loop Header: Depth=2
                                        ;       Child Loop BB211_110 Depth 3
                                        ;       Child Loop BB211_116 Depth 3
	s_delay_alu instid0(VALU_DEP_1)
	v_lshl_add_u32 v7, v10, 2, 0
	s_mov_b32 s5, exec_lo
                                        ; implicit-def: $sgpr6
	ds_load_b32 v8, v7
	s_waitcnt lgkmcnt(0)
	v_cmpx_ne_u32_e64 v8, v9
	s_xor_b32 s5, exec_lo, s5
	s_cbranch_execz .LBB211_114
; %bb.105:                              ;   in Loop: Header=BB211_104 Depth=2
	s_mov_b32 s7, exec_lo
                                        ; implicit-def: $sgpr6
	v_cmpx_ne_u32_e64 s33, v8
	s_xor_b32 s7, exec_lo, s7
; %bb.106:                              ;   in Loop: Header=BB211_104 Depth=2
	v_add_nc_u32_e32 v7, 1, v10
	s_mov_b32 s6, -1
	s_delay_alu instid0(VALU_DEP_1)
	v_and_b32_e32 v10, 0x3fff, v7
                                        ; implicit-def: $vgpr7
; %bb.107:                              ;   in Loop: Header=BB211_104 Depth=2
	s_and_not1_saveexec_b32 s7, s7
	s_cbranch_execz .LBB211_113
; %bb.108:                              ;   in Loop: Header=BB211_104 Depth=2
	v_mov_b32_e32 v8, s33
	s_mov_b32 s9, -1
	s_mov_b32 s8, exec_lo
	ds_cmpstore_rtn_b32 v7, v7, v9, v8
	s_waitcnt lgkmcnt(0)
	v_cmpx_eq_u32_e64 s33, v7
	s_cbranch_execz .LBB211_112
; %bb.109:                              ;   in Loop: Header=BB211_104 Depth=2
	v_lshlrev_b32_e32 v7, 3, v10
	s_mov_b32 s9, 0
	s_delay_alu instid0(VALU_DEP_1)
	v_add3_u32 v11, 0, v7, 0x10000
	ds_load_b64 v[7:8], v11
.LBB211_110:                            ;   Parent Loop BB211_102 Depth=1
                                        ;     Parent Loop BB211_104 Depth=2
                                        ; =>    This Inner Loop Header: Depth=3
	s_waitcnt lgkmcnt(0)
	v_add_f64 v[12:13], v[7:8], v[5:6]
	ds_cmpstore_rtn_b64 v[12:13], v11, v[12:13], v[7:8]
	s_waitcnt lgkmcnt(0)
	v_cmp_eq_u64_e32 vcc_lo, v[12:13], v[7:8]
	v_dual_mov_b32 v7, v12 :: v_dual_mov_b32 v8, v13
	s_or_b32 s9, vcc_lo, s9
	s_delay_alu instid0(SALU_CYCLE_1)
	s_and_not1_b32 exec_lo, exec_lo, s9
	s_cbranch_execnz .LBB211_110
; %bb.111:                              ;   in Loop: Header=BB211_104 Depth=2
	s_or_b32 exec_lo, exec_lo, s9
	s_delay_alu instid0(SALU_CYCLE_1)
	s_xor_b32 s9, exec_lo, -1
.LBB211_112:                            ;   in Loop: Header=BB211_104 Depth=2
	s_or_b32 exec_lo, exec_lo, s8
	s_delay_alu instid0(SALU_CYCLE_1) | instskip(SKIP_1) | instid1(SALU_CYCLE_1)
	s_and_not1_b32 s6, s6, exec_lo
	s_and_b32 s8, s9, exec_lo
	s_or_b32 s6, s6, s8
.LBB211_113:                            ;   in Loop: Header=BB211_104 Depth=2
	s_or_b32 exec_lo, exec_lo, s7
	s_delay_alu instid0(SALU_CYCLE_1)
	s_and_b32 s6, s6, exec_lo
.LBB211_114:                            ;   in Loop: Header=BB211_104 Depth=2
	s_and_not1_saveexec_b32 s5, s5
	s_cbranch_execz .LBB211_103
; %bb.115:                              ;   in Loop: Header=BB211_104 Depth=2
	v_lshlrev_b32_e32 v7, 3, v10
	s_mov_b32 s7, 0
	s_delay_alu instid0(VALU_DEP_1)
	v_add3_u32 v11, 0, v7, 0x10000
	ds_load_b64 v[7:8], v11
.LBB211_116:                            ;   Parent Loop BB211_102 Depth=1
                                        ;     Parent Loop BB211_104 Depth=2
                                        ; =>    This Inner Loop Header: Depth=3
	s_waitcnt lgkmcnt(0)
	v_add_f64 v[12:13], v[7:8], v[5:6]
	ds_cmpstore_rtn_b64 v[12:13], v11, v[12:13], v[7:8]
	s_waitcnt lgkmcnt(0)
	v_cmp_eq_u64_e32 vcc_lo, v[12:13], v[7:8]
	v_dual_mov_b32 v7, v12 :: v_dual_mov_b32 v8, v13
	s_or_b32 s7, vcc_lo, s7
	s_delay_alu instid0(SALU_CYCLE_1)
	s_and_not1_b32 exec_lo, exec_lo, s7
	s_cbranch_execnz .LBB211_116
; %bb.117:                              ;   in Loop: Header=BB211_104 Depth=2
	s_or_b32 exec_lo, exec_lo, s7
	s_delay_alu instid0(SALU_CYCLE_1)
	s_and_not1_b32 s6, s6, exec_lo
	s_branch .LBB211_103
.LBB211_118:
	s_or_b32 exec_lo, exec_lo, s35
	s_ashr_i32 s35, s34, 31
	s_mov_b32 s4, exec_lo
	s_lshl_b64 s[0:1], s[34:35], 3
	s_delay_alu instid0(SALU_CYCLE_1) | instskip(SKIP_4) | instid1(SALU_CYCLE_1)
	s_add_u32 s0, s42, s0
	s_addc_u32 s1, s43, s1
	s_load_b128 s[0:3], s[0:1], 0x0
	s_waitcnt lgkmcnt(0)
	s_sub_i32 s3, s2, s0
	v_cmpx_gt_i32_e64 s3, v0
	s_cbranch_execz .LBB211_128
; %bb.119:
	s_sub_u32 s4, s0, s46
	s_subb_u32 s5, s1, 0
	s_sub_i32 s0, s0, s2
	s_and_b32 s1, s3, 7
	s_cmp_lt_u32 s0, -7
	s_mov_b32 s8, 0
	s_cselect_b32 s2, -1, 0
	s_and_b32 s6, s3, -8
	s_cmp_lg_u32 s1, 0
	s_cselect_b32 s7, -1, 0
	s_branch .LBB211_121
.LBB211_120:                            ;   in Loop: Header=BB211_121 Depth=1
	s_delay_alu instid0(VALU_DEP_1) | instskip(SKIP_4) | instid1(VALU_DEP_4)
	v_lshlrev_b64 v[6:7], 2, v[3:4]
	v_lshlrev_b64 v[3:4], 3, v[3:4]
	v_add_nc_u32_e32 v0, 0x400, v0
	s_waitcnt lgkmcnt(1)
	v_add_nc_u32_e32 v8, s46, v5
	v_add_co_u32 v5, vcc_lo, s48, v6
	v_add_co_ci_u32_e32 v6, vcc_lo, s49, v7, vcc_lo
	v_cmp_le_i32_e32 vcc_lo, s3, v0
	v_add_co_u32 v3, s0, s50, v3
	s_delay_alu instid0(VALU_DEP_1)
	v_add_co_ci_u32_e64 v4, s0, s51, v4, s0
	s_or_b32 s8, vcc_lo, s8
	global_store_b32 v[5:6], v8, off
	s_waitcnt lgkmcnt(0)
	global_store_b64 v[3:4], v[1:2], off
	s_and_not1_b32 exec_lo, exec_lo, s8
	s_cbranch_execz .LBB211_128
.LBB211_121:                            ; =>This Loop Header: Depth=1
                                        ;     Child Loop BB211_123 Depth 2
                                        ;     Child Loop BB211_127 Depth 2
	v_lshlrev_b32_e32 v1, 3, v0
	v_lshl_add_u32 v2, v0, 2, 0
	v_dual_mov_b32 v3, s4 :: v_dual_mov_b32 v4, s5
	s_and_not1_b32 vcc_lo, exec_lo, s2
	s_delay_alu instid0(VALU_DEP_3)
	v_add3_u32 v1, 0, v1, 0x10000
	s_mov_b32 s0, 0
	ds_load_b32 v5, v2
	ds_load_b64 v[1:2], v1
	s_cbranch_vccnz .LBB211_125
; %bb.122:                              ;   in Loop: Header=BB211_121 Depth=1
	v_dual_mov_b32 v3, s4 :: v_dual_mov_b32 v4, s5
	s_mov_b32 s9, 0
	s_mov_b32 s10, 0
.LBB211_123:                            ;   Parent Loop BB211_121 Depth=1
                                        ; =>  This Inner Loop Header: Depth=2
	s_delay_alu instid0(SALU_CYCLE_1)
	v_mov_b32_e32 v12, s10
	s_add_i32 s9, s9, 8
	s_add_i32 s10, s10, 32
	s_cmp_eq_u32 s6, s9
	ds_load_2addr_b32 v[6:7], v12 offset1:1
	ds_load_2addr_b32 v[8:9], v12 offset0:2 offset1:3
	ds_load_2addr_b32 v[10:11], v12 offset0:4 offset1:5
	;; [unrolled: 1-line block ×3, first 2 shown]
	s_waitcnt lgkmcnt(3)
	v_cmp_gt_i32_e32 vcc_lo, v5, v6
	v_cndmask_b32_e64 v6, 0, 1, vcc_lo
	v_cmp_gt_i32_e32 vcc_lo, v5, v7
	v_cndmask_b32_e64 v7, 0, 1, vcc_lo
	s_waitcnt lgkmcnt(2)
	v_cmp_gt_i32_e32 vcc_lo, v5, v8
	v_cndmask_b32_e64 v8, 0, 1, vcc_lo
	v_cmp_gt_i32_e32 vcc_lo, v5, v9
	v_cndmask_b32_e64 v9, 0, 1, vcc_lo
	s_waitcnt lgkmcnt(1)
	v_cmp_gt_i32_e32 vcc_lo, v5, v10
	v_cndmask_b32_e64 v10, 0, 1, vcc_lo
	v_add_co_u32 v3, vcc_lo, v3, v6
	v_add_co_ci_u32_e32 v4, vcc_lo, 0, v4, vcc_lo
	v_cmp_gt_i32_e32 vcc_lo, v5, v11
	s_delay_alu instid0(VALU_DEP_3) | instskip(NEXT) | instid1(VALU_DEP_1)
	v_add_co_u32 v3, s0, v3, v7
	v_add_co_ci_u32_e64 v4, s0, 0, v4, s0
	v_cndmask_b32_e64 v6, 0, 1, vcc_lo
	s_delay_alu instid0(VALU_DEP_3) | instskip(NEXT) | instid1(VALU_DEP_3)
	v_add_co_u32 v3, vcc_lo, v3, v8
	v_add_co_ci_u32_e32 v4, vcc_lo, 0, v4, vcc_lo
	s_waitcnt lgkmcnt(0)
	v_cmp_gt_i32_e32 vcc_lo, v5, v12
	s_delay_alu instid0(VALU_DEP_3) | instskip(NEXT) | instid1(VALU_DEP_1)
	v_add_co_u32 v3, s0, v3, v9
	v_add_co_ci_u32_e64 v4, s0, 0, v4, s0
	v_cndmask_b32_e64 v7, 0, 1, vcc_lo
	s_delay_alu instid0(VALU_DEP_3) | instskip(NEXT) | instid1(VALU_DEP_3)
	v_add_co_u32 v3, vcc_lo, v3, v10
	v_add_co_ci_u32_e32 v4, vcc_lo, 0, v4, vcc_lo
	v_cmp_gt_i32_e32 vcc_lo, v5, v13
	s_delay_alu instid0(VALU_DEP_3) | instskip(NEXT) | instid1(VALU_DEP_1)
	v_add_co_u32 v3, s0, v3, v6
	v_add_co_ci_u32_e64 v4, s0, 0, v4, s0
	v_cndmask_b32_e64 v6, 0, 1, vcc_lo
	s_delay_alu instid0(VALU_DEP_3) | instskip(NEXT) | instid1(VALU_DEP_3)
	v_add_co_u32 v3, vcc_lo, v3, v7
	v_add_co_ci_u32_e32 v4, vcc_lo, 0, v4, vcc_lo
	s_delay_alu instid0(VALU_DEP_2) | instskip(NEXT) | instid1(VALU_DEP_2)
	v_add_co_u32 v3, vcc_lo, v3, v6
	v_add_co_ci_u32_e32 v4, vcc_lo, 0, v4, vcc_lo
	s_cbranch_scc0 .LBB211_123
; %bb.124:                              ;   in Loop: Header=BB211_121 Depth=1
	s_mov_b32 s0, s6
.LBB211_125:                            ;   in Loop: Header=BB211_121 Depth=1
	s_and_not1_b32 vcc_lo, exec_lo, s7
	s_cbranch_vccnz .LBB211_120
; %bb.126:                              ;   in Loop: Header=BB211_121 Depth=1
	s_lshl_b32 s0, s0, 2
	s_mov_b32 s9, s1
	s_add_i32 s0, s0, 0
.LBB211_127:                            ;   Parent Loop BB211_121 Depth=1
                                        ; =>  This Inner Loop Header: Depth=2
	s_delay_alu instid0(SALU_CYCLE_1)
	v_mov_b32_e32 v6, s0
	s_add_i32 s9, s9, -1
	s_add_i32 s0, s0, 4
	s_cmp_lg_u32 s9, 0
	ds_load_b32 v6, v6
	s_waitcnt lgkmcnt(0)
	v_cmp_gt_i32_e32 vcc_lo, v5, v6
	v_cndmask_b32_e64 v6, 0, 1, vcc_lo
	s_delay_alu instid0(VALU_DEP_1)
	v_add_co_u32 v3, vcc_lo, v3, v6
	v_add_co_ci_u32_e32 v4, vcc_lo, 0, v4, vcc_lo
	s_cbranch_scc1 .LBB211_127
	s_branch .LBB211_120
.LBB211_128:
	s_nop 0
	s_sendmsg sendmsg(MSG_DEALLOC_VGPRS)
	s_endpgm
	.section	.rodata,"a",@progbits
	.p2align	6, 0x0
	.amdhsa_kernel _ZN9rocsparseL26csrgemm_fill_block_per_rowILj1024ELj64ELj16384ELj137ELj32ElidEEvT5_PKS1_S3_NS_24const_host_device_scalarIT6_EEPKT4_S3_PKS5_S9_S3_SB_S6_S9_S3_SB_S9_PS1_PS5_21rocsparse_index_base_SE_SE_SE_bbb
		.amdhsa_group_segment_fixed_size 0
		.amdhsa_private_segment_fixed_size 0
		.amdhsa_kernarg_size 156
		.amdhsa_user_sgpr_count 15
		.amdhsa_user_sgpr_dispatch_ptr 0
		.amdhsa_user_sgpr_queue_ptr 0
		.amdhsa_user_sgpr_kernarg_segment_ptr 1
		.amdhsa_user_sgpr_dispatch_id 0
		.amdhsa_user_sgpr_private_segment_size 0
		.amdhsa_wavefront_size32 1
		.amdhsa_uses_dynamic_stack 0
		.amdhsa_enable_private_segment 0
		.amdhsa_system_sgpr_workgroup_id_x 1
		.amdhsa_system_sgpr_workgroup_id_y 0
		.amdhsa_system_sgpr_workgroup_id_z 0
		.amdhsa_system_sgpr_workgroup_info 0
		.amdhsa_system_vgpr_workitem_id 0
		.amdhsa_next_free_vgpr 27
		.amdhsa_next_free_sgpr 76
		.amdhsa_reserve_vcc 1
		.amdhsa_float_round_mode_32 0
		.amdhsa_float_round_mode_16_64 0
		.amdhsa_float_denorm_mode_32 3
		.amdhsa_float_denorm_mode_16_64 3
		.amdhsa_dx10_clamp 1
		.amdhsa_ieee_mode 1
		.amdhsa_fp16_overflow 0
		.amdhsa_workgroup_processor_mode 1
		.amdhsa_memory_ordered 1
		.amdhsa_forward_progress 0
		.amdhsa_shared_vgpr_count 0
		.amdhsa_exception_fp_ieee_invalid_op 0
		.amdhsa_exception_fp_denorm_src 0
		.amdhsa_exception_fp_ieee_div_zero 0
		.amdhsa_exception_fp_ieee_overflow 0
		.amdhsa_exception_fp_ieee_underflow 0
		.amdhsa_exception_fp_ieee_inexact 0
		.amdhsa_exception_int_div_zero 0
	.end_amdhsa_kernel
	.section	.text._ZN9rocsparseL26csrgemm_fill_block_per_rowILj1024ELj64ELj16384ELj137ELj32ElidEEvT5_PKS1_S3_NS_24const_host_device_scalarIT6_EEPKT4_S3_PKS5_S9_S3_SB_S6_S9_S3_SB_S9_PS1_PS5_21rocsparse_index_base_SE_SE_SE_bbb,"axG",@progbits,_ZN9rocsparseL26csrgemm_fill_block_per_rowILj1024ELj64ELj16384ELj137ELj32ElidEEvT5_PKS1_S3_NS_24const_host_device_scalarIT6_EEPKT4_S3_PKS5_S9_S3_SB_S6_S9_S3_SB_S9_PS1_PS5_21rocsparse_index_base_SE_SE_SE_bbb,comdat
.Lfunc_end211:
	.size	_ZN9rocsparseL26csrgemm_fill_block_per_rowILj1024ELj64ELj16384ELj137ELj32ElidEEvT5_PKS1_S3_NS_24const_host_device_scalarIT6_EEPKT4_S3_PKS5_S9_S3_SB_S6_S9_S3_SB_S9_PS1_PS5_21rocsparse_index_base_SE_SE_SE_bbb, .Lfunc_end211-_ZN9rocsparseL26csrgemm_fill_block_per_rowILj1024ELj64ELj16384ELj137ELj32ElidEEvT5_PKS1_S3_NS_24const_host_device_scalarIT6_EEPKT4_S3_PKS5_S9_S3_SB_S6_S9_S3_SB_S9_PS1_PS5_21rocsparse_index_base_SE_SE_SE_bbb
                                        ; -- End function
	.section	.AMDGPU.csdata,"",@progbits
; Kernel info:
; codeLenInByte = 5056
; NumSgprs: 78
; NumVgprs: 27
; ScratchSize: 0
; MemoryBound: 0
; FloatMode: 240
; IeeeMode: 1
; LDSByteSize: 0 bytes/workgroup (compile time only)
; SGPRBlocks: 9
; VGPRBlocks: 3
; NumSGPRsForWavesPerEU: 78
; NumVGPRsForWavesPerEU: 27
; Occupancy: 16
; WaveLimiterHint : 1
; COMPUTE_PGM_RSRC2:SCRATCH_EN: 0
; COMPUTE_PGM_RSRC2:USER_SGPR: 15
; COMPUTE_PGM_RSRC2:TRAP_HANDLER: 0
; COMPUTE_PGM_RSRC2:TGID_X_EN: 1
; COMPUTE_PGM_RSRC2:TGID_Y_EN: 0
; COMPUTE_PGM_RSRC2:TGID_Z_EN: 0
; COMPUTE_PGM_RSRC2:TIDIG_COMP_CNT: 0
	.section	.text._ZN9rocsparseL26csrgemm_fill_block_per_rowILj1024ELj64ELj16384ELj137ELj64ElidEEvT5_PKS1_S3_NS_24const_host_device_scalarIT6_EEPKT4_S3_PKS5_S9_S3_SB_S6_S9_S3_SB_S9_PS1_PS5_21rocsparse_index_base_SE_SE_SE_bbb,"axG",@progbits,_ZN9rocsparseL26csrgemm_fill_block_per_rowILj1024ELj64ELj16384ELj137ELj64ElidEEvT5_PKS1_S3_NS_24const_host_device_scalarIT6_EEPKT4_S3_PKS5_S9_S3_SB_S6_S9_S3_SB_S9_PS1_PS5_21rocsparse_index_base_SE_SE_SE_bbb,comdat
	.globl	_ZN9rocsparseL26csrgemm_fill_block_per_rowILj1024ELj64ELj16384ELj137ELj64ElidEEvT5_PKS1_S3_NS_24const_host_device_scalarIT6_EEPKT4_S3_PKS5_S9_S3_SB_S6_S9_S3_SB_S9_PS1_PS5_21rocsparse_index_base_SE_SE_SE_bbb ; -- Begin function _ZN9rocsparseL26csrgemm_fill_block_per_rowILj1024ELj64ELj16384ELj137ELj64ElidEEvT5_PKS1_S3_NS_24const_host_device_scalarIT6_EEPKT4_S3_PKS5_S9_S3_SB_S6_S9_S3_SB_S9_PS1_PS5_21rocsparse_index_base_SE_SE_SE_bbb
	.p2align	8
	.type	_ZN9rocsparseL26csrgemm_fill_block_per_rowILj1024ELj64ELj16384ELj137ELj64ElidEEvT5_PKS1_S3_NS_24const_host_device_scalarIT6_EEPKT4_S3_PKS5_S9_S3_SB_S6_S9_S3_SB_S9_PS1_PS5_21rocsparse_index_base_SE_SE_SE_bbb,@function
_ZN9rocsparseL26csrgemm_fill_block_per_rowILj1024ELj64ELj16384ELj137ELj64ElidEEvT5_PKS1_S3_NS_24const_host_device_scalarIT6_EEPKT4_S3_PKS5_S9_S3_SB_S6_S9_S3_SB_S9_PS1_PS5_21rocsparse_index_base_SE_SE_SE_bbb: ; @_ZN9rocsparseL26csrgemm_fill_block_per_rowILj1024ELj64ELj16384ELj137ELj64ElidEEvT5_PKS1_S3_NS_24const_host_device_scalarIT6_EEPKT4_S3_PKS5_S9_S3_SB_S6_S9_S3_SB_S9_PS1_PS5_21rocsparse_index_base_SE_SE_SE_bbb
; %bb.0:
	s_clause 0x3
	s_load_b32 s12, s[0:1], 0x98
	s_load_b64 s[4:5], s[0:1], 0x18
	s_load_b128 s[24:27], s[0:1], 0x88
	s_load_b64 s[2:3], s[0:1], 0x50
	s_waitcnt lgkmcnt(0)
	s_and_b32 s6, 1, s12
	s_bitcmp1_b32 s12, 16
	s_cselect_b32 s14, -1, 0
	s_cmp_eq_u32 s6, 1
	s_cselect_b32 s13, -1, 0
	s_delay_alu instid0(SALU_CYCLE_1)
	s_and_b32 s6, s13, exec_lo
	s_cselect_b32 s7, s5, 0
	s_cselect_b32 s6, s4, 0
	s_xor_b32 s8, s13, -1
	v_dual_mov_b32 v3, s6 :: v_dual_mov_b32 v4, s7
	s_or_b32 s8, s8, s14
	s_delay_alu instid0(SALU_CYCLE_1)
	s_and_b32 vcc_lo, exec_lo, s8
	s_cbranch_vccnz .LBB212_2
; %bb.1:
	v_dual_mov_b32 v1, s4 :: v_dual_mov_b32 v2, s5
	flat_load_b64 v[3:4], v[1:2]
.LBB212_2:
	s_clause 0x4
	s_load_b128 s[28:31], s[0:1], 0x78
	s_load_b256 s[16:23], s[0:1], 0x58
	s_load_b128 s[36:39], s[0:1], 0x40
	s_load_b128 s[40:43], s[0:1], 0x8
	s_load_b256 s[4:11], s[0:1], 0x20
	s_bitcmp1_b32 s12, 8
	s_cselect_b32 s12, -1, 0
	s_delay_alu instid0(SALU_CYCLE_1)
	s_and_b32 s33, s12, exec_lo
	s_cselect_b32 s35, s3, 0
	s_cselect_b32 s34, s2, 0
	s_xor_b32 s33, s12, -1
	v_dual_mov_b32 v1, s34 :: v_dual_mov_b32 v2, s35
	s_or_b32 s14, s33, s14
	s_delay_alu instid0(SALU_CYCLE_1)
	s_and_b32 vcc_lo, exec_lo, s14
	s_cbranch_vccnz .LBB212_4
; %bb.3:
	v_dual_mov_b32 v1, s2 :: v_dual_mov_b32 v2, s3
	flat_load_b64 v[1:2], v[1:2]
.LBB212_4:
	s_load_b32 s33, s[0:1], 0x0
	v_dual_mov_b32 v5, 0 :: v_dual_lshlrev_b32 v6, 3, v0
	v_lshl_add_u32 v17, v0, 2, 0
	v_or_b32_e32 v19, 0xfffffc00, v0
	s_mov_b32 s0, 0
	s_delay_alu instid0(VALU_DEP_3) | instskip(SKIP_1) | instid1(VALU_DEP_3)
	v_add3_u32 v18, v6, 0, 0x10000
	v_mov_b32_e32 v6, v5
	v_dual_mov_b32 v7, v17 :: v_dual_mov_b32 v10, v19
	s_waitcnt lgkmcnt(0)
	s_delay_alu instid0(VALU_DEP_3)
	v_dual_mov_b32 v8, v18 :: v_dual_mov_b32 v9, s33
.LBB212_5:                              ; =>This Inner Loop Header: Depth=1
	s_delay_alu instid0(VALU_DEP_2)
	v_add_nc_u32_e32 v10, 0x400, v10
	ds_store_b32 v7, v9
	ds_store_b64 v8, v[5:6]
	v_add_nc_u32_e32 v8, 0x2000, v8
	v_add_nc_u32_e32 v7, 0x1000, v7
	v_cmp_lt_u32_e32 vcc_lo, 0x3bff, v10
	s_or_b32 s0, vcc_lo, s0
	s_delay_alu instid0(SALU_CYCLE_1)
	s_and_not1_b32 exec_lo, exec_lo, s0
	s_cbranch_execnz .LBB212_5
; %bb.6:
	s_or_b32 exec_lo, exec_lo, s0
	s_waitcnt vmcnt(0) lgkmcnt(0)
	s_barrier
	buffer_gl0_inv
	s_load_b32 s0, s[40:41], 0x0
	s_mov_b32 s1, 0
	v_lshrrev_b32_e32 v20, 6, v0
	s_waitcnt lgkmcnt(0)
	s_add_i32 s0, s0, s15
	s_delay_alu instid0(SALU_CYCLE_1) | instskip(NEXT) | instid1(SALU_CYCLE_1)
	s_lshl_b64 s[0:1], s[0:1], 2
	s_add_u32 s0, s42, s0
	s_addc_u32 s1, s43, s1
	s_and_b32 vcc_lo, exec_lo, s13
	s_load_b32 s34, s[0:1], 0x0
	s_cbranch_vccz .LBB212_30
; %bb.7:
	s_waitcnt lgkmcnt(0)
	s_ashr_i32 s35, s34, 31
	s_delay_alu instid0(SALU_CYCLE_1) | instskip(NEXT) | instid1(SALU_CYCLE_1)
	s_lshl_b64 s[0:1], s[34:35], 3
	s_add_u32 s0, s4, s0
	s_addc_u32 s1, s5, s1
	v_sub_co_u32 v5, s4, v20, s24
	s_load_b128 s[0:3], s[0:1], 0x0
	v_sub_co_ci_u32_e64 v6, null, 0, 0, s4
	s_waitcnt lgkmcnt(0)
	s_delay_alu instid0(VALU_DEP_2) | instskip(NEXT) | instid1(VALU_DEP_2)
	v_add_co_u32 v5, vcc_lo, s0, v5
	v_add_co_ci_u32_e32 v6, vcc_lo, s1, v6, vcc_lo
	s_sub_u32 s0, s2, s24
	s_subb_u32 s1, s3, 0
	s_mov_b32 s2, exec_lo
	s_delay_alu instid0(VALU_DEP_1)
	v_cmpx_gt_i64_e64 s[0:1], v[5:6]
	s_cbranch_execz .LBB212_29
; %bb.8:
	v_and_b32_e32 v7, 63, v0
	s_mov_b32 s4, s25
	s_delay_alu instid0(VALU_DEP_1) | instskip(NEXT) | instid1(VALU_DEP_1)
	v_sub_co_u32 v21, s3, v7, s25
	v_sub_co_ci_u32_e64 v22, null, 0, 0, s3
	s_mov_b32 s3, 0
	s_branch .LBB212_10
.LBB212_9:                              ;   in Loop: Header=BB212_10 Depth=1
	s_or_b32 exec_lo, exec_lo, s5
	v_add_co_u32 v5, vcc_lo, v5, 16
	v_add_co_ci_u32_e32 v6, vcc_lo, 0, v6, vcc_lo
	s_delay_alu instid0(VALU_DEP_1) | instskip(SKIP_1) | instid1(SALU_CYCLE_1)
	v_cmp_le_i64_e32 vcc_lo, s[0:1], v[5:6]
	s_or_b32 s3, vcc_lo, s3
	s_and_not1_b32 exec_lo, exec_lo, s3
	s_cbranch_execz .LBB212_29
.LBB212_10:                             ; =>This Loop Header: Depth=1
                                        ;     Child Loop BB212_13 Depth 2
                                        ;       Child Loop BB212_15 Depth 3
                                        ;         Child Loop BB212_21 Depth 4
                                        ;         Child Loop BB212_27 Depth 4
	v_lshlrev_b64 v[7:8], 2, v[5:6]
	s_mov_b32 s5, exec_lo
	s_delay_alu instid0(VALU_DEP_1) | instskip(NEXT) | instid1(VALU_DEP_2)
	v_add_co_u32 v7, vcc_lo, s6, v7
	v_add_co_ci_u32_e32 v8, vcc_lo, s7, v8, vcc_lo
	global_load_b32 v7, v[7:8], off
	s_waitcnt vmcnt(0)
	v_subrev_nc_u32_e32 v7, s24, v7
	s_delay_alu instid0(VALU_DEP_1) | instskip(NEXT) | instid1(VALU_DEP_1)
	v_ashrrev_i32_e32 v8, 31, v7
	v_lshlrev_b64 v[7:8], 3, v[7:8]
	s_delay_alu instid0(VALU_DEP_1) | instskip(NEXT) | instid1(VALU_DEP_2)
	v_add_co_u32 v7, vcc_lo, s10, v7
	v_add_co_ci_u32_e32 v8, vcc_lo, s11, v8, vcc_lo
	global_load_b128 v[9:12], v[7:8], off
	s_waitcnt vmcnt(0)
	v_sub_co_u32 v7, vcc_lo, v11, s4
	v_subrev_co_ci_u32_e32 v8, vcc_lo, 0, v12, vcc_lo
	v_add_co_u32 v9, vcc_lo, v9, v21
	v_add_co_ci_u32_e32 v10, vcc_lo, v10, v22, vcc_lo
	s_delay_alu instid0(VALU_DEP_1)
	v_cmpx_lt_i64_e64 v[9:10], v[7:8]
	s_cbranch_execz .LBB212_9
; %bb.11:                               ;   in Loop: Header=BB212_10 Depth=1
	v_lshlrev_b64 v[11:12], 3, v[5:6]
	s_mov_b32 s13, 0
	s_delay_alu instid0(VALU_DEP_1) | instskip(NEXT) | instid1(VALU_DEP_2)
	v_add_co_u32 v11, vcc_lo, s8, v11
	v_add_co_ci_u32_e32 v12, vcc_lo, s9, v12, vcc_lo
	global_load_b64 v[11:12], v[11:12], off
	s_waitcnt vmcnt(0)
	v_mul_f64 v[11:12], v[3:4], v[11:12]
	s_branch .LBB212_13
.LBB212_12:                             ;   in Loop: Header=BB212_13 Depth=2
	s_or_b32 exec_lo, exec_lo, s14
	v_add_co_u32 v9, vcc_lo, v9, 64
	v_add_co_ci_u32_e32 v10, vcc_lo, 0, v10, vcc_lo
	s_delay_alu instid0(VALU_DEP_1) | instskip(SKIP_1) | instid1(SALU_CYCLE_1)
	v_cmp_ge_i64_e32 vcc_lo, v[9:10], v[7:8]
	s_or_b32 s13, vcc_lo, s13
	s_and_not1_b32 exec_lo, exec_lo, s13
	s_cbranch_execz .LBB212_9
.LBB212_13:                             ;   Parent Loop BB212_10 Depth=1
                                        ; =>  This Loop Header: Depth=2
                                        ;       Child Loop BB212_15 Depth 3
                                        ;         Child Loop BB212_21 Depth 4
                                        ;         Child Loop BB212_27 Depth 4
	v_lshlrev_b64 v[13:14], 3, v[9:10]
	v_lshlrev_b64 v[15:16], 2, v[9:10]
	s_mov_b32 s14, 0
	s_delay_alu instid0(VALU_DEP_2) | instskip(NEXT) | instid1(VALU_DEP_3)
	v_add_co_u32 v13, vcc_lo, s38, v13
	v_add_co_ci_u32_e32 v14, vcc_lo, s39, v14, vcc_lo
	s_delay_alu instid0(VALU_DEP_3) | instskip(NEXT) | instid1(VALU_DEP_4)
	v_add_co_u32 v15, vcc_lo, s36, v15
	v_add_co_ci_u32_e32 v16, vcc_lo, s37, v16, vcc_lo
	global_load_b64 v[13:14], v[13:14], off
	global_load_b32 v15, v[15:16], off
	s_waitcnt vmcnt(1)
	v_mul_f64 v[13:14], v[11:12], v[13:14]
	s_waitcnt vmcnt(0)
	v_subrev_nc_u32_e32 v23, s25, v15
	s_delay_alu instid0(VALU_DEP_1) | instskip(NEXT) | instid1(VALU_DEP_1)
	v_mul_lo_u32 v15, 0x89, v23
	v_and_b32_e32 v24, 0x3fff, v15
	s_branch .LBB212_15
.LBB212_14:                             ;   in Loop: Header=BB212_15 Depth=3
	s_or_b32 exec_lo, exec_lo, s15
	s_xor_b32 s15, s35, -1
	s_delay_alu instid0(SALU_CYCLE_1) | instskip(NEXT) | instid1(SALU_CYCLE_1)
	s_and_b32 s15, exec_lo, s15
	s_or_b32 s14, s15, s14
	s_delay_alu instid0(SALU_CYCLE_1)
	s_and_not1_b32 exec_lo, exec_lo, s14
	s_cbranch_execz .LBB212_12
.LBB212_15:                             ;   Parent Loop BB212_10 Depth=1
                                        ;     Parent Loop BB212_13 Depth=2
                                        ; =>    This Loop Header: Depth=3
                                        ;         Child Loop BB212_21 Depth 4
                                        ;         Child Loop BB212_27 Depth 4
	s_delay_alu instid0(VALU_DEP_1)
	v_lshl_add_u32 v15, v24, 2, 0
	s_mov_b32 s15, exec_lo
                                        ; implicit-def: $sgpr35
	ds_load_b32 v16, v15
	s_waitcnt lgkmcnt(0)
	v_cmpx_ne_u32_e64 v16, v23
	s_xor_b32 s15, exec_lo, s15
	s_cbranch_execz .LBB212_25
; %bb.16:                               ;   in Loop: Header=BB212_15 Depth=3
	s_mov_b32 s40, exec_lo
                                        ; implicit-def: $sgpr35
	v_cmpx_ne_u32_e64 s33, v16
	s_xor_b32 s40, exec_lo, s40
; %bb.17:                               ;   in Loop: Header=BB212_15 Depth=3
	v_add_nc_u32_e32 v15, 1, v24
	s_mov_b32 s35, -1
	s_delay_alu instid0(VALU_DEP_1)
	v_and_b32_e32 v24, 0x3fff, v15
                                        ; implicit-def: $vgpr15
; %bb.18:                               ;   in Loop: Header=BB212_15 Depth=3
	s_and_not1_saveexec_b32 s40, s40
	s_cbranch_execz .LBB212_24
; %bb.19:                               ;   in Loop: Header=BB212_15 Depth=3
	v_mov_b32_e32 v16, s33
	s_mov_b32 s42, -1
	s_mov_b32 s41, exec_lo
	ds_cmpstore_rtn_b32 v15, v15, v23, v16
	s_waitcnt lgkmcnt(0)
	v_cmpx_eq_u32_e64 s33, v15
	s_cbranch_execz .LBB212_23
; %bb.20:                               ;   in Loop: Header=BB212_15 Depth=3
	v_lshlrev_b32_e32 v15, 3, v24
	s_mov_b32 s42, 0
	s_delay_alu instid0(VALU_DEP_1)
	v_add3_u32 v25, 0, v15, 0x10000
	ds_load_b64 v[15:16], v25
.LBB212_21:                             ;   Parent Loop BB212_10 Depth=1
                                        ;     Parent Loop BB212_13 Depth=2
                                        ;       Parent Loop BB212_15 Depth=3
                                        ; =>      This Inner Loop Header: Depth=4
	s_waitcnt lgkmcnt(0)
	v_add_f64 v[26:27], v[15:16], v[13:14]
	ds_cmpstore_rtn_b64 v[26:27], v25, v[26:27], v[15:16]
	s_waitcnt lgkmcnt(0)
	v_cmp_eq_u64_e32 vcc_lo, v[26:27], v[15:16]
	v_dual_mov_b32 v15, v26 :: v_dual_mov_b32 v16, v27
	s_or_b32 s42, vcc_lo, s42
	s_delay_alu instid0(SALU_CYCLE_1)
	s_and_not1_b32 exec_lo, exec_lo, s42
	s_cbranch_execnz .LBB212_21
; %bb.22:                               ;   in Loop: Header=BB212_15 Depth=3
	s_or_b32 exec_lo, exec_lo, s42
	s_delay_alu instid0(SALU_CYCLE_1)
	s_xor_b32 s42, exec_lo, -1
.LBB212_23:                             ;   in Loop: Header=BB212_15 Depth=3
	s_or_b32 exec_lo, exec_lo, s41
	s_delay_alu instid0(SALU_CYCLE_1) | instskip(SKIP_1) | instid1(SALU_CYCLE_1)
	s_and_not1_b32 s35, s35, exec_lo
	s_and_b32 s41, s42, exec_lo
	s_or_b32 s35, s35, s41
.LBB212_24:                             ;   in Loop: Header=BB212_15 Depth=3
	s_or_b32 exec_lo, exec_lo, s40
	s_delay_alu instid0(SALU_CYCLE_1)
	s_and_b32 s35, s35, exec_lo
.LBB212_25:                             ;   in Loop: Header=BB212_15 Depth=3
	s_and_not1_saveexec_b32 s15, s15
	s_cbranch_execz .LBB212_14
; %bb.26:                               ;   in Loop: Header=BB212_15 Depth=3
	v_lshlrev_b32_e32 v15, 3, v24
	s_mov_b32 s40, 0
	s_delay_alu instid0(VALU_DEP_1)
	v_add3_u32 v25, 0, v15, 0x10000
	ds_load_b64 v[15:16], v25
.LBB212_27:                             ;   Parent Loop BB212_10 Depth=1
                                        ;     Parent Loop BB212_13 Depth=2
                                        ;       Parent Loop BB212_15 Depth=3
                                        ; =>      This Inner Loop Header: Depth=4
	s_waitcnt lgkmcnt(0)
	v_add_f64 v[26:27], v[15:16], v[13:14]
	ds_cmpstore_rtn_b64 v[26:27], v25, v[26:27], v[15:16]
	s_waitcnt lgkmcnt(0)
	v_cmp_eq_u64_e32 vcc_lo, v[26:27], v[15:16]
	v_dual_mov_b32 v15, v26 :: v_dual_mov_b32 v16, v27
	s_or_b32 s40, vcc_lo, s40
	s_delay_alu instid0(SALU_CYCLE_1)
	s_and_not1_b32 exec_lo, exec_lo, s40
	s_cbranch_execnz .LBB212_27
; %bb.28:                               ;   in Loop: Header=BB212_15 Depth=3
	s_or_b32 exec_lo, exec_lo, s40
	s_delay_alu instid0(SALU_CYCLE_1)
	s_and_not1_b32 s35, s35, exec_lo
	s_branch .LBB212_14
.LBB212_29:
	s_or_b32 exec_lo, exec_lo, s2
.LBB212_30:
	s_delay_alu instid0(SALU_CYCLE_1)
	s_and_not1_b32 vcc_lo, exec_lo, s12
	s_cbranch_vccnz .LBB212_33
; %bb.31:
	s_waitcnt lgkmcnt(0)
	s_ashr_i32 s35, s34, 31
	v_sub_co_u32 v3, s4, v0, s27
	s_lshl_b64 s[0:1], s[34:35], 3
	v_sub_co_ci_u32_e64 v4, null, 0, 0, s4
	s_add_u32 s0, s16, s0
	s_addc_u32 s1, s17, s1
	s_load_b128 s[0:3], s[0:1], 0x0
	s_waitcnt lgkmcnt(0)
	v_add_co_u32 v3, vcc_lo, s0, v3
	v_add_co_ci_u32_e32 v4, vcc_lo, s1, v4, vcc_lo
	s_sub_u32 s0, s2, s27
	s_subb_u32 s1, s3, 0
	s_mov_b32 s3, 0
	s_mov_b32 s2, exec_lo
	v_cmpx_gt_i64_e64 s[0:1], v[3:4]
	s_cbranch_execnz .LBB212_70
.LBB212_32:
	s_or_b32 exec_lo, exec_lo, s2
.LBB212_33:
	v_mbcnt_lo_u32_b32 v1, -1, 0
	v_dual_mov_b32 v5, 0 :: v_dual_lshlrev_b32 v2, 2, v20
	s_add_i32 s38, 0, 0x3003c
	v_cmp_eq_u32_e32 vcc_lo, 0x3ff, v0
	s_delay_alu instid0(VALU_DEP_3) | instskip(NEXT) | instid1(VALU_DEP_3)
	v_xor_b32_e32 v1, 63, v1
	v_add3_u32 v4, 0, 0x30000, v2
	v_cmp_lt_u32_e64 s0, 63, v0
	v_cmp_lt_u32_e64 s1, 0x7f, v0
	;; [unrolled: 1-line block ×3, first 2 shown]
	v_lshrrev_b64 v[1:2], v1, -1
	v_cmp_lt_u32_e64 s3, 0xff, v0
	v_cmp_lt_u32_e64 s4, 0x13f, v0
	;; [unrolled: 1-line block ×12, first 2 shown]
	v_mov_b32_e32 v6, s38
	s_mov_b32 s16, 0
	s_add_i32 s17, 0, 0x30000
	s_add_i32 s18, 0, 0x30004
	;; [unrolled: 1-line block ×15, first 2 shown]
	s_waitcnt lgkmcnt(0)
	s_barrier
	buffer_gl0_inv
	s_branch .LBB212_35
.LBB212_34:                             ;   in Loop: Header=BB212_35 Depth=1
	s_or_b32 exec_lo, exec_lo, s15
	s_waitcnt lgkmcnt(0)
	s_barrier
	buffer_gl0_inv
	ds_load_b32 v2, v6
	v_add_nc_u32_e32 v19, 0x400, v19
	v_add_nc_u32_e32 v18, 0x2000, v18
	;; [unrolled: 1-line block ×3, first 2 shown]
	s_delay_alu instid0(VALU_DEP_3) | instskip(NEXT) | instid1(VALU_DEP_1)
	v_cmp_lt_u32_e64 s15, 0x3bff, v19
	s_or_b32 s16, s15, s16
	s_waitcnt lgkmcnt(0)
	v_add_nc_u32_e32 v5, v2, v5
	s_and_not1_b32 exec_lo, exec_lo, s16
	s_cbranch_execz .LBB212_86
.LBB212_35:                             ; =>This Inner Loop Header: Depth=1
	ds_load_b32 v7, v17
	ds_load_b64 v[2:3], v18
	s_waitcnt lgkmcnt(0)
	s_barrier
	buffer_gl0_inv
	v_cmp_gt_i32_e64 s15, s33, v7
	s_delay_alu instid0(VALU_DEP_1) | instskip(NEXT) | instid1(SALU_CYCLE_1)
	s_bcnt1_i32_b32 s43, s15
	v_dual_mov_b32 v9, s43 :: v_dual_and_b32 v8, s15, v1
	s_delay_alu instid0(VALU_DEP_1)
	v_bcnt_u32_b32 v8, v8, 0
	ds_store_b32 v4, v9
	s_waitcnt lgkmcnt(0)
	s_barrier
	buffer_gl0_inv
	s_and_saveexec_b32 s43, s0
	s_cbranch_execnz .LBB212_52
; %bb.36:                               ;   in Loop: Header=BB212_35 Depth=1
	s_or_b32 exec_lo, exec_lo, s43
	s_and_saveexec_b32 s43, s1
	s_cbranch_execnz .LBB212_53
.LBB212_37:                             ;   in Loop: Header=BB212_35 Depth=1
	s_or_b32 exec_lo, exec_lo, s43
	s_and_saveexec_b32 s43, s2
	s_cbranch_execnz .LBB212_54
.LBB212_38:                             ;   in Loop: Header=BB212_35 Depth=1
	s_or_b32 exec_lo, exec_lo, s43
	s_and_saveexec_b32 s43, s3
	s_cbranch_execnz .LBB212_55
.LBB212_39:                             ;   in Loop: Header=BB212_35 Depth=1
	s_or_b32 exec_lo, exec_lo, s43
	s_and_saveexec_b32 s43, s4
	s_cbranch_execnz .LBB212_56
.LBB212_40:                             ;   in Loop: Header=BB212_35 Depth=1
	s_or_b32 exec_lo, exec_lo, s43
	s_and_saveexec_b32 s43, s5
	s_cbranch_execnz .LBB212_57
.LBB212_41:                             ;   in Loop: Header=BB212_35 Depth=1
	s_or_b32 exec_lo, exec_lo, s43
	s_and_saveexec_b32 s43, s6
	s_cbranch_execnz .LBB212_58
.LBB212_42:                             ;   in Loop: Header=BB212_35 Depth=1
	s_or_b32 exec_lo, exec_lo, s43
	s_and_saveexec_b32 s43, s7
	s_cbranch_execnz .LBB212_59
.LBB212_43:                             ;   in Loop: Header=BB212_35 Depth=1
	s_or_b32 exec_lo, exec_lo, s43
	s_and_saveexec_b32 s43, s8
	s_cbranch_execnz .LBB212_60
.LBB212_44:                             ;   in Loop: Header=BB212_35 Depth=1
	s_or_b32 exec_lo, exec_lo, s43
	s_and_saveexec_b32 s43, s9
	s_cbranch_execnz .LBB212_61
.LBB212_45:                             ;   in Loop: Header=BB212_35 Depth=1
	s_or_b32 exec_lo, exec_lo, s43
	s_and_saveexec_b32 s43, s10
	s_cbranch_execnz .LBB212_62
.LBB212_46:                             ;   in Loop: Header=BB212_35 Depth=1
	s_or_b32 exec_lo, exec_lo, s43
	s_and_saveexec_b32 s43, s11
	s_cbranch_execnz .LBB212_63
.LBB212_47:                             ;   in Loop: Header=BB212_35 Depth=1
	s_or_b32 exec_lo, exec_lo, s43
	s_and_saveexec_b32 s43, s12
	s_cbranch_execnz .LBB212_64
.LBB212_48:                             ;   in Loop: Header=BB212_35 Depth=1
	s_or_b32 exec_lo, exec_lo, s43
	s_and_saveexec_b32 s43, s13
	s_cbranch_execnz .LBB212_65
.LBB212_49:                             ;   in Loop: Header=BB212_35 Depth=1
	s_or_b32 exec_lo, exec_lo, s43
	s_and_saveexec_b32 s43, s14
	s_cbranch_execnz .LBB212_66
.LBB212_50:                             ;   in Loop: Header=BB212_35 Depth=1
	s_or_b32 exec_lo, exec_lo, s43
	s_and_saveexec_b32 s43, s15
	s_cbranch_execnz .LBB212_67
.LBB212_51:                             ;   in Loop: Header=BB212_35 Depth=1
	s_or_b32 exec_lo, exec_lo, s43
	s_and_saveexec_b32 s15, vcc_lo
	s_cbranch_execz .LBB212_34
	s_branch .LBB212_68
.LBB212_52:                             ;   in Loop: Header=BB212_35 Depth=1
	v_mov_b32_e32 v9, s17
	ds_load_b32 v9, v9
	s_waitcnt lgkmcnt(0)
	v_add_nc_u32_e32 v8, v9, v8
	s_or_b32 exec_lo, exec_lo, s43
	s_and_saveexec_b32 s43, s1
	s_cbranch_execz .LBB212_37
.LBB212_53:                             ;   in Loop: Header=BB212_35 Depth=1
	v_mov_b32_e32 v9, s18
	ds_load_b32 v9, v9
	s_waitcnt lgkmcnt(0)
	v_add_nc_u32_e32 v8, v9, v8
	s_or_b32 exec_lo, exec_lo, s43
	s_and_saveexec_b32 s43, s2
	s_cbranch_execz .LBB212_38
.LBB212_54:                             ;   in Loop: Header=BB212_35 Depth=1
	v_mov_b32_e32 v9, s19
	ds_load_b32 v9, v9
	s_waitcnt lgkmcnt(0)
	v_add_nc_u32_e32 v8, v9, v8
	s_or_b32 exec_lo, exec_lo, s43
	s_and_saveexec_b32 s43, s3
	s_cbranch_execz .LBB212_39
.LBB212_55:                             ;   in Loop: Header=BB212_35 Depth=1
	v_mov_b32_e32 v9, s20
	ds_load_b32 v9, v9
	s_waitcnt lgkmcnt(0)
	v_add_nc_u32_e32 v8, v9, v8
	s_or_b32 exec_lo, exec_lo, s43
	s_and_saveexec_b32 s43, s4
	s_cbranch_execz .LBB212_40
.LBB212_56:                             ;   in Loop: Header=BB212_35 Depth=1
	v_mov_b32_e32 v9, s21
	ds_load_b32 v9, v9
	s_waitcnt lgkmcnt(0)
	v_add_nc_u32_e32 v8, v9, v8
	s_or_b32 exec_lo, exec_lo, s43
	s_and_saveexec_b32 s43, s5
	s_cbranch_execz .LBB212_41
.LBB212_57:                             ;   in Loop: Header=BB212_35 Depth=1
	v_mov_b32_e32 v9, s24
	ds_load_b32 v9, v9
	s_waitcnt lgkmcnt(0)
	v_add_nc_u32_e32 v8, v9, v8
	s_or_b32 exec_lo, exec_lo, s43
	s_and_saveexec_b32 s43, s6
	s_cbranch_execz .LBB212_42
.LBB212_58:                             ;   in Loop: Header=BB212_35 Depth=1
	v_mov_b32_e32 v9, s25
	ds_load_b32 v9, v9
	s_waitcnt lgkmcnt(0)
	v_add_nc_u32_e32 v8, v9, v8
	s_or_b32 exec_lo, exec_lo, s43
	s_and_saveexec_b32 s43, s7
	s_cbranch_execz .LBB212_43
.LBB212_59:                             ;   in Loop: Header=BB212_35 Depth=1
	v_mov_b32_e32 v9, s27
	ds_load_b32 v9, v9
	s_waitcnt lgkmcnt(0)
	v_add_nc_u32_e32 v8, v9, v8
	s_or_b32 exec_lo, exec_lo, s43
	s_and_saveexec_b32 s43, s8
	s_cbranch_execz .LBB212_44
.LBB212_60:                             ;   in Loop: Header=BB212_35 Depth=1
	v_mov_b32_e32 v9, s35
	ds_load_b32 v9, v9
	s_waitcnt lgkmcnt(0)
	v_add_nc_u32_e32 v8, v9, v8
	s_or_b32 exec_lo, exec_lo, s43
	s_and_saveexec_b32 s43, s9
	s_cbranch_execz .LBB212_45
.LBB212_61:                             ;   in Loop: Header=BB212_35 Depth=1
	v_mov_b32_e32 v9, s36
	ds_load_b32 v9, v9
	s_waitcnt lgkmcnt(0)
	v_add_nc_u32_e32 v8, v9, v8
	s_or_b32 exec_lo, exec_lo, s43
	s_and_saveexec_b32 s43, s10
	s_cbranch_execz .LBB212_46
.LBB212_62:                             ;   in Loop: Header=BB212_35 Depth=1
	v_mov_b32_e32 v9, s37
	ds_load_b32 v9, v9
	s_waitcnt lgkmcnt(0)
	v_add_nc_u32_e32 v8, v9, v8
	s_or_b32 exec_lo, exec_lo, s43
	s_and_saveexec_b32 s43, s11
	s_cbranch_execz .LBB212_47
.LBB212_63:                             ;   in Loop: Header=BB212_35 Depth=1
	v_mov_b32_e32 v9, s39
	ds_load_b32 v9, v9
	s_waitcnt lgkmcnt(0)
	v_add_nc_u32_e32 v8, v9, v8
	s_or_b32 exec_lo, exec_lo, s43
	s_and_saveexec_b32 s43, s12
	s_cbranch_execz .LBB212_48
.LBB212_64:                             ;   in Loop: Header=BB212_35 Depth=1
	v_mov_b32_e32 v9, s40
	ds_load_b32 v9, v9
	s_waitcnt lgkmcnt(0)
	v_add_nc_u32_e32 v8, v9, v8
	s_or_b32 exec_lo, exec_lo, s43
	s_and_saveexec_b32 s43, s13
	s_cbranch_execz .LBB212_49
.LBB212_65:                             ;   in Loop: Header=BB212_35 Depth=1
	v_mov_b32_e32 v9, s41
	ds_load_b32 v9, v9
	s_waitcnt lgkmcnt(0)
	v_add_nc_u32_e32 v8, v9, v8
	s_or_b32 exec_lo, exec_lo, s43
	s_and_saveexec_b32 s43, s14
	s_cbranch_execz .LBB212_50
.LBB212_66:                             ;   in Loop: Header=BB212_35 Depth=1
	v_mov_b32_e32 v9, s42
	ds_load_b32 v9, v9
	s_waitcnt lgkmcnt(0)
	v_add_nc_u32_e32 v8, v9, v8
	s_or_b32 exec_lo, exec_lo, s43
	s_and_saveexec_b32 s43, s15
	s_cbranch_execz .LBB212_51
.LBB212_67:                             ;   in Loop: Header=BB212_35 Depth=1
	s_delay_alu instid0(VALU_DEP_1) | instskip(NEXT) | instid1(VALU_DEP_1)
	v_add3_u32 v9, v5, -1, v8
	v_lshlrev_b32_e32 v10, 3, v9
	v_lshl_add_u32 v9, v9, 2, 0
	s_delay_alu instid0(VALU_DEP_2)
	v_add3_u32 v10, 0, v10, 0x10000
	ds_store_b32 v9, v7
	ds_store_b64 v10, v[2:3]
	s_or_b32 exec_lo, exec_lo, s43
	s_and_saveexec_b32 s15, vcc_lo
	s_cbranch_execz .LBB212_34
.LBB212_68:                             ;   in Loop: Header=BB212_35 Depth=1
	v_mov_b32_e32 v2, s38
	ds_store_b32 v2, v8
	s_branch .LBB212_34
.LBB212_69:                             ;   in Loop: Header=BB212_70 Depth=1
	s_or_b32 exec_lo, exec_lo, s4
	v_add_co_u32 v3, vcc_lo, 0x400, v3
	v_add_co_ci_u32_e32 v4, vcc_lo, 0, v4, vcc_lo
	s_delay_alu instid0(VALU_DEP_1) | instskip(SKIP_1) | instid1(SALU_CYCLE_1)
	v_cmp_le_i64_e32 vcc_lo, s[0:1], v[3:4]
	s_or_b32 s3, vcc_lo, s3
	s_and_not1_b32 exec_lo, exec_lo, s3
	s_cbranch_execz .LBB212_32
.LBB212_70:                             ; =>This Loop Header: Depth=1
                                        ;     Child Loop BB212_72 Depth 2
                                        ;       Child Loop BB212_78 Depth 3
                                        ;       Child Loop BB212_84 Depth 3
	v_lshlrev_b64 v[5:6], 3, v[3:4]
	v_lshlrev_b64 v[7:8], 2, v[3:4]
	s_mov_b32 s4, 0
	s_delay_alu instid0(VALU_DEP_2) | instskip(NEXT) | instid1(VALU_DEP_3)
	v_add_co_u32 v5, vcc_lo, s20, v5
	v_add_co_ci_u32_e32 v6, vcc_lo, s21, v6, vcc_lo
	s_delay_alu instid0(VALU_DEP_3) | instskip(NEXT) | instid1(VALU_DEP_4)
	v_add_co_u32 v7, vcc_lo, s18, v7
	v_add_co_ci_u32_e32 v8, vcc_lo, s19, v8, vcc_lo
	global_load_b64 v[5:6], v[5:6], off
	global_load_b32 v7, v[7:8], off
	s_waitcnt vmcnt(1)
	v_mul_f64 v[5:6], v[1:2], v[5:6]
	s_waitcnt vmcnt(0)
	v_subrev_nc_u32_e32 v9, s27, v7
	s_delay_alu instid0(VALU_DEP_1) | instskip(NEXT) | instid1(VALU_DEP_1)
	v_mul_lo_u32 v7, 0x89, v9
	v_and_b32_e32 v10, 0x3fff, v7
	s_branch .LBB212_72
.LBB212_71:                             ;   in Loop: Header=BB212_72 Depth=2
	s_or_b32 exec_lo, exec_lo, s5
	s_xor_b32 s5, s6, -1
	s_delay_alu instid0(SALU_CYCLE_1) | instskip(NEXT) | instid1(SALU_CYCLE_1)
	s_and_b32 s5, exec_lo, s5
	s_or_b32 s4, s5, s4
	s_delay_alu instid0(SALU_CYCLE_1)
	s_and_not1_b32 exec_lo, exec_lo, s4
	s_cbranch_execz .LBB212_69
.LBB212_72:                             ;   Parent Loop BB212_70 Depth=1
                                        ; =>  This Loop Header: Depth=2
                                        ;       Child Loop BB212_78 Depth 3
                                        ;       Child Loop BB212_84 Depth 3
	s_delay_alu instid0(VALU_DEP_1)
	v_lshl_add_u32 v7, v10, 2, 0
	s_mov_b32 s5, exec_lo
                                        ; implicit-def: $sgpr6
	ds_load_b32 v8, v7
	s_waitcnt lgkmcnt(0)
	v_cmpx_ne_u32_e64 v8, v9
	s_xor_b32 s5, exec_lo, s5
	s_cbranch_execz .LBB212_82
; %bb.73:                               ;   in Loop: Header=BB212_72 Depth=2
	s_mov_b32 s7, exec_lo
                                        ; implicit-def: $sgpr6
	v_cmpx_ne_u32_e64 s33, v8
	s_xor_b32 s7, exec_lo, s7
; %bb.74:                               ;   in Loop: Header=BB212_72 Depth=2
	v_add_nc_u32_e32 v7, 1, v10
	s_mov_b32 s6, -1
	s_delay_alu instid0(VALU_DEP_1)
	v_and_b32_e32 v10, 0x3fff, v7
                                        ; implicit-def: $vgpr7
; %bb.75:                               ;   in Loop: Header=BB212_72 Depth=2
	s_and_not1_saveexec_b32 s7, s7
	s_cbranch_execz .LBB212_81
; %bb.76:                               ;   in Loop: Header=BB212_72 Depth=2
	v_mov_b32_e32 v8, s33
	s_mov_b32 s9, -1
	s_mov_b32 s8, exec_lo
	ds_cmpstore_rtn_b32 v7, v7, v9, v8
	s_waitcnt lgkmcnt(0)
	v_cmpx_eq_u32_e64 s33, v7
	s_cbranch_execz .LBB212_80
; %bb.77:                               ;   in Loop: Header=BB212_72 Depth=2
	v_lshlrev_b32_e32 v7, 3, v10
	s_mov_b32 s9, 0
	s_delay_alu instid0(VALU_DEP_1)
	v_add3_u32 v11, 0, v7, 0x10000
	ds_load_b64 v[7:8], v11
.LBB212_78:                             ;   Parent Loop BB212_70 Depth=1
                                        ;     Parent Loop BB212_72 Depth=2
                                        ; =>    This Inner Loop Header: Depth=3
	s_waitcnt lgkmcnt(0)
	v_add_f64 v[12:13], v[7:8], v[5:6]
	ds_cmpstore_rtn_b64 v[12:13], v11, v[12:13], v[7:8]
	s_waitcnt lgkmcnt(0)
	v_cmp_eq_u64_e32 vcc_lo, v[12:13], v[7:8]
	v_dual_mov_b32 v7, v12 :: v_dual_mov_b32 v8, v13
	s_or_b32 s9, vcc_lo, s9
	s_delay_alu instid0(SALU_CYCLE_1)
	s_and_not1_b32 exec_lo, exec_lo, s9
	s_cbranch_execnz .LBB212_78
; %bb.79:                               ;   in Loop: Header=BB212_72 Depth=2
	s_or_b32 exec_lo, exec_lo, s9
	s_delay_alu instid0(SALU_CYCLE_1)
	s_xor_b32 s9, exec_lo, -1
.LBB212_80:                             ;   in Loop: Header=BB212_72 Depth=2
	s_or_b32 exec_lo, exec_lo, s8
	s_delay_alu instid0(SALU_CYCLE_1) | instskip(SKIP_1) | instid1(SALU_CYCLE_1)
	s_and_not1_b32 s6, s6, exec_lo
	s_and_b32 s8, s9, exec_lo
	s_or_b32 s6, s6, s8
.LBB212_81:                             ;   in Loop: Header=BB212_72 Depth=2
	s_or_b32 exec_lo, exec_lo, s7
	s_delay_alu instid0(SALU_CYCLE_1)
	s_and_b32 s6, s6, exec_lo
.LBB212_82:                             ;   in Loop: Header=BB212_72 Depth=2
	s_and_not1_saveexec_b32 s5, s5
	s_cbranch_execz .LBB212_71
; %bb.83:                               ;   in Loop: Header=BB212_72 Depth=2
	v_lshlrev_b32_e32 v7, 3, v10
	s_mov_b32 s7, 0
	s_delay_alu instid0(VALU_DEP_1)
	v_add3_u32 v11, 0, v7, 0x10000
	ds_load_b64 v[7:8], v11
.LBB212_84:                             ;   Parent Loop BB212_70 Depth=1
                                        ;     Parent Loop BB212_72 Depth=2
                                        ; =>    This Inner Loop Header: Depth=3
	s_waitcnt lgkmcnt(0)
	v_add_f64 v[12:13], v[7:8], v[5:6]
	ds_cmpstore_rtn_b64 v[12:13], v11, v[12:13], v[7:8]
	s_waitcnt lgkmcnt(0)
	v_cmp_eq_u64_e32 vcc_lo, v[12:13], v[7:8]
	v_dual_mov_b32 v7, v12 :: v_dual_mov_b32 v8, v13
	s_or_b32 s7, vcc_lo, s7
	s_delay_alu instid0(SALU_CYCLE_1)
	s_and_not1_b32 exec_lo, exec_lo, s7
	s_cbranch_execnz .LBB212_84
; %bb.85:                               ;   in Loop: Header=BB212_72 Depth=2
	s_or_b32 exec_lo, exec_lo, s7
	s_delay_alu instid0(SALU_CYCLE_1)
	s_and_not1_b32 s6, s6, exec_lo
	s_branch .LBB212_71
.LBB212_86:
	s_or_b32 exec_lo, exec_lo, s16
	s_ashr_i32 s35, s34, 31
	s_mov_b32 s4, exec_lo
	s_lshl_b64 s[0:1], s[34:35], 3
	s_delay_alu instid0(SALU_CYCLE_1) | instskip(SKIP_4) | instid1(SALU_CYCLE_1)
	s_add_u32 s0, s22, s0
	s_addc_u32 s1, s23, s1
	s_load_b128 s[0:3], s[0:1], 0x0
	s_waitcnt lgkmcnt(0)
	s_sub_i32 s3, s2, s0
	v_cmpx_gt_i32_e64 s3, v0
	s_cbranch_execz .LBB212_96
; %bb.87:
	s_sub_u32 s4, s0, s26
	s_subb_u32 s5, s1, 0
	s_sub_i32 s0, s0, s2
	s_and_b32 s1, s3, 7
	s_cmp_lt_u32 s0, -7
	s_mov_b32 s8, 0
	s_cselect_b32 s2, -1, 0
	s_and_b32 s6, s3, -8
	s_cmp_lg_u32 s1, 0
	s_cselect_b32 s7, -1, 0
	s_branch .LBB212_89
.LBB212_88:                             ;   in Loop: Header=BB212_89 Depth=1
	s_delay_alu instid0(VALU_DEP_1) | instskip(SKIP_4) | instid1(VALU_DEP_4)
	v_lshlrev_b64 v[6:7], 2, v[3:4]
	v_lshlrev_b64 v[3:4], 3, v[3:4]
	v_add_nc_u32_e32 v0, 0x400, v0
	s_waitcnt lgkmcnt(1)
	v_add_nc_u32_e32 v8, s26, v5
	v_add_co_u32 v5, vcc_lo, s28, v6
	v_add_co_ci_u32_e32 v6, vcc_lo, s29, v7, vcc_lo
	v_cmp_le_i32_e32 vcc_lo, s3, v0
	v_add_co_u32 v3, s0, s30, v3
	s_delay_alu instid0(VALU_DEP_1)
	v_add_co_ci_u32_e64 v4, s0, s31, v4, s0
	s_or_b32 s8, vcc_lo, s8
	global_store_b32 v[5:6], v8, off
	s_waitcnt lgkmcnt(0)
	global_store_b64 v[3:4], v[1:2], off
	s_and_not1_b32 exec_lo, exec_lo, s8
	s_cbranch_execz .LBB212_96
.LBB212_89:                             ; =>This Loop Header: Depth=1
                                        ;     Child Loop BB212_91 Depth 2
                                        ;     Child Loop BB212_95 Depth 2
	v_lshlrev_b32_e32 v1, 3, v0
	v_lshl_add_u32 v2, v0, 2, 0
	v_dual_mov_b32 v3, s4 :: v_dual_mov_b32 v4, s5
	s_and_not1_b32 vcc_lo, exec_lo, s2
	s_delay_alu instid0(VALU_DEP_3)
	v_add3_u32 v1, 0, v1, 0x10000
	s_mov_b32 s0, 0
	ds_load_b32 v5, v2
	ds_load_b64 v[1:2], v1
	s_cbranch_vccnz .LBB212_93
; %bb.90:                               ;   in Loop: Header=BB212_89 Depth=1
	v_dual_mov_b32 v3, s4 :: v_dual_mov_b32 v4, s5
	s_mov_b32 s9, 0
	s_mov_b32 s10, 0
.LBB212_91:                             ;   Parent Loop BB212_89 Depth=1
                                        ; =>  This Inner Loop Header: Depth=2
	s_delay_alu instid0(SALU_CYCLE_1)
	v_mov_b32_e32 v12, s10
	s_add_i32 s9, s9, 8
	s_add_i32 s10, s10, 32
	s_cmp_eq_u32 s6, s9
	ds_load_2addr_b32 v[6:7], v12 offset1:1
	ds_load_2addr_b32 v[8:9], v12 offset0:2 offset1:3
	ds_load_2addr_b32 v[10:11], v12 offset0:4 offset1:5
	;; [unrolled: 1-line block ×3, first 2 shown]
	s_waitcnt lgkmcnt(3)
	v_cmp_gt_i32_e32 vcc_lo, v5, v6
	v_cndmask_b32_e64 v6, 0, 1, vcc_lo
	v_cmp_gt_i32_e32 vcc_lo, v5, v7
	v_cndmask_b32_e64 v7, 0, 1, vcc_lo
	s_waitcnt lgkmcnt(2)
	v_cmp_gt_i32_e32 vcc_lo, v5, v8
	v_cndmask_b32_e64 v8, 0, 1, vcc_lo
	v_cmp_gt_i32_e32 vcc_lo, v5, v9
	v_cndmask_b32_e64 v9, 0, 1, vcc_lo
	s_waitcnt lgkmcnt(1)
	v_cmp_gt_i32_e32 vcc_lo, v5, v10
	v_cndmask_b32_e64 v10, 0, 1, vcc_lo
	v_add_co_u32 v3, vcc_lo, v3, v6
	v_add_co_ci_u32_e32 v4, vcc_lo, 0, v4, vcc_lo
	v_cmp_gt_i32_e32 vcc_lo, v5, v11
	s_delay_alu instid0(VALU_DEP_3) | instskip(NEXT) | instid1(VALU_DEP_1)
	v_add_co_u32 v3, s0, v3, v7
	v_add_co_ci_u32_e64 v4, s0, 0, v4, s0
	v_cndmask_b32_e64 v6, 0, 1, vcc_lo
	s_delay_alu instid0(VALU_DEP_3) | instskip(NEXT) | instid1(VALU_DEP_3)
	v_add_co_u32 v3, vcc_lo, v3, v8
	v_add_co_ci_u32_e32 v4, vcc_lo, 0, v4, vcc_lo
	s_waitcnt lgkmcnt(0)
	v_cmp_gt_i32_e32 vcc_lo, v5, v12
	s_delay_alu instid0(VALU_DEP_3) | instskip(NEXT) | instid1(VALU_DEP_1)
	v_add_co_u32 v3, s0, v3, v9
	v_add_co_ci_u32_e64 v4, s0, 0, v4, s0
	v_cndmask_b32_e64 v7, 0, 1, vcc_lo
	s_delay_alu instid0(VALU_DEP_3) | instskip(NEXT) | instid1(VALU_DEP_3)
	v_add_co_u32 v3, vcc_lo, v3, v10
	v_add_co_ci_u32_e32 v4, vcc_lo, 0, v4, vcc_lo
	v_cmp_gt_i32_e32 vcc_lo, v5, v13
	s_delay_alu instid0(VALU_DEP_3) | instskip(NEXT) | instid1(VALU_DEP_1)
	v_add_co_u32 v3, s0, v3, v6
	v_add_co_ci_u32_e64 v4, s0, 0, v4, s0
	v_cndmask_b32_e64 v6, 0, 1, vcc_lo
	s_delay_alu instid0(VALU_DEP_3) | instskip(NEXT) | instid1(VALU_DEP_3)
	v_add_co_u32 v3, vcc_lo, v3, v7
	v_add_co_ci_u32_e32 v4, vcc_lo, 0, v4, vcc_lo
	s_delay_alu instid0(VALU_DEP_2) | instskip(NEXT) | instid1(VALU_DEP_2)
	v_add_co_u32 v3, vcc_lo, v3, v6
	v_add_co_ci_u32_e32 v4, vcc_lo, 0, v4, vcc_lo
	s_cbranch_scc0 .LBB212_91
; %bb.92:                               ;   in Loop: Header=BB212_89 Depth=1
	s_mov_b32 s0, s6
.LBB212_93:                             ;   in Loop: Header=BB212_89 Depth=1
	s_and_not1_b32 vcc_lo, exec_lo, s7
	s_cbranch_vccnz .LBB212_88
; %bb.94:                               ;   in Loop: Header=BB212_89 Depth=1
	s_lshl_b32 s0, s0, 2
	s_mov_b32 s9, s1
	s_add_i32 s0, s0, 0
.LBB212_95:                             ;   Parent Loop BB212_89 Depth=1
                                        ; =>  This Inner Loop Header: Depth=2
	s_delay_alu instid0(SALU_CYCLE_1)
	v_mov_b32_e32 v6, s0
	s_add_i32 s9, s9, -1
	s_add_i32 s0, s0, 4
	s_cmp_lg_u32 s9, 0
	ds_load_b32 v6, v6
	s_waitcnt lgkmcnt(0)
	v_cmp_gt_i32_e32 vcc_lo, v5, v6
	v_cndmask_b32_e64 v6, 0, 1, vcc_lo
	s_delay_alu instid0(VALU_DEP_1)
	v_add_co_u32 v3, vcc_lo, v3, v6
	v_add_co_ci_u32_e32 v4, vcc_lo, 0, v4, vcc_lo
	s_cbranch_scc1 .LBB212_95
	s_branch .LBB212_88
.LBB212_96:
	s_nop 0
	s_sendmsg sendmsg(MSG_DEALLOC_VGPRS)
	s_endpgm
	.section	.rodata,"a",@progbits
	.p2align	6, 0x0
	.amdhsa_kernel _ZN9rocsparseL26csrgemm_fill_block_per_rowILj1024ELj64ELj16384ELj137ELj64ElidEEvT5_PKS1_S3_NS_24const_host_device_scalarIT6_EEPKT4_S3_PKS5_S9_S3_SB_S6_S9_S3_SB_S9_PS1_PS5_21rocsparse_index_base_SE_SE_SE_bbb
		.amdhsa_group_segment_fixed_size 0
		.amdhsa_private_segment_fixed_size 0
		.amdhsa_kernarg_size 156
		.amdhsa_user_sgpr_count 15
		.amdhsa_user_sgpr_dispatch_ptr 0
		.amdhsa_user_sgpr_queue_ptr 0
		.amdhsa_user_sgpr_kernarg_segment_ptr 1
		.amdhsa_user_sgpr_dispatch_id 0
		.amdhsa_user_sgpr_private_segment_size 0
		.amdhsa_wavefront_size32 1
		.amdhsa_uses_dynamic_stack 0
		.amdhsa_enable_private_segment 0
		.amdhsa_system_sgpr_workgroup_id_x 1
		.amdhsa_system_sgpr_workgroup_id_y 0
		.amdhsa_system_sgpr_workgroup_id_z 0
		.amdhsa_system_sgpr_workgroup_info 0
		.amdhsa_system_vgpr_workitem_id 0
		.amdhsa_next_free_vgpr 28
		.amdhsa_next_free_sgpr 44
		.amdhsa_reserve_vcc 1
		.amdhsa_float_round_mode_32 0
		.amdhsa_float_round_mode_16_64 0
		.amdhsa_float_denorm_mode_32 3
		.amdhsa_float_denorm_mode_16_64 3
		.amdhsa_dx10_clamp 1
		.amdhsa_ieee_mode 1
		.amdhsa_fp16_overflow 0
		.amdhsa_workgroup_processor_mode 1
		.amdhsa_memory_ordered 1
		.amdhsa_forward_progress 0
		.amdhsa_shared_vgpr_count 0
		.amdhsa_exception_fp_ieee_invalid_op 0
		.amdhsa_exception_fp_denorm_src 0
		.amdhsa_exception_fp_ieee_div_zero 0
		.amdhsa_exception_fp_ieee_overflow 0
		.amdhsa_exception_fp_ieee_underflow 0
		.amdhsa_exception_fp_ieee_inexact 0
		.amdhsa_exception_int_div_zero 0
	.end_amdhsa_kernel
	.section	.text._ZN9rocsparseL26csrgemm_fill_block_per_rowILj1024ELj64ELj16384ELj137ELj64ElidEEvT5_PKS1_S3_NS_24const_host_device_scalarIT6_EEPKT4_S3_PKS5_S9_S3_SB_S6_S9_S3_SB_S9_PS1_PS5_21rocsparse_index_base_SE_SE_SE_bbb,"axG",@progbits,_ZN9rocsparseL26csrgemm_fill_block_per_rowILj1024ELj64ELj16384ELj137ELj64ElidEEvT5_PKS1_S3_NS_24const_host_device_scalarIT6_EEPKT4_S3_PKS5_S9_S3_SB_S6_S9_S3_SB_S9_PS1_PS5_21rocsparse_index_base_SE_SE_SE_bbb,comdat
.Lfunc_end212:
	.size	_ZN9rocsparseL26csrgemm_fill_block_per_rowILj1024ELj64ELj16384ELj137ELj64ElidEEvT5_PKS1_S3_NS_24const_host_device_scalarIT6_EEPKT4_S3_PKS5_S9_S3_SB_S6_S9_S3_SB_S9_PS1_PS5_21rocsparse_index_base_SE_SE_SE_bbb, .Lfunc_end212-_ZN9rocsparseL26csrgemm_fill_block_per_rowILj1024ELj64ELj16384ELj137ELj64ElidEEvT5_PKS1_S3_NS_24const_host_device_scalarIT6_EEPKT4_S3_PKS5_S9_S3_SB_S6_S9_S3_SB_S9_PS1_PS5_21rocsparse_index_base_SE_SE_SE_bbb
                                        ; -- End function
	.section	.AMDGPU.csdata,"",@progbits
; Kernel info:
; codeLenInByte = 4028
; NumSgprs: 46
; NumVgprs: 28
; ScratchSize: 0
; MemoryBound: 0
; FloatMode: 240
; IeeeMode: 1
; LDSByteSize: 0 bytes/workgroup (compile time only)
; SGPRBlocks: 5
; VGPRBlocks: 3
; NumSGPRsForWavesPerEU: 46
; NumVGPRsForWavesPerEU: 28
; Occupancy: 16
; WaveLimiterHint : 1
; COMPUTE_PGM_RSRC2:SCRATCH_EN: 0
; COMPUTE_PGM_RSRC2:USER_SGPR: 15
; COMPUTE_PGM_RSRC2:TRAP_HANDLER: 0
; COMPUTE_PGM_RSRC2:TGID_X_EN: 1
; COMPUTE_PGM_RSRC2:TGID_Y_EN: 0
; COMPUTE_PGM_RSRC2:TGID_Z_EN: 0
; COMPUTE_PGM_RSRC2:TIDIG_COMP_CNT: 0
	.section	.text._ZN9rocsparseL26csrgemm_fill_block_per_rowILj1024ELj64ELj32768ELj137ELj32ElidEEvT5_PKS1_S3_NS_24const_host_device_scalarIT6_EEPKT4_S3_PKS5_S9_S3_SB_S6_S9_S3_SB_S9_PS1_PS5_21rocsparse_index_base_SE_SE_SE_bbb,"axG",@progbits,_ZN9rocsparseL26csrgemm_fill_block_per_rowILj1024ELj64ELj32768ELj137ELj32ElidEEvT5_PKS1_S3_NS_24const_host_device_scalarIT6_EEPKT4_S3_PKS5_S9_S3_SB_S6_S9_S3_SB_S9_PS1_PS5_21rocsparse_index_base_SE_SE_SE_bbb,comdat
	.globl	_ZN9rocsparseL26csrgemm_fill_block_per_rowILj1024ELj64ELj32768ELj137ELj32ElidEEvT5_PKS1_S3_NS_24const_host_device_scalarIT6_EEPKT4_S3_PKS5_S9_S3_SB_S6_S9_S3_SB_S9_PS1_PS5_21rocsparse_index_base_SE_SE_SE_bbb ; -- Begin function _ZN9rocsparseL26csrgemm_fill_block_per_rowILj1024ELj64ELj32768ELj137ELj32ElidEEvT5_PKS1_S3_NS_24const_host_device_scalarIT6_EEPKT4_S3_PKS5_S9_S3_SB_S6_S9_S3_SB_S9_PS1_PS5_21rocsparse_index_base_SE_SE_SE_bbb
	.p2align	8
	.type	_ZN9rocsparseL26csrgemm_fill_block_per_rowILj1024ELj64ELj32768ELj137ELj32ElidEEvT5_PKS1_S3_NS_24const_host_device_scalarIT6_EEPKT4_S3_PKS5_S9_S3_SB_S6_S9_S3_SB_S9_PS1_PS5_21rocsparse_index_base_SE_SE_SE_bbb,@function
_ZN9rocsparseL26csrgemm_fill_block_per_rowILj1024ELj64ELj32768ELj137ELj32ElidEEvT5_PKS1_S3_NS_24const_host_device_scalarIT6_EEPKT4_S3_PKS5_S9_S3_SB_S6_S9_S3_SB_S9_PS1_PS5_21rocsparse_index_base_SE_SE_SE_bbb: ; @_ZN9rocsparseL26csrgemm_fill_block_per_rowILj1024ELj64ELj32768ELj137ELj32ElidEEvT5_PKS1_S3_NS_24const_host_device_scalarIT6_EEPKT4_S3_PKS5_S9_S3_SB_S6_S9_S3_SB_S9_PS1_PS5_21rocsparse_index_base_SE_SE_SE_bbb
; %bb.0:
	s_clause 0x3
	s_load_b32 s12, s[0:1], 0x98
	s_load_b64 s[4:5], s[0:1], 0x18
	s_load_b128 s[44:47], s[0:1], 0x88
	s_load_b64 s[2:3], s[0:1], 0x50
	s_waitcnt lgkmcnt(0)
	s_and_b32 s6, 1, s12
	s_bitcmp1_b32 s12, 16
	s_cselect_b32 s14, -1, 0
	s_cmp_eq_u32 s6, 1
	s_cselect_b32 s13, -1, 0
	s_delay_alu instid0(SALU_CYCLE_1)
	s_and_b32 s6, s13, exec_lo
	s_cselect_b32 s7, s5, 0
	s_cselect_b32 s6, s4, 0
	s_xor_b32 s8, s13, -1
	v_dual_mov_b32 v3, s6 :: v_dual_mov_b32 v4, s7
	s_or_b32 s8, s8, s14
	s_delay_alu instid0(SALU_CYCLE_1)
	s_and_b32 vcc_lo, exec_lo, s8
	s_cbranch_vccnz .LBB213_2
; %bb.1:
	v_dual_mov_b32 v1, s4 :: v_dual_mov_b32 v2, s5
	flat_load_b64 v[3:4], v[1:2]
.LBB213_2:
	s_clause 0x4
	s_load_b128 s[48:51], s[0:1], 0x78
	s_load_b256 s[36:43], s[0:1], 0x58
	s_load_b128 s[16:19], s[0:1], 0x40
	s_load_b128 s[20:23], s[0:1], 0x8
	s_load_b256 s[4:11], s[0:1], 0x20
	s_bitcmp1_b32 s12, 8
	s_cselect_b32 s12, -1, 0
	s_delay_alu instid0(SALU_CYCLE_1)
	s_and_b32 s24, s12, exec_lo
	s_cselect_b32 s25, s3, 0
	s_cselect_b32 s24, s2, 0
	s_xor_b32 s26, s12, -1
	v_dual_mov_b32 v1, s24 :: v_dual_mov_b32 v2, s25
	s_or_b32 s14, s26, s14
	s_delay_alu instid0(SALU_CYCLE_1)
	s_and_b32 vcc_lo, exec_lo, s14
	s_cbranch_vccnz .LBB213_4
; %bb.3:
	v_dual_mov_b32 v1, s2 :: v_dual_mov_b32 v2, s3
	flat_load_b64 v[1:2], v[1:2]
.LBB213_4:
	s_load_b32 s33, s[0:1], 0x0
	v_dual_mov_b32 v5, 0 :: v_dual_lshlrev_b32 v6, 3, v0
	v_lshl_add_u32 v17, v0, 2, 0
	v_or_b32_e32 v19, 0xfffffc00, v0
	s_mov_b32 s0, 0
	s_delay_alu instid0(VALU_DEP_3) | instskip(SKIP_1) | instid1(VALU_DEP_3)
	v_add3_u32 v18, v6, 0, 0x20000
	v_mov_b32_e32 v6, v5
	v_dual_mov_b32 v7, v17 :: v_dual_mov_b32 v10, v19
	s_waitcnt lgkmcnt(0)
	s_delay_alu instid0(VALU_DEP_3)
	v_dual_mov_b32 v8, v18 :: v_dual_mov_b32 v9, s33
.LBB213_5:                              ; =>This Inner Loop Header: Depth=1
	s_delay_alu instid0(VALU_DEP_2)
	v_add_nc_u32_e32 v10, 0x400, v10
	ds_store_b32 v7, v9
	ds_store_b64 v8, v[5:6]
	v_add_nc_u32_e32 v8, 0x2000, v8
	v_add_nc_u32_e32 v7, 0x1000, v7
	v_cmp_lt_u32_e32 vcc_lo, 0x7bff, v10
	s_or_b32 s0, vcc_lo, s0
	s_delay_alu instid0(SALU_CYCLE_1)
	s_and_not1_b32 exec_lo, exec_lo, s0
	s_cbranch_execnz .LBB213_5
; %bb.6:
	s_or_b32 exec_lo, exec_lo, s0
	s_waitcnt vmcnt(0) lgkmcnt(0)
	s_barrier
	buffer_gl0_inv
	s_load_b32 s0, s[20:21], 0x0
	s_mov_b32 s1, 0
	s_waitcnt lgkmcnt(0)
	s_add_i32 s0, s0, s15
	s_delay_alu instid0(SALU_CYCLE_1) | instskip(NEXT) | instid1(SALU_CYCLE_1)
	s_lshl_b64 s[0:1], s[0:1], 2
	s_add_u32 s0, s22, s0
	s_addc_u32 s1, s23, s1
	s_and_b32 vcc_lo, exec_lo, s13
	s_load_b32 s34, s[0:1], 0x0
	s_cbranch_vccz .LBB213_30
; %bb.7:
	s_waitcnt lgkmcnt(0)
	s_ashr_i32 s35, s34, 31
	v_lshrrev_b32_e32 v5, 6, v0
	s_lshl_b64 s[0:1], s[34:35], 3
	s_delay_alu instid0(SALU_CYCLE_1) | instskip(SKIP_1) | instid1(VALU_DEP_1)
	s_add_u32 s0, s4, s0
	s_addc_u32 s1, s5, s1
	v_sub_co_u32 v5, s4, v5, s44
	s_load_b128 s[0:3], s[0:1], 0x0
	v_sub_co_ci_u32_e64 v6, null, 0, 0, s4
	s_waitcnt lgkmcnt(0)
	s_delay_alu instid0(VALU_DEP_2) | instskip(NEXT) | instid1(VALU_DEP_2)
	v_add_co_u32 v5, vcc_lo, s0, v5
	v_add_co_ci_u32_e32 v6, vcc_lo, s1, v6, vcc_lo
	s_sub_u32 s0, s2, s44
	s_subb_u32 s1, s3, 0
	s_mov_b32 s2, exec_lo
	s_delay_alu instid0(VALU_DEP_1)
	v_cmpx_gt_i64_e64 s[0:1], v[5:6]
	s_cbranch_execz .LBB213_29
; %bb.8:
	v_and_b32_e32 v7, 63, v0
	s_mov_b32 s4, s45
	s_delay_alu instid0(VALU_DEP_1) | instskip(NEXT) | instid1(VALU_DEP_1)
	v_sub_co_u32 v20, s3, v7, s45
	v_sub_co_ci_u32_e64 v21, null, 0, 0, s3
	s_mov_b32 s3, 0
	s_branch .LBB213_10
.LBB213_9:                              ;   in Loop: Header=BB213_10 Depth=1
	s_or_b32 exec_lo, exec_lo, s5
	v_add_co_u32 v5, vcc_lo, v5, 16
	v_add_co_ci_u32_e32 v6, vcc_lo, 0, v6, vcc_lo
	s_delay_alu instid0(VALU_DEP_1) | instskip(SKIP_1) | instid1(SALU_CYCLE_1)
	v_cmp_le_i64_e32 vcc_lo, s[0:1], v[5:6]
	s_or_b32 s3, vcc_lo, s3
	s_and_not1_b32 exec_lo, exec_lo, s3
	s_cbranch_execz .LBB213_29
.LBB213_10:                             ; =>This Loop Header: Depth=1
                                        ;     Child Loop BB213_13 Depth 2
                                        ;       Child Loop BB213_15 Depth 3
                                        ;         Child Loop BB213_21 Depth 4
                                        ;         Child Loop BB213_27 Depth 4
	v_lshlrev_b64 v[7:8], 2, v[5:6]
	s_mov_b32 s5, exec_lo
	s_delay_alu instid0(VALU_DEP_1) | instskip(NEXT) | instid1(VALU_DEP_2)
	v_add_co_u32 v7, vcc_lo, s6, v7
	v_add_co_ci_u32_e32 v8, vcc_lo, s7, v8, vcc_lo
	global_load_b32 v7, v[7:8], off
	s_waitcnt vmcnt(0)
	v_subrev_nc_u32_e32 v7, s44, v7
	s_delay_alu instid0(VALU_DEP_1) | instskip(NEXT) | instid1(VALU_DEP_1)
	v_ashrrev_i32_e32 v8, 31, v7
	v_lshlrev_b64 v[7:8], 3, v[7:8]
	s_delay_alu instid0(VALU_DEP_1) | instskip(NEXT) | instid1(VALU_DEP_2)
	v_add_co_u32 v7, vcc_lo, s10, v7
	v_add_co_ci_u32_e32 v8, vcc_lo, s11, v8, vcc_lo
	global_load_b128 v[9:12], v[7:8], off
	s_waitcnt vmcnt(0)
	v_sub_co_u32 v7, vcc_lo, v11, s4
	v_subrev_co_ci_u32_e32 v8, vcc_lo, 0, v12, vcc_lo
	v_add_co_u32 v9, vcc_lo, v9, v20
	v_add_co_ci_u32_e32 v10, vcc_lo, v10, v21, vcc_lo
	s_delay_alu instid0(VALU_DEP_1)
	v_cmpx_lt_i64_e64 v[9:10], v[7:8]
	s_cbranch_execz .LBB213_9
; %bb.11:                               ;   in Loop: Header=BB213_10 Depth=1
	v_lshlrev_b64 v[11:12], 3, v[5:6]
	s_mov_b32 s13, 0
	s_delay_alu instid0(VALU_DEP_1) | instskip(NEXT) | instid1(VALU_DEP_2)
	v_add_co_u32 v11, vcc_lo, s8, v11
	v_add_co_ci_u32_e32 v12, vcc_lo, s9, v12, vcc_lo
	global_load_b64 v[11:12], v[11:12], off
	s_waitcnt vmcnt(0)
	v_mul_f64 v[11:12], v[3:4], v[11:12]
	s_branch .LBB213_13
.LBB213_12:                             ;   in Loop: Header=BB213_13 Depth=2
	s_or_b32 exec_lo, exec_lo, s14
	v_add_co_u32 v9, vcc_lo, v9, 64
	v_add_co_ci_u32_e32 v10, vcc_lo, 0, v10, vcc_lo
	s_delay_alu instid0(VALU_DEP_1) | instskip(SKIP_1) | instid1(SALU_CYCLE_1)
	v_cmp_ge_i64_e32 vcc_lo, v[9:10], v[7:8]
	s_or_b32 s13, vcc_lo, s13
	s_and_not1_b32 exec_lo, exec_lo, s13
	s_cbranch_execz .LBB213_9
.LBB213_13:                             ;   Parent Loop BB213_10 Depth=1
                                        ; =>  This Loop Header: Depth=2
                                        ;       Child Loop BB213_15 Depth 3
                                        ;         Child Loop BB213_21 Depth 4
                                        ;         Child Loop BB213_27 Depth 4
	v_lshlrev_b64 v[13:14], 3, v[9:10]
	v_lshlrev_b64 v[15:16], 2, v[9:10]
	s_mov_b32 s14, 0
	s_delay_alu instid0(VALU_DEP_2) | instskip(NEXT) | instid1(VALU_DEP_3)
	v_add_co_u32 v13, vcc_lo, s18, v13
	v_add_co_ci_u32_e32 v14, vcc_lo, s19, v14, vcc_lo
	s_delay_alu instid0(VALU_DEP_3) | instskip(NEXT) | instid1(VALU_DEP_4)
	v_add_co_u32 v15, vcc_lo, s16, v15
	v_add_co_ci_u32_e32 v16, vcc_lo, s17, v16, vcc_lo
	global_load_b64 v[13:14], v[13:14], off
	global_load_b32 v15, v[15:16], off
	s_waitcnt vmcnt(1)
	v_mul_f64 v[13:14], v[11:12], v[13:14]
	s_waitcnt vmcnt(0)
	v_subrev_nc_u32_e32 v22, s45, v15
	s_delay_alu instid0(VALU_DEP_1) | instskip(NEXT) | instid1(VALU_DEP_1)
	v_mul_lo_u32 v15, 0x89, v22
	v_and_b32_e32 v23, 0x7fff, v15
	s_branch .LBB213_15
.LBB213_14:                             ;   in Loop: Header=BB213_15 Depth=3
	s_or_b32 exec_lo, exec_lo, s15
	s_xor_b32 s15, s20, -1
	s_delay_alu instid0(SALU_CYCLE_1) | instskip(NEXT) | instid1(SALU_CYCLE_1)
	s_and_b32 s15, exec_lo, s15
	s_or_b32 s14, s15, s14
	s_delay_alu instid0(SALU_CYCLE_1)
	s_and_not1_b32 exec_lo, exec_lo, s14
	s_cbranch_execz .LBB213_12
.LBB213_15:                             ;   Parent Loop BB213_10 Depth=1
                                        ;     Parent Loop BB213_13 Depth=2
                                        ; =>    This Loop Header: Depth=3
                                        ;         Child Loop BB213_21 Depth 4
                                        ;         Child Loop BB213_27 Depth 4
	s_delay_alu instid0(VALU_DEP_1)
	v_lshl_add_u32 v15, v23, 2, 0
	s_mov_b32 s15, exec_lo
                                        ; implicit-def: $sgpr20
	ds_load_b32 v16, v15
	s_waitcnt lgkmcnt(0)
	v_cmpx_ne_u32_e64 v16, v22
	s_xor_b32 s15, exec_lo, s15
	s_cbranch_execz .LBB213_25
; %bb.16:                               ;   in Loop: Header=BB213_15 Depth=3
	s_mov_b32 s21, exec_lo
                                        ; implicit-def: $sgpr20
	v_cmpx_ne_u32_e64 s33, v16
	s_xor_b32 s21, exec_lo, s21
; %bb.17:                               ;   in Loop: Header=BB213_15 Depth=3
	v_add_nc_u32_e32 v15, 1, v23
	s_mov_b32 s20, -1
	s_delay_alu instid0(VALU_DEP_1)
	v_and_b32_e32 v23, 0x7fff, v15
                                        ; implicit-def: $vgpr15
; %bb.18:                               ;   in Loop: Header=BB213_15 Depth=3
	s_and_not1_saveexec_b32 s21, s21
	s_cbranch_execz .LBB213_24
; %bb.19:                               ;   in Loop: Header=BB213_15 Depth=3
	v_mov_b32_e32 v16, s33
	s_mov_b32 s23, -1
	s_mov_b32 s22, exec_lo
	ds_cmpstore_rtn_b32 v15, v15, v22, v16
	s_waitcnt lgkmcnt(0)
	v_cmpx_eq_u32_e64 s33, v15
	s_cbranch_execz .LBB213_23
; %bb.20:                               ;   in Loop: Header=BB213_15 Depth=3
	v_lshlrev_b32_e32 v15, 3, v23
	s_mov_b32 s23, 0
	s_delay_alu instid0(VALU_DEP_1)
	v_add3_u32 v24, 0, v15, 0x20000
	ds_load_b64 v[15:16], v24
.LBB213_21:                             ;   Parent Loop BB213_10 Depth=1
                                        ;     Parent Loop BB213_13 Depth=2
                                        ;       Parent Loop BB213_15 Depth=3
                                        ; =>      This Inner Loop Header: Depth=4
	s_waitcnt lgkmcnt(0)
	v_add_f64 v[25:26], v[15:16], v[13:14]
	ds_cmpstore_rtn_b64 v[25:26], v24, v[25:26], v[15:16]
	s_waitcnt lgkmcnt(0)
	v_cmp_eq_u64_e32 vcc_lo, v[25:26], v[15:16]
	v_dual_mov_b32 v15, v25 :: v_dual_mov_b32 v16, v26
	s_or_b32 s23, vcc_lo, s23
	s_delay_alu instid0(SALU_CYCLE_1)
	s_and_not1_b32 exec_lo, exec_lo, s23
	s_cbranch_execnz .LBB213_21
; %bb.22:                               ;   in Loop: Header=BB213_15 Depth=3
	s_or_b32 exec_lo, exec_lo, s23
	s_delay_alu instid0(SALU_CYCLE_1)
	s_xor_b32 s23, exec_lo, -1
.LBB213_23:                             ;   in Loop: Header=BB213_15 Depth=3
	s_or_b32 exec_lo, exec_lo, s22
	s_delay_alu instid0(SALU_CYCLE_1) | instskip(SKIP_1) | instid1(SALU_CYCLE_1)
	s_and_not1_b32 s20, s20, exec_lo
	s_and_b32 s22, s23, exec_lo
	s_or_b32 s20, s20, s22
.LBB213_24:                             ;   in Loop: Header=BB213_15 Depth=3
	s_or_b32 exec_lo, exec_lo, s21
	s_delay_alu instid0(SALU_CYCLE_1)
	s_and_b32 s20, s20, exec_lo
.LBB213_25:                             ;   in Loop: Header=BB213_15 Depth=3
	s_and_not1_saveexec_b32 s15, s15
	s_cbranch_execz .LBB213_14
; %bb.26:                               ;   in Loop: Header=BB213_15 Depth=3
	v_lshlrev_b32_e32 v15, 3, v23
	s_mov_b32 s21, 0
	s_delay_alu instid0(VALU_DEP_1)
	v_add3_u32 v24, 0, v15, 0x20000
	ds_load_b64 v[15:16], v24
.LBB213_27:                             ;   Parent Loop BB213_10 Depth=1
                                        ;     Parent Loop BB213_13 Depth=2
                                        ;       Parent Loop BB213_15 Depth=3
                                        ; =>      This Inner Loop Header: Depth=4
	s_waitcnt lgkmcnt(0)
	v_add_f64 v[25:26], v[15:16], v[13:14]
	ds_cmpstore_rtn_b64 v[25:26], v24, v[25:26], v[15:16]
	s_waitcnt lgkmcnt(0)
	v_cmp_eq_u64_e32 vcc_lo, v[25:26], v[15:16]
	v_dual_mov_b32 v15, v25 :: v_dual_mov_b32 v16, v26
	s_or_b32 s21, vcc_lo, s21
	s_delay_alu instid0(SALU_CYCLE_1)
	s_and_not1_b32 exec_lo, exec_lo, s21
	s_cbranch_execnz .LBB213_27
; %bb.28:                               ;   in Loop: Header=BB213_15 Depth=3
	s_or_b32 exec_lo, exec_lo, s21
	s_delay_alu instid0(SALU_CYCLE_1)
	s_and_not1_b32 s20, s20, exec_lo
	s_branch .LBB213_14
.LBB213_29:
	s_or_b32 exec_lo, exec_lo, s2
.LBB213_30:
	s_delay_alu instid0(SALU_CYCLE_1)
	s_and_not1_b32 vcc_lo, exec_lo, s12
	s_cbranch_vccnz .LBB213_33
; %bb.31:
	s_waitcnt lgkmcnt(0)
	s_ashr_i32 s35, s34, 31
	v_sub_co_u32 v3, s4, v0, s47
	s_lshl_b64 s[0:1], s[34:35], 3
	v_sub_co_ci_u32_e64 v4, null, 0, 0, s4
	s_add_u32 s0, s36, s0
	s_addc_u32 s1, s37, s1
	s_load_b128 s[0:3], s[0:1], 0x0
	s_waitcnt lgkmcnt(0)
	v_add_co_u32 v3, vcc_lo, s0, v3
	v_add_co_ci_u32_e32 v4, vcc_lo, s1, v4, vcc_lo
	s_sub_u32 s0, s2, s47
	s_subb_u32 s1, s3, 0
	s_mov_b32 s3, 0
	s_mov_b32 s2, exec_lo
	v_cmpx_gt_i64_e64 s[0:1], v[3:4]
	s_cbranch_execnz .LBB213_102
.LBB213_32:
	s_or_b32 exec_lo, exec_lo, s2
.LBB213_33:
	v_mbcnt_lo_u32_b32 v1, -1, 0
	v_lshrrev_b32_e32 v2, 3, v0
	s_add_i32 s70, 0, 0x6007c
	v_cmp_eq_u32_e32 vcc_lo, 0x3ff, v0
	v_cmp_lt_u32_e64 s0, 31, v0
	v_xor_b32_e32 v1, 63, v1
	v_dual_mov_b32 v6, s70 :: v_dual_and_b32 v3, 0x7c, v2
	v_cmp_lt_u32_e64 s1, 63, v0
	v_cmp_lt_u32_e64 s2, 0x5f, v0
	s_delay_alu instid0(VALU_DEP_4) | instskip(NEXT) | instid1(VALU_DEP_4)
	v_lshrrev_b64 v[1:2], v1, -1
	v_add3_u32 v4, 0, 0x60000, v3
	v_cmp_lt_u32_e64 s3, 0x7f, v0
	v_cmp_lt_u32_e64 s4, 0x9f, v0
	;; [unrolled: 1-line block ×28, first 2 shown]
	v_mov_b32_e32 v5, 0
	s_mov_b32 s35, 0
	s_add_i32 s36, 0, 0x60000
	s_add_i32 s37, 0, 0x60004
	;; [unrolled: 1-line block ×31, first 2 shown]
	s_waitcnt lgkmcnt(0)
	s_barrier
	buffer_gl0_inv
	s_branch .LBB213_35
.LBB213_34:                             ;   in Loop: Header=BB213_35 Depth=1
	s_or_b32 exec_lo, exec_lo, s31
	s_waitcnt lgkmcnt(0)
	s_barrier
	buffer_gl0_inv
	ds_load_b32 v2, v6
	v_add_nc_u32_e32 v19, 0x400, v19
	v_add_nc_u32_e32 v18, 0x2000, v18
	v_add_nc_u32_e32 v17, 0x1000, v17
	s_delay_alu instid0(VALU_DEP_3) | instskip(NEXT) | instid1(VALU_DEP_1)
	v_cmp_lt_u32_e64 s31, 0x7bff, v19
	s_or_b32 s35, s31, s35
	s_waitcnt lgkmcnt(0)
	v_add_nc_u32_e32 v5, v2, v5
	s_and_not1_b32 exec_lo, exec_lo, s35
	s_cbranch_execz .LBB213_118
.LBB213_35:                             ; =>This Inner Loop Header: Depth=1
	ds_load_b32 v7, v17
	ds_load_b64 v[2:3], v18
	s_waitcnt lgkmcnt(0)
	s_barrier
	buffer_gl0_inv
	v_cmp_gt_i32_e64 s31, s33, v7
	s_delay_alu instid0(VALU_DEP_1) | instskip(NEXT) | instid1(SALU_CYCLE_1)
	s_bcnt1_i32_b32 s75, s31
	v_dual_mov_b32 v9, s75 :: v_dual_and_b32 v8, s31, v1
	s_delay_alu instid0(VALU_DEP_1)
	v_bcnt_u32_b32 v8, v8, 0
	ds_store_b32 v4, v9
	s_waitcnt lgkmcnt(0)
	s_barrier
	buffer_gl0_inv
	s_and_saveexec_b32 s75, s0
	s_cbranch_execnz .LBB213_68
; %bb.36:                               ;   in Loop: Header=BB213_35 Depth=1
	s_or_b32 exec_lo, exec_lo, s75
	s_and_saveexec_b32 s75, s1
	s_cbranch_execnz .LBB213_69
.LBB213_37:                             ;   in Loop: Header=BB213_35 Depth=1
	s_or_b32 exec_lo, exec_lo, s75
	s_and_saveexec_b32 s75, s2
	s_cbranch_execnz .LBB213_70
.LBB213_38:                             ;   in Loop: Header=BB213_35 Depth=1
	s_or_b32 exec_lo, exec_lo, s75
	s_and_saveexec_b32 s75, s3
	s_cbranch_execnz .LBB213_71
.LBB213_39:                             ;   in Loop: Header=BB213_35 Depth=1
	s_or_b32 exec_lo, exec_lo, s75
	s_and_saveexec_b32 s75, s4
	s_cbranch_execnz .LBB213_72
.LBB213_40:                             ;   in Loop: Header=BB213_35 Depth=1
	s_or_b32 exec_lo, exec_lo, s75
	s_and_saveexec_b32 s75, s5
	s_cbranch_execnz .LBB213_73
.LBB213_41:                             ;   in Loop: Header=BB213_35 Depth=1
	s_or_b32 exec_lo, exec_lo, s75
	s_and_saveexec_b32 s75, s6
	s_cbranch_execnz .LBB213_74
.LBB213_42:                             ;   in Loop: Header=BB213_35 Depth=1
	s_or_b32 exec_lo, exec_lo, s75
	s_and_saveexec_b32 s75, s7
	s_cbranch_execnz .LBB213_75
.LBB213_43:                             ;   in Loop: Header=BB213_35 Depth=1
	s_or_b32 exec_lo, exec_lo, s75
	s_and_saveexec_b32 s75, s8
	s_cbranch_execnz .LBB213_76
.LBB213_44:                             ;   in Loop: Header=BB213_35 Depth=1
	s_or_b32 exec_lo, exec_lo, s75
	s_and_saveexec_b32 s75, s9
	s_cbranch_execnz .LBB213_77
.LBB213_45:                             ;   in Loop: Header=BB213_35 Depth=1
	s_or_b32 exec_lo, exec_lo, s75
	s_and_saveexec_b32 s75, s10
	s_cbranch_execnz .LBB213_78
.LBB213_46:                             ;   in Loop: Header=BB213_35 Depth=1
	s_or_b32 exec_lo, exec_lo, s75
	s_and_saveexec_b32 s75, s11
	s_cbranch_execnz .LBB213_79
.LBB213_47:                             ;   in Loop: Header=BB213_35 Depth=1
	s_or_b32 exec_lo, exec_lo, s75
	s_and_saveexec_b32 s75, s12
	s_cbranch_execnz .LBB213_80
.LBB213_48:                             ;   in Loop: Header=BB213_35 Depth=1
	s_or_b32 exec_lo, exec_lo, s75
	s_and_saveexec_b32 s75, s13
	s_cbranch_execnz .LBB213_81
.LBB213_49:                             ;   in Loop: Header=BB213_35 Depth=1
	s_or_b32 exec_lo, exec_lo, s75
	s_and_saveexec_b32 s75, s14
	s_cbranch_execnz .LBB213_82
.LBB213_50:                             ;   in Loop: Header=BB213_35 Depth=1
	s_or_b32 exec_lo, exec_lo, s75
	s_and_saveexec_b32 s75, s15
	s_cbranch_execnz .LBB213_83
.LBB213_51:                             ;   in Loop: Header=BB213_35 Depth=1
	s_or_b32 exec_lo, exec_lo, s75
	s_and_saveexec_b32 s75, s16
	s_cbranch_execnz .LBB213_84
.LBB213_52:                             ;   in Loop: Header=BB213_35 Depth=1
	s_or_b32 exec_lo, exec_lo, s75
	s_and_saveexec_b32 s75, s17
	s_cbranch_execnz .LBB213_85
.LBB213_53:                             ;   in Loop: Header=BB213_35 Depth=1
	s_or_b32 exec_lo, exec_lo, s75
	s_and_saveexec_b32 s75, s18
	s_cbranch_execnz .LBB213_86
.LBB213_54:                             ;   in Loop: Header=BB213_35 Depth=1
	s_or_b32 exec_lo, exec_lo, s75
	s_and_saveexec_b32 s75, s19
	s_cbranch_execnz .LBB213_87
.LBB213_55:                             ;   in Loop: Header=BB213_35 Depth=1
	s_or_b32 exec_lo, exec_lo, s75
	s_and_saveexec_b32 s75, s20
	s_cbranch_execnz .LBB213_88
.LBB213_56:                             ;   in Loop: Header=BB213_35 Depth=1
	s_or_b32 exec_lo, exec_lo, s75
	s_and_saveexec_b32 s75, s21
	s_cbranch_execnz .LBB213_89
.LBB213_57:                             ;   in Loop: Header=BB213_35 Depth=1
	s_or_b32 exec_lo, exec_lo, s75
	s_and_saveexec_b32 s75, s22
	s_cbranch_execnz .LBB213_90
.LBB213_58:                             ;   in Loop: Header=BB213_35 Depth=1
	s_or_b32 exec_lo, exec_lo, s75
	s_and_saveexec_b32 s75, s23
	s_cbranch_execnz .LBB213_91
.LBB213_59:                             ;   in Loop: Header=BB213_35 Depth=1
	s_or_b32 exec_lo, exec_lo, s75
	s_and_saveexec_b32 s75, s24
	s_cbranch_execnz .LBB213_92
.LBB213_60:                             ;   in Loop: Header=BB213_35 Depth=1
	s_or_b32 exec_lo, exec_lo, s75
	s_and_saveexec_b32 s75, s25
	s_cbranch_execnz .LBB213_93
.LBB213_61:                             ;   in Loop: Header=BB213_35 Depth=1
	s_or_b32 exec_lo, exec_lo, s75
	s_and_saveexec_b32 s75, s26
	s_cbranch_execnz .LBB213_94
.LBB213_62:                             ;   in Loop: Header=BB213_35 Depth=1
	s_or_b32 exec_lo, exec_lo, s75
	s_and_saveexec_b32 s75, s27
	s_cbranch_execnz .LBB213_95
.LBB213_63:                             ;   in Loop: Header=BB213_35 Depth=1
	s_or_b32 exec_lo, exec_lo, s75
	s_and_saveexec_b32 s75, s28
	s_cbranch_execnz .LBB213_96
.LBB213_64:                             ;   in Loop: Header=BB213_35 Depth=1
	s_or_b32 exec_lo, exec_lo, s75
	s_and_saveexec_b32 s75, s29
	s_cbranch_execnz .LBB213_97
.LBB213_65:                             ;   in Loop: Header=BB213_35 Depth=1
	s_or_b32 exec_lo, exec_lo, s75
	s_and_saveexec_b32 s75, s30
	s_cbranch_execnz .LBB213_98
.LBB213_66:                             ;   in Loop: Header=BB213_35 Depth=1
	s_or_b32 exec_lo, exec_lo, s75
	s_and_saveexec_b32 s75, s31
	s_cbranch_execnz .LBB213_99
.LBB213_67:                             ;   in Loop: Header=BB213_35 Depth=1
	s_or_b32 exec_lo, exec_lo, s75
	s_and_saveexec_b32 s31, vcc_lo
	s_cbranch_execz .LBB213_34
	s_branch .LBB213_100
.LBB213_68:                             ;   in Loop: Header=BB213_35 Depth=1
	v_mov_b32_e32 v9, s36
	ds_load_b32 v9, v9
	s_waitcnt lgkmcnt(0)
	v_add_nc_u32_e32 v8, v9, v8
	s_or_b32 exec_lo, exec_lo, s75
	s_and_saveexec_b32 s75, s1
	s_cbranch_execz .LBB213_37
.LBB213_69:                             ;   in Loop: Header=BB213_35 Depth=1
	v_mov_b32_e32 v9, s37
	ds_load_b32 v9, v9
	s_waitcnt lgkmcnt(0)
	v_add_nc_u32_e32 v8, v9, v8
	s_or_b32 exec_lo, exec_lo, s75
	s_and_saveexec_b32 s75, s2
	s_cbranch_execz .LBB213_38
.LBB213_70:                             ;   in Loop: Header=BB213_35 Depth=1
	v_mov_b32_e32 v9, s38
	ds_load_b32 v9, v9
	s_waitcnt lgkmcnt(0)
	v_add_nc_u32_e32 v8, v9, v8
	s_or_b32 exec_lo, exec_lo, s75
	s_and_saveexec_b32 s75, s3
	s_cbranch_execz .LBB213_39
.LBB213_71:                             ;   in Loop: Header=BB213_35 Depth=1
	v_mov_b32_e32 v9, s39
	ds_load_b32 v9, v9
	s_waitcnt lgkmcnt(0)
	v_add_nc_u32_e32 v8, v9, v8
	s_or_b32 exec_lo, exec_lo, s75
	s_and_saveexec_b32 s75, s4
	s_cbranch_execz .LBB213_40
.LBB213_72:                             ;   in Loop: Header=BB213_35 Depth=1
	v_mov_b32_e32 v9, s40
	ds_load_b32 v9, v9
	s_waitcnt lgkmcnt(0)
	v_add_nc_u32_e32 v8, v9, v8
	s_or_b32 exec_lo, exec_lo, s75
	s_and_saveexec_b32 s75, s5
	s_cbranch_execz .LBB213_41
.LBB213_73:                             ;   in Loop: Header=BB213_35 Depth=1
	v_mov_b32_e32 v9, s41
	ds_load_b32 v9, v9
	s_waitcnt lgkmcnt(0)
	v_add_nc_u32_e32 v8, v9, v8
	s_or_b32 exec_lo, exec_lo, s75
	s_and_saveexec_b32 s75, s6
	s_cbranch_execz .LBB213_42
.LBB213_74:                             ;   in Loop: Header=BB213_35 Depth=1
	v_mov_b32_e32 v9, s44
	ds_load_b32 v9, v9
	s_waitcnt lgkmcnt(0)
	v_add_nc_u32_e32 v8, v9, v8
	s_or_b32 exec_lo, exec_lo, s75
	s_and_saveexec_b32 s75, s7
	s_cbranch_execz .LBB213_43
.LBB213_75:                             ;   in Loop: Header=BB213_35 Depth=1
	v_mov_b32_e32 v9, s45
	ds_load_b32 v9, v9
	s_waitcnt lgkmcnt(0)
	v_add_nc_u32_e32 v8, v9, v8
	s_or_b32 exec_lo, exec_lo, s75
	s_and_saveexec_b32 s75, s8
	s_cbranch_execz .LBB213_44
.LBB213_76:                             ;   in Loop: Header=BB213_35 Depth=1
	v_mov_b32_e32 v9, s47
	ds_load_b32 v9, v9
	s_waitcnt lgkmcnt(0)
	v_add_nc_u32_e32 v8, v9, v8
	s_or_b32 exec_lo, exec_lo, s75
	s_and_saveexec_b32 s75, s9
	s_cbranch_execz .LBB213_45
.LBB213_77:                             ;   in Loop: Header=BB213_35 Depth=1
	v_mov_b32_e32 v9, s52
	ds_load_b32 v9, v9
	s_waitcnt lgkmcnt(0)
	v_add_nc_u32_e32 v8, v9, v8
	s_or_b32 exec_lo, exec_lo, s75
	s_and_saveexec_b32 s75, s10
	s_cbranch_execz .LBB213_46
.LBB213_78:                             ;   in Loop: Header=BB213_35 Depth=1
	v_mov_b32_e32 v9, s53
	ds_load_b32 v9, v9
	s_waitcnt lgkmcnt(0)
	v_add_nc_u32_e32 v8, v9, v8
	s_or_b32 exec_lo, exec_lo, s75
	s_and_saveexec_b32 s75, s11
	s_cbranch_execz .LBB213_47
.LBB213_79:                             ;   in Loop: Header=BB213_35 Depth=1
	v_mov_b32_e32 v9, s54
	ds_load_b32 v9, v9
	s_waitcnt lgkmcnt(0)
	v_add_nc_u32_e32 v8, v9, v8
	s_or_b32 exec_lo, exec_lo, s75
	s_and_saveexec_b32 s75, s12
	s_cbranch_execz .LBB213_48
.LBB213_80:                             ;   in Loop: Header=BB213_35 Depth=1
	v_mov_b32_e32 v9, s55
	ds_load_b32 v9, v9
	s_waitcnt lgkmcnt(0)
	v_add_nc_u32_e32 v8, v9, v8
	s_or_b32 exec_lo, exec_lo, s75
	s_and_saveexec_b32 s75, s13
	s_cbranch_execz .LBB213_49
.LBB213_81:                             ;   in Loop: Header=BB213_35 Depth=1
	v_mov_b32_e32 v9, s56
	ds_load_b32 v9, v9
	s_waitcnt lgkmcnt(0)
	v_add_nc_u32_e32 v8, v9, v8
	s_or_b32 exec_lo, exec_lo, s75
	s_and_saveexec_b32 s75, s14
	s_cbranch_execz .LBB213_50
.LBB213_82:                             ;   in Loop: Header=BB213_35 Depth=1
	v_mov_b32_e32 v9, s57
	ds_load_b32 v9, v9
	s_waitcnt lgkmcnt(0)
	v_add_nc_u32_e32 v8, v9, v8
	s_or_b32 exec_lo, exec_lo, s75
	s_and_saveexec_b32 s75, s15
	s_cbranch_execz .LBB213_51
.LBB213_83:                             ;   in Loop: Header=BB213_35 Depth=1
	v_mov_b32_e32 v9, s58
	ds_load_b32 v9, v9
	s_waitcnt lgkmcnt(0)
	v_add_nc_u32_e32 v8, v9, v8
	s_or_b32 exec_lo, exec_lo, s75
	s_and_saveexec_b32 s75, s16
	s_cbranch_execz .LBB213_52
.LBB213_84:                             ;   in Loop: Header=BB213_35 Depth=1
	v_mov_b32_e32 v9, s59
	ds_load_b32 v9, v9
	s_waitcnt lgkmcnt(0)
	v_add_nc_u32_e32 v8, v9, v8
	s_or_b32 exec_lo, exec_lo, s75
	s_and_saveexec_b32 s75, s17
	s_cbranch_execz .LBB213_53
.LBB213_85:                             ;   in Loop: Header=BB213_35 Depth=1
	v_mov_b32_e32 v9, s60
	ds_load_b32 v9, v9
	s_waitcnt lgkmcnt(0)
	v_add_nc_u32_e32 v8, v9, v8
	s_or_b32 exec_lo, exec_lo, s75
	s_and_saveexec_b32 s75, s18
	s_cbranch_execz .LBB213_54
.LBB213_86:                             ;   in Loop: Header=BB213_35 Depth=1
	v_mov_b32_e32 v9, s61
	ds_load_b32 v9, v9
	s_waitcnt lgkmcnt(0)
	v_add_nc_u32_e32 v8, v9, v8
	s_or_b32 exec_lo, exec_lo, s75
	s_and_saveexec_b32 s75, s19
	s_cbranch_execz .LBB213_55
.LBB213_87:                             ;   in Loop: Header=BB213_35 Depth=1
	v_mov_b32_e32 v9, s62
	ds_load_b32 v9, v9
	s_waitcnt lgkmcnt(0)
	v_add_nc_u32_e32 v8, v9, v8
	s_or_b32 exec_lo, exec_lo, s75
	s_and_saveexec_b32 s75, s20
	s_cbranch_execz .LBB213_56
.LBB213_88:                             ;   in Loop: Header=BB213_35 Depth=1
	v_mov_b32_e32 v9, s63
	ds_load_b32 v9, v9
	s_waitcnt lgkmcnt(0)
	v_add_nc_u32_e32 v8, v9, v8
	s_or_b32 exec_lo, exec_lo, s75
	s_and_saveexec_b32 s75, s21
	s_cbranch_execz .LBB213_57
.LBB213_89:                             ;   in Loop: Header=BB213_35 Depth=1
	v_mov_b32_e32 v9, s64
	ds_load_b32 v9, v9
	s_waitcnt lgkmcnt(0)
	v_add_nc_u32_e32 v8, v9, v8
	s_or_b32 exec_lo, exec_lo, s75
	s_and_saveexec_b32 s75, s22
	s_cbranch_execz .LBB213_58
.LBB213_90:                             ;   in Loop: Header=BB213_35 Depth=1
	v_mov_b32_e32 v9, s65
	ds_load_b32 v9, v9
	s_waitcnt lgkmcnt(0)
	v_add_nc_u32_e32 v8, v9, v8
	s_or_b32 exec_lo, exec_lo, s75
	s_and_saveexec_b32 s75, s23
	s_cbranch_execz .LBB213_59
.LBB213_91:                             ;   in Loop: Header=BB213_35 Depth=1
	v_mov_b32_e32 v9, s66
	ds_load_b32 v9, v9
	s_waitcnt lgkmcnt(0)
	v_add_nc_u32_e32 v8, v9, v8
	s_or_b32 exec_lo, exec_lo, s75
	s_and_saveexec_b32 s75, s24
	s_cbranch_execz .LBB213_60
.LBB213_92:                             ;   in Loop: Header=BB213_35 Depth=1
	v_mov_b32_e32 v9, s67
	ds_load_b32 v9, v9
	s_waitcnt lgkmcnt(0)
	v_add_nc_u32_e32 v8, v9, v8
	s_or_b32 exec_lo, exec_lo, s75
	s_and_saveexec_b32 s75, s25
	s_cbranch_execz .LBB213_61
.LBB213_93:                             ;   in Loop: Header=BB213_35 Depth=1
	v_mov_b32_e32 v9, s68
	ds_load_b32 v9, v9
	s_waitcnt lgkmcnt(0)
	v_add_nc_u32_e32 v8, v9, v8
	s_or_b32 exec_lo, exec_lo, s75
	s_and_saveexec_b32 s75, s26
	s_cbranch_execz .LBB213_62
.LBB213_94:                             ;   in Loop: Header=BB213_35 Depth=1
	v_mov_b32_e32 v9, s69
	ds_load_b32 v9, v9
	s_waitcnt lgkmcnt(0)
	v_add_nc_u32_e32 v8, v9, v8
	s_or_b32 exec_lo, exec_lo, s75
	s_and_saveexec_b32 s75, s27
	s_cbranch_execz .LBB213_63
.LBB213_95:                             ;   in Loop: Header=BB213_35 Depth=1
	v_mov_b32_e32 v9, s71
	ds_load_b32 v9, v9
	s_waitcnt lgkmcnt(0)
	v_add_nc_u32_e32 v8, v9, v8
	s_or_b32 exec_lo, exec_lo, s75
	s_and_saveexec_b32 s75, s28
	s_cbranch_execz .LBB213_64
.LBB213_96:                             ;   in Loop: Header=BB213_35 Depth=1
	v_mov_b32_e32 v9, s72
	ds_load_b32 v9, v9
	s_waitcnt lgkmcnt(0)
	v_add_nc_u32_e32 v8, v9, v8
	s_or_b32 exec_lo, exec_lo, s75
	s_and_saveexec_b32 s75, s29
	s_cbranch_execz .LBB213_65
.LBB213_97:                             ;   in Loop: Header=BB213_35 Depth=1
	v_mov_b32_e32 v9, s73
	ds_load_b32 v9, v9
	s_waitcnt lgkmcnt(0)
	v_add_nc_u32_e32 v8, v9, v8
	s_or_b32 exec_lo, exec_lo, s75
	s_and_saveexec_b32 s75, s30
	s_cbranch_execz .LBB213_66
.LBB213_98:                             ;   in Loop: Header=BB213_35 Depth=1
	v_mov_b32_e32 v9, s74
	ds_load_b32 v9, v9
	s_waitcnt lgkmcnt(0)
	v_add_nc_u32_e32 v8, v9, v8
	s_or_b32 exec_lo, exec_lo, s75
	s_and_saveexec_b32 s75, s31
	s_cbranch_execz .LBB213_67
.LBB213_99:                             ;   in Loop: Header=BB213_35 Depth=1
	s_delay_alu instid0(VALU_DEP_1) | instskip(NEXT) | instid1(VALU_DEP_1)
	v_add3_u32 v9, v5, -1, v8
	v_lshlrev_b32_e32 v10, 3, v9
	v_lshl_add_u32 v9, v9, 2, 0
	s_delay_alu instid0(VALU_DEP_2)
	v_add3_u32 v10, 0, v10, 0x20000
	ds_store_b32 v9, v7
	ds_store_b64 v10, v[2:3]
	s_or_b32 exec_lo, exec_lo, s75
	s_and_saveexec_b32 s31, vcc_lo
	s_cbranch_execz .LBB213_34
.LBB213_100:                            ;   in Loop: Header=BB213_35 Depth=1
	v_mov_b32_e32 v2, s70
	ds_store_b32 v2, v8
	s_branch .LBB213_34
.LBB213_101:                            ;   in Loop: Header=BB213_102 Depth=1
	s_or_b32 exec_lo, exec_lo, s4
	v_add_co_u32 v3, vcc_lo, 0x400, v3
	v_add_co_ci_u32_e32 v4, vcc_lo, 0, v4, vcc_lo
	s_delay_alu instid0(VALU_DEP_1) | instskip(SKIP_1) | instid1(SALU_CYCLE_1)
	v_cmp_le_i64_e32 vcc_lo, s[0:1], v[3:4]
	s_or_b32 s3, vcc_lo, s3
	s_and_not1_b32 exec_lo, exec_lo, s3
	s_cbranch_execz .LBB213_32
.LBB213_102:                            ; =>This Loop Header: Depth=1
                                        ;     Child Loop BB213_104 Depth 2
                                        ;       Child Loop BB213_110 Depth 3
                                        ;       Child Loop BB213_116 Depth 3
	v_lshlrev_b64 v[5:6], 3, v[3:4]
	v_lshlrev_b64 v[7:8], 2, v[3:4]
	s_mov_b32 s4, 0
	s_delay_alu instid0(VALU_DEP_2) | instskip(NEXT) | instid1(VALU_DEP_3)
	v_add_co_u32 v5, vcc_lo, s40, v5
	v_add_co_ci_u32_e32 v6, vcc_lo, s41, v6, vcc_lo
	s_delay_alu instid0(VALU_DEP_3) | instskip(NEXT) | instid1(VALU_DEP_4)
	v_add_co_u32 v7, vcc_lo, s38, v7
	v_add_co_ci_u32_e32 v8, vcc_lo, s39, v8, vcc_lo
	global_load_b64 v[5:6], v[5:6], off
	global_load_b32 v7, v[7:8], off
	s_waitcnt vmcnt(1)
	v_mul_f64 v[5:6], v[1:2], v[5:6]
	s_waitcnt vmcnt(0)
	v_subrev_nc_u32_e32 v9, s47, v7
	s_delay_alu instid0(VALU_DEP_1) | instskip(NEXT) | instid1(VALU_DEP_1)
	v_mul_lo_u32 v7, 0x89, v9
	v_and_b32_e32 v10, 0x7fff, v7
	s_branch .LBB213_104
.LBB213_103:                            ;   in Loop: Header=BB213_104 Depth=2
	s_or_b32 exec_lo, exec_lo, s5
	s_xor_b32 s5, s6, -1
	s_delay_alu instid0(SALU_CYCLE_1) | instskip(NEXT) | instid1(SALU_CYCLE_1)
	s_and_b32 s5, exec_lo, s5
	s_or_b32 s4, s5, s4
	s_delay_alu instid0(SALU_CYCLE_1)
	s_and_not1_b32 exec_lo, exec_lo, s4
	s_cbranch_execz .LBB213_101
.LBB213_104:                            ;   Parent Loop BB213_102 Depth=1
                                        ; =>  This Loop Header: Depth=2
                                        ;       Child Loop BB213_110 Depth 3
                                        ;       Child Loop BB213_116 Depth 3
	s_delay_alu instid0(VALU_DEP_1)
	v_lshl_add_u32 v7, v10, 2, 0
	s_mov_b32 s5, exec_lo
                                        ; implicit-def: $sgpr6
	ds_load_b32 v8, v7
	s_waitcnt lgkmcnt(0)
	v_cmpx_ne_u32_e64 v8, v9
	s_xor_b32 s5, exec_lo, s5
	s_cbranch_execz .LBB213_114
; %bb.105:                              ;   in Loop: Header=BB213_104 Depth=2
	s_mov_b32 s7, exec_lo
                                        ; implicit-def: $sgpr6
	v_cmpx_ne_u32_e64 s33, v8
	s_xor_b32 s7, exec_lo, s7
; %bb.106:                              ;   in Loop: Header=BB213_104 Depth=2
	v_add_nc_u32_e32 v7, 1, v10
	s_mov_b32 s6, -1
	s_delay_alu instid0(VALU_DEP_1)
	v_and_b32_e32 v10, 0x7fff, v7
                                        ; implicit-def: $vgpr7
; %bb.107:                              ;   in Loop: Header=BB213_104 Depth=2
	s_and_not1_saveexec_b32 s7, s7
	s_cbranch_execz .LBB213_113
; %bb.108:                              ;   in Loop: Header=BB213_104 Depth=2
	v_mov_b32_e32 v8, s33
	s_mov_b32 s9, -1
	s_mov_b32 s8, exec_lo
	ds_cmpstore_rtn_b32 v7, v7, v9, v8
	s_waitcnt lgkmcnt(0)
	v_cmpx_eq_u32_e64 s33, v7
	s_cbranch_execz .LBB213_112
; %bb.109:                              ;   in Loop: Header=BB213_104 Depth=2
	v_lshlrev_b32_e32 v7, 3, v10
	s_mov_b32 s9, 0
	s_delay_alu instid0(VALU_DEP_1)
	v_add3_u32 v11, 0, v7, 0x20000
	ds_load_b64 v[7:8], v11
.LBB213_110:                            ;   Parent Loop BB213_102 Depth=1
                                        ;     Parent Loop BB213_104 Depth=2
                                        ; =>    This Inner Loop Header: Depth=3
	s_waitcnt lgkmcnt(0)
	v_add_f64 v[12:13], v[7:8], v[5:6]
	ds_cmpstore_rtn_b64 v[12:13], v11, v[12:13], v[7:8]
	s_waitcnt lgkmcnt(0)
	v_cmp_eq_u64_e32 vcc_lo, v[12:13], v[7:8]
	v_dual_mov_b32 v7, v12 :: v_dual_mov_b32 v8, v13
	s_or_b32 s9, vcc_lo, s9
	s_delay_alu instid0(SALU_CYCLE_1)
	s_and_not1_b32 exec_lo, exec_lo, s9
	s_cbranch_execnz .LBB213_110
; %bb.111:                              ;   in Loop: Header=BB213_104 Depth=2
	s_or_b32 exec_lo, exec_lo, s9
	s_delay_alu instid0(SALU_CYCLE_1)
	s_xor_b32 s9, exec_lo, -1
.LBB213_112:                            ;   in Loop: Header=BB213_104 Depth=2
	s_or_b32 exec_lo, exec_lo, s8
	s_delay_alu instid0(SALU_CYCLE_1) | instskip(SKIP_1) | instid1(SALU_CYCLE_1)
	s_and_not1_b32 s6, s6, exec_lo
	s_and_b32 s8, s9, exec_lo
	s_or_b32 s6, s6, s8
.LBB213_113:                            ;   in Loop: Header=BB213_104 Depth=2
	s_or_b32 exec_lo, exec_lo, s7
	s_delay_alu instid0(SALU_CYCLE_1)
	s_and_b32 s6, s6, exec_lo
.LBB213_114:                            ;   in Loop: Header=BB213_104 Depth=2
	s_and_not1_saveexec_b32 s5, s5
	s_cbranch_execz .LBB213_103
; %bb.115:                              ;   in Loop: Header=BB213_104 Depth=2
	v_lshlrev_b32_e32 v7, 3, v10
	s_mov_b32 s7, 0
	s_delay_alu instid0(VALU_DEP_1)
	v_add3_u32 v11, 0, v7, 0x20000
	ds_load_b64 v[7:8], v11
.LBB213_116:                            ;   Parent Loop BB213_102 Depth=1
                                        ;     Parent Loop BB213_104 Depth=2
                                        ; =>    This Inner Loop Header: Depth=3
	s_waitcnt lgkmcnt(0)
	v_add_f64 v[12:13], v[7:8], v[5:6]
	ds_cmpstore_rtn_b64 v[12:13], v11, v[12:13], v[7:8]
	s_waitcnt lgkmcnt(0)
	v_cmp_eq_u64_e32 vcc_lo, v[12:13], v[7:8]
	v_dual_mov_b32 v7, v12 :: v_dual_mov_b32 v8, v13
	s_or_b32 s7, vcc_lo, s7
	s_delay_alu instid0(SALU_CYCLE_1)
	s_and_not1_b32 exec_lo, exec_lo, s7
	s_cbranch_execnz .LBB213_116
; %bb.117:                              ;   in Loop: Header=BB213_104 Depth=2
	s_or_b32 exec_lo, exec_lo, s7
	s_delay_alu instid0(SALU_CYCLE_1)
	s_and_not1_b32 s6, s6, exec_lo
	s_branch .LBB213_103
.LBB213_118:
	s_or_b32 exec_lo, exec_lo, s35
	s_ashr_i32 s35, s34, 31
	s_mov_b32 s4, exec_lo
	s_lshl_b64 s[0:1], s[34:35], 3
	s_delay_alu instid0(SALU_CYCLE_1) | instskip(SKIP_4) | instid1(SALU_CYCLE_1)
	s_add_u32 s0, s42, s0
	s_addc_u32 s1, s43, s1
	s_load_b128 s[0:3], s[0:1], 0x0
	s_waitcnt lgkmcnt(0)
	s_sub_i32 s3, s2, s0
	v_cmpx_gt_i32_e64 s3, v0
	s_cbranch_execz .LBB213_128
; %bb.119:
	s_sub_u32 s4, s0, s46
	s_subb_u32 s5, s1, 0
	s_sub_i32 s0, s0, s2
	s_and_b32 s1, s3, 7
	s_cmp_lt_u32 s0, -7
	s_mov_b32 s8, 0
	s_cselect_b32 s2, -1, 0
	s_and_b32 s6, s3, -8
	s_cmp_lg_u32 s1, 0
	s_cselect_b32 s7, -1, 0
	s_branch .LBB213_121
.LBB213_120:                            ;   in Loop: Header=BB213_121 Depth=1
	s_delay_alu instid0(VALU_DEP_1) | instskip(SKIP_4) | instid1(VALU_DEP_4)
	v_lshlrev_b64 v[6:7], 2, v[3:4]
	v_lshlrev_b64 v[3:4], 3, v[3:4]
	v_add_nc_u32_e32 v0, 0x400, v0
	s_waitcnt lgkmcnt(1)
	v_add_nc_u32_e32 v8, s46, v5
	v_add_co_u32 v5, vcc_lo, s48, v6
	v_add_co_ci_u32_e32 v6, vcc_lo, s49, v7, vcc_lo
	v_cmp_le_i32_e32 vcc_lo, s3, v0
	v_add_co_u32 v3, s0, s50, v3
	s_delay_alu instid0(VALU_DEP_1)
	v_add_co_ci_u32_e64 v4, s0, s51, v4, s0
	s_or_b32 s8, vcc_lo, s8
	global_store_b32 v[5:6], v8, off
	s_waitcnt lgkmcnt(0)
	global_store_b64 v[3:4], v[1:2], off
	s_and_not1_b32 exec_lo, exec_lo, s8
	s_cbranch_execz .LBB213_128
.LBB213_121:                            ; =>This Loop Header: Depth=1
                                        ;     Child Loop BB213_123 Depth 2
                                        ;     Child Loop BB213_127 Depth 2
	v_lshlrev_b32_e32 v1, 3, v0
	v_lshl_add_u32 v2, v0, 2, 0
	v_dual_mov_b32 v3, s4 :: v_dual_mov_b32 v4, s5
	s_and_not1_b32 vcc_lo, exec_lo, s2
	s_delay_alu instid0(VALU_DEP_3)
	v_add3_u32 v1, 0, v1, 0x20000
	s_mov_b32 s0, 0
	ds_load_b32 v5, v2
	ds_load_b64 v[1:2], v1
	s_cbranch_vccnz .LBB213_125
; %bb.122:                              ;   in Loop: Header=BB213_121 Depth=1
	v_dual_mov_b32 v3, s4 :: v_dual_mov_b32 v4, s5
	s_mov_b32 s9, 0
	s_mov_b32 s10, 0
.LBB213_123:                            ;   Parent Loop BB213_121 Depth=1
                                        ; =>  This Inner Loop Header: Depth=2
	s_delay_alu instid0(SALU_CYCLE_1)
	v_mov_b32_e32 v12, s10
	s_add_i32 s9, s9, 8
	s_add_i32 s10, s10, 32
	s_cmp_eq_u32 s6, s9
	ds_load_2addr_b32 v[6:7], v12 offset1:1
	ds_load_2addr_b32 v[8:9], v12 offset0:2 offset1:3
	ds_load_2addr_b32 v[10:11], v12 offset0:4 offset1:5
	ds_load_2addr_b32 v[12:13], v12 offset0:6 offset1:7
	s_waitcnt lgkmcnt(3)
	v_cmp_gt_i32_e32 vcc_lo, v5, v6
	v_cndmask_b32_e64 v6, 0, 1, vcc_lo
	v_cmp_gt_i32_e32 vcc_lo, v5, v7
	v_cndmask_b32_e64 v7, 0, 1, vcc_lo
	s_waitcnt lgkmcnt(2)
	v_cmp_gt_i32_e32 vcc_lo, v5, v8
	v_cndmask_b32_e64 v8, 0, 1, vcc_lo
	v_cmp_gt_i32_e32 vcc_lo, v5, v9
	v_cndmask_b32_e64 v9, 0, 1, vcc_lo
	s_waitcnt lgkmcnt(1)
	v_cmp_gt_i32_e32 vcc_lo, v5, v10
	v_cndmask_b32_e64 v10, 0, 1, vcc_lo
	v_add_co_u32 v3, vcc_lo, v3, v6
	v_add_co_ci_u32_e32 v4, vcc_lo, 0, v4, vcc_lo
	v_cmp_gt_i32_e32 vcc_lo, v5, v11
	s_delay_alu instid0(VALU_DEP_3) | instskip(NEXT) | instid1(VALU_DEP_1)
	v_add_co_u32 v3, s0, v3, v7
	v_add_co_ci_u32_e64 v4, s0, 0, v4, s0
	v_cndmask_b32_e64 v6, 0, 1, vcc_lo
	s_delay_alu instid0(VALU_DEP_3) | instskip(NEXT) | instid1(VALU_DEP_3)
	v_add_co_u32 v3, vcc_lo, v3, v8
	v_add_co_ci_u32_e32 v4, vcc_lo, 0, v4, vcc_lo
	s_waitcnt lgkmcnt(0)
	v_cmp_gt_i32_e32 vcc_lo, v5, v12
	s_delay_alu instid0(VALU_DEP_3) | instskip(NEXT) | instid1(VALU_DEP_1)
	v_add_co_u32 v3, s0, v3, v9
	v_add_co_ci_u32_e64 v4, s0, 0, v4, s0
	v_cndmask_b32_e64 v7, 0, 1, vcc_lo
	s_delay_alu instid0(VALU_DEP_3) | instskip(NEXT) | instid1(VALU_DEP_3)
	v_add_co_u32 v3, vcc_lo, v3, v10
	v_add_co_ci_u32_e32 v4, vcc_lo, 0, v4, vcc_lo
	v_cmp_gt_i32_e32 vcc_lo, v5, v13
	s_delay_alu instid0(VALU_DEP_3) | instskip(NEXT) | instid1(VALU_DEP_1)
	v_add_co_u32 v3, s0, v3, v6
	v_add_co_ci_u32_e64 v4, s0, 0, v4, s0
	v_cndmask_b32_e64 v6, 0, 1, vcc_lo
	s_delay_alu instid0(VALU_DEP_3) | instskip(NEXT) | instid1(VALU_DEP_3)
	v_add_co_u32 v3, vcc_lo, v3, v7
	v_add_co_ci_u32_e32 v4, vcc_lo, 0, v4, vcc_lo
	s_delay_alu instid0(VALU_DEP_2) | instskip(NEXT) | instid1(VALU_DEP_2)
	v_add_co_u32 v3, vcc_lo, v3, v6
	v_add_co_ci_u32_e32 v4, vcc_lo, 0, v4, vcc_lo
	s_cbranch_scc0 .LBB213_123
; %bb.124:                              ;   in Loop: Header=BB213_121 Depth=1
	s_mov_b32 s0, s6
.LBB213_125:                            ;   in Loop: Header=BB213_121 Depth=1
	s_and_not1_b32 vcc_lo, exec_lo, s7
	s_cbranch_vccnz .LBB213_120
; %bb.126:                              ;   in Loop: Header=BB213_121 Depth=1
	s_lshl_b32 s0, s0, 2
	s_mov_b32 s9, s1
	s_add_i32 s0, s0, 0
.LBB213_127:                            ;   Parent Loop BB213_121 Depth=1
                                        ; =>  This Inner Loop Header: Depth=2
	s_delay_alu instid0(SALU_CYCLE_1)
	v_mov_b32_e32 v6, s0
	s_add_i32 s9, s9, -1
	s_add_i32 s0, s0, 4
	s_cmp_lg_u32 s9, 0
	ds_load_b32 v6, v6
	s_waitcnt lgkmcnt(0)
	v_cmp_gt_i32_e32 vcc_lo, v5, v6
	v_cndmask_b32_e64 v6, 0, 1, vcc_lo
	s_delay_alu instid0(VALU_DEP_1)
	v_add_co_u32 v3, vcc_lo, v3, v6
	v_add_co_ci_u32_e32 v4, vcc_lo, 0, v4, vcc_lo
	s_cbranch_scc1 .LBB213_127
	s_branch .LBB213_120
.LBB213_128:
	s_nop 0
	s_sendmsg sendmsg(MSG_DEALLOC_VGPRS)
	s_endpgm
	.section	.rodata,"a",@progbits
	.p2align	6, 0x0
	.amdhsa_kernel _ZN9rocsparseL26csrgemm_fill_block_per_rowILj1024ELj64ELj32768ELj137ELj32ElidEEvT5_PKS1_S3_NS_24const_host_device_scalarIT6_EEPKT4_S3_PKS5_S9_S3_SB_S6_S9_S3_SB_S9_PS1_PS5_21rocsparse_index_base_SE_SE_SE_bbb
		.amdhsa_group_segment_fixed_size 0
		.amdhsa_private_segment_fixed_size 0
		.amdhsa_kernarg_size 156
		.amdhsa_user_sgpr_count 15
		.amdhsa_user_sgpr_dispatch_ptr 0
		.amdhsa_user_sgpr_queue_ptr 0
		.amdhsa_user_sgpr_kernarg_segment_ptr 1
		.amdhsa_user_sgpr_dispatch_id 0
		.amdhsa_user_sgpr_private_segment_size 0
		.amdhsa_wavefront_size32 1
		.amdhsa_uses_dynamic_stack 0
		.amdhsa_enable_private_segment 0
		.amdhsa_system_sgpr_workgroup_id_x 1
		.amdhsa_system_sgpr_workgroup_id_y 0
		.amdhsa_system_sgpr_workgroup_id_z 0
		.amdhsa_system_sgpr_workgroup_info 0
		.amdhsa_system_vgpr_workitem_id 0
		.amdhsa_next_free_vgpr 27
		.amdhsa_next_free_sgpr 76
		.amdhsa_reserve_vcc 1
		.amdhsa_float_round_mode_32 0
		.amdhsa_float_round_mode_16_64 0
		.amdhsa_float_denorm_mode_32 3
		.amdhsa_float_denorm_mode_16_64 3
		.amdhsa_dx10_clamp 1
		.amdhsa_ieee_mode 1
		.amdhsa_fp16_overflow 0
		.amdhsa_workgroup_processor_mode 1
		.amdhsa_memory_ordered 1
		.amdhsa_forward_progress 0
		.amdhsa_shared_vgpr_count 0
		.amdhsa_exception_fp_ieee_invalid_op 0
		.amdhsa_exception_fp_denorm_src 0
		.amdhsa_exception_fp_ieee_div_zero 0
		.amdhsa_exception_fp_ieee_overflow 0
		.amdhsa_exception_fp_ieee_underflow 0
		.amdhsa_exception_fp_ieee_inexact 0
		.amdhsa_exception_int_div_zero 0
	.end_amdhsa_kernel
	.section	.text._ZN9rocsparseL26csrgemm_fill_block_per_rowILj1024ELj64ELj32768ELj137ELj32ElidEEvT5_PKS1_S3_NS_24const_host_device_scalarIT6_EEPKT4_S3_PKS5_S9_S3_SB_S6_S9_S3_SB_S9_PS1_PS5_21rocsparse_index_base_SE_SE_SE_bbb,"axG",@progbits,_ZN9rocsparseL26csrgemm_fill_block_per_rowILj1024ELj64ELj32768ELj137ELj32ElidEEvT5_PKS1_S3_NS_24const_host_device_scalarIT6_EEPKT4_S3_PKS5_S9_S3_SB_S6_S9_S3_SB_S9_PS1_PS5_21rocsparse_index_base_SE_SE_SE_bbb,comdat
.Lfunc_end213:
	.size	_ZN9rocsparseL26csrgemm_fill_block_per_rowILj1024ELj64ELj32768ELj137ELj32ElidEEvT5_PKS1_S3_NS_24const_host_device_scalarIT6_EEPKT4_S3_PKS5_S9_S3_SB_S6_S9_S3_SB_S9_PS1_PS5_21rocsparse_index_base_SE_SE_SE_bbb, .Lfunc_end213-_ZN9rocsparseL26csrgemm_fill_block_per_rowILj1024ELj64ELj32768ELj137ELj32ElidEEvT5_PKS1_S3_NS_24const_host_device_scalarIT6_EEPKT4_S3_PKS5_S9_S3_SB_S6_S9_S3_SB_S9_PS1_PS5_21rocsparse_index_base_SE_SE_SE_bbb
                                        ; -- End function
	.section	.AMDGPU.csdata,"",@progbits
; Kernel info:
; codeLenInByte = 5056
; NumSgprs: 78
; NumVgprs: 27
; ScratchSize: 0
; MemoryBound: 0
; FloatMode: 240
; IeeeMode: 1
; LDSByteSize: 0 bytes/workgroup (compile time only)
; SGPRBlocks: 9
; VGPRBlocks: 3
; NumSGPRsForWavesPerEU: 78
; NumVGPRsForWavesPerEU: 27
; Occupancy: 16
; WaveLimiterHint : 1
; COMPUTE_PGM_RSRC2:SCRATCH_EN: 0
; COMPUTE_PGM_RSRC2:USER_SGPR: 15
; COMPUTE_PGM_RSRC2:TRAP_HANDLER: 0
; COMPUTE_PGM_RSRC2:TGID_X_EN: 1
; COMPUTE_PGM_RSRC2:TGID_Y_EN: 0
; COMPUTE_PGM_RSRC2:TGID_Z_EN: 0
; COMPUTE_PGM_RSRC2:TIDIG_COMP_CNT: 0
	.section	.text._ZN9rocsparseL26csrgemm_fill_block_per_rowILj1024ELj64ELj32768ELj137ELj64ElidEEvT5_PKS1_S3_NS_24const_host_device_scalarIT6_EEPKT4_S3_PKS5_S9_S3_SB_S6_S9_S3_SB_S9_PS1_PS5_21rocsparse_index_base_SE_SE_SE_bbb,"axG",@progbits,_ZN9rocsparseL26csrgemm_fill_block_per_rowILj1024ELj64ELj32768ELj137ELj64ElidEEvT5_PKS1_S3_NS_24const_host_device_scalarIT6_EEPKT4_S3_PKS5_S9_S3_SB_S6_S9_S3_SB_S9_PS1_PS5_21rocsparse_index_base_SE_SE_SE_bbb,comdat
	.globl	_ZN9rocsparseL26csrgemm_fill_block_per_rowILj1024ELj64ELj32768ELj137ELj64ElidEEvT5_PKS1_S3_NS_24const_host_device_scalarIT6_EEPKT4_S3_PKS5_S9_S3_SB_S6_S9_S3_SB_S9_PS1_PS5_21rocsparse_index_base_SE_SE_SE_bbb ; -- Begin function _ZN9rocsparseL26csrgemm_fill_block_per_rowILj1024ELj64ELj32768ELj137ELj64ElidEEvT5_PKS1_S3_NS_24const_host_device_scalarIT6_EEPKT4_S3_PKS5_S9_S3_SB_S6_S9_S3_SB_S9_PS1_PS5_21rocsparse_index_base_SE_SE_SE_bbb
	.p2align	8
	.type	_ZN9rocsparseL26csrgemm_fill_block_per_rowILj1024ELj64ELj32768ELj137ELj64ElidEEvT5_PKS1_S3_NS_24const_host_device_scalarIT6_EEPKT4_S3_PKS5_S9_S3_SB_S6_S9_S3_SB_S9_PS1_PS5_21rocsparse_index_base_SE_SE_SE_bbb,@function
_ZN9rocsparseL26csrgemm_fill_block_per_rowILj1024ELj64ELj32768ELj137ELj64ElidEEvT5_PKS1_S3_NS_24const_host_device_scalarIT6_EEPKT4_S3_PKS5_S9_S3_SB_S6_S9_S3_SB_S9_PS1_PS5_21rocsparse_index_base_SE_SE_SE_bbb: ; @_ZN9rocsparseL26csrgemm_fill_block_per_rowILj1024ELj64ELj32768ELj137ELj64ElidEEvT5_PKS1_S3_NS_24const_host_device_scalarIT6_EEPKT4_S3_PKS5_S9_S3_SB_S6_S9_S3_SB_S9_PS1_PS5_21rocsparse_index_base_SE_SE_SE_bbb
; %bb.0:
	s_clause 0x3
	s_load_b32 s12, s[0:1], 0x98
	s_load_b64 s[4:5], s[0:1], 0x18
	s_load_b128 s[24:27], s[0:1], 0x88
	s_load_b64 s[2:3], s[0:1], 0x50
	s_waitcnt lgkmcnt(0)
	s_and_b32 s6, 1, s12
	s_bitcmp1_b32 s12, 16
	s_cselect_b32 s14, -1, 0
	s_cmp_eq_u32 s6, 1
	s_cselect_b32 s13, -1, 0
	s_delay_alu instid0(SALU_CYCLE_1)
	s_and_b32 s6, s13, exec_lo
	s_cselect_b32 s7, s5, 0
	s_cselect_b32 s6, s4, 0
	s_xor_b32 s8, s13, -1
	v_dual_mov_b32 v3, s6 :: v_dual_mov_b32 v4, s7
	s_or_b32 s8, s8, s14
	s_delay_alu instid0(SALU_CYCLE_1)
	s_and_b32 vcc_lo, exec_lo, s8
	s_cbranch_vccnz .LBB214_2
; %bb.1:
	v_dual_mov_b32 v1, s4 :: v_dual_mov_b32 v2, s5
	flat_load_b64 v[3:4], v[1:2]
.LBB214_2:
	s_clause 0x4
	s_load_b128 s[28:31], s[0:1], 0x78
	s_load_b256 s[16:23], s[0:1], 0x58
	s_load_b128 s[36:39], s[0:1], 0x40
	s_load_b128 s[40:43], s[0:1], 0x8
	s_load_b256 s[4:11], s[0:1], 0x20
	s_bitcmp1_b32 s12, 8
	s_cselect_b32 s12, -1, 0
	s_delay_alu instid0(SALU_CYCLE_1)
	s_and_b32 s33, s12, exec_lo
	s_cselect_b32 s35, s3, 0
	s_cselect_b32 s34, s2, 0
	s_xor_b32 s33, s12, -1
	v_dual_mov_b32 v1, s34 :: v_dual_mov_b32 v2, s35
	s_or_b32 s14, s33, s14
	s_delay_alu instid0(SALU_CYCLE_1)
	s_and_b32 vcc_lo, exec_lo, s14
	s_cbranch_vccnz .LBB214_4
; %bb.3:
	v_dual_mov_b32 v1, s2 :: v_dual_mov_b32 v2, s3
	flat_load_b64 v[1:2], v[1:2]
.LBB214_4:
	s_load_b32 s33, s[0:1], 0x0
	v_dual_mov_b32 v5, 0 :: v_dual_lshlrev_b32 v6, 3, v0
	v_lshl_add_u32 v17, v0, 2, 0
	v_or_b32_e32 v19, 0xfffffc00, v0
	s_mov_b32 s0, 0
	s_delay_alu instid0(VALU_DEP_3) | instskip(SKIP_1) | instid1(VALU_DEP_3)
	v_add3_u32 v18, v6, 0, 0x20000
	v_mov_b32_e32 v6, v5
	v_dual_mov_b32 v7, v17 :: v_dual_mov_b32 v10, v19
	s_waitcnt lgkmcnt(0)
	s_delay_alu instid0(VALU_DEP_3)
	v_dual_mov_b32 v8, v18 :: v_dual_mov_b32 v9, s33
.LBB214_5:                              ; =>This Inner Loop Header: Depth=1
	s_delay_alu instid0(VALU_DEP_2)
	v_add_nc_u32_e32 v10, 0x400, v10
	ds_store_b32 v7, v9
	ds_store_b64 v8, v[5:6]
	v_add_nc_u32_e32 v8, 0x2000, v8
	v_add_nc_u32_e32 v7, 0x1000, v7
	v_cmp_lt_u32_e32 vcc_lo, 0x7bff, v10
	s_or_b32 s0, vcc_lo, s0
	s_delay_alu instid0(SALU_CYCLE_1)
	s_and_not1_b32 exec_lo, exec_lo, s0
	s_cbranch_execnz .LBB214_5
; %bb.6:
	s_or_b32 exec_lo, exec_lo, s0
	s_waitcnt vmcnt(0) lgkmcnt(0)
	s_barrier
	buffer_gl0_inv
	s_load_b32 s0, s[40:41], 0x0
	s_mov_b32 s1, 0
	v_lshrrev_b32_e32 v20, 6, v0
	s_waitcnt lgkmcnt(0)
	s_add_i32 s0, s0, s15
	s_delay_alu instid0(SALU_CYCLE_1) | instskip(NEXT) | instid1(SALU_CYCLE_1)
	s_lshl_b64 s[0:1], s[0:1], 2
	s_add_u32 s0, s42, s0
	s_addc_u32 s1, s43, s1
	s_and_b32 vcc_lo, exec_lo, s13
	s_load_b32 s34, s[0:1], 0x0
	s_cbranch_vccz .LBB214_30
; %bb.7:
	s_waitcnt lgkmcnt(0)
	s_ashr_i32 s35, s34, 31
	s_delay_alu instid0(SALU_CYCLE_1) | instskip(NEXT) | instid1(SALU_CYCLE_1)
	s_lshl_b64 s[0:1], s[34:35], 3
	s_add_u32 s0, s4, s0
	s_addc_u32 s1, s5, s1
	v_sub_co_u32 v5, s4, v20, s24
	s_load_b128 s[0:3], s[0:1], 0x0
	v_sub_co_ci_u32_e64 v6, null, 0, 0, s4
	s_waitcnt lgkmcnt(0)
	s_delay_alu instid0(VALU_DEP_2) | instskip(NEXT) | instid1(VALU_DEP_2)
	v_add_co_u32 v5, vcc_lo, s0, v5
	v_add_co_ci_u32_e32 v6, vcc_lo, s1, v6, vcc_lo
	s_sub_u32 s0, s2, s24
	s_subb_u32 s1, s3, 0
	s_mov_b32 s2, exec_lo
	s_delay_alu instid0(VALU_DEP_1)
	v_cmpx_gt_i64_e64 s[0:1], v[5:6]
	s_cbranch_execz .LBB214_29
; %bb.8:
	v_and_b32_e32 v7, 63, v0
	s_mov_b32 s4, s25
	s_delay_alu instid0(VALU_DEP_1) | instskip(NEXT) | instid1(VALU_DEP_1)
	v_sub_co_u32 v21, s3, v7, s25
	v_sub_co_ci_u32_e64 v22, null, 0, 0, s3
	s_mov_b32 s3, 0
	s_branch .LBB214_10
.LBB214_9:                              ;   in Loop: Header=BB214_10 Depth=1
	s_or_b32 exec_lo, exec_lo, s5
	v_add_co_u32 v5, vcc_lo, v5, 16
	v_add_co_ci_u32_e32 v6, vcc_lo, 0, v6, vcc_lo
	s_delay_alu instid0(VALU_DEP_1) | instskip(SKIP_1) | instid1(SALU_CYCLE_1)
	v_cmp_le_i64_e32 vcc_lo, s[0:1], v[5:6]
	s_or_b32 s3, vcc_lo, s3
	s_and_not1_b32 exec_lo, exec_lo, s3
	s_cbranch_execz .LBB214_29
.LBB214_10:                             ; =>This Loop Header: Depth=1
                                        ;     Child Loop BB214_13 Depth 2
                                        ;       Child Loop BB214_15 Depth 3
                                        ;         Child Loop BB214_21 Depth 4
                                        ;         Child Loop BB214_27 Depth 4
	v_lshlrev_b64 v[7:8], 2, v[5:6]
	s_mov_b32 s5, exec_lo
	s_delay_alu instid0(VALU_DEP_1) | instskip(NEXT) | instid1(VALU_DEP_2)
	v_add_co_u32 v7, vcc_lo, s6, v7
	v_add_co_ci_u32_e32 v8, vcc_lo, s7, v8, vcc_lo
	global_load_b32 v7, v[7:8], off
	s_waitcnt vmcnt(0)
	v_subrev_nc_u32_e32 v7, s24, v7
	s_delay_alu instid0(VALU_DEP_1) | instskip(NEXT) | instid1(VALU_DEP_1)
	v_ashrrev_i32_e32 v8, 31, v7
	v_lshlrev_b64 v[7:8], 3, v[7:8]
	s_delay_alu instid0(VALU_DEP_1) | instskip(NEXT) | instid1(VALU_DEP_2)
	v_add_co_u32 v7, vcc_lo, s10, v7
	v_add_co_ci_u32_e32 v8, vcc_lo, s11, v8, vcc_lo
	global_load_b128 v[9:12], v[7:8], off
	s_waitcnt vmcnt(0)
	v_sub_co_u32 v7, vcc_lo, v11, s4
	v_subrev_co_ci_u32_e32 v8, vcc_lo, 0, v12, vcc_lo
	v_add_co_u32 v9, vcc_lo, v9, v21
	v_add_co_ci_u32_e32 v10, vcc_lo, v10, v22, vcc_lo
	s_delay_alu instid0(VALU_DEP_1)
	v_cmpx_lt_i64_e64 v[9:10], v[7:8]
	s_cbranch_execz .LBB214_9
; %bb.11:                               ;   in Loop: Header=BB214_10 Depth=1
	v_lshlrev_b64 v[11:12], 3, v[5:6]
	s_mov_b32 s13, 0
	s_delay_alu instid0(VALU_DEP_1) | instskip(NEXT) | instid1(VALU_DEP_2)
	v_add_co_u32 v11, vcc_lo, s8, v11
	v_add_co_ci_u32_e32 v12, vcc_lo, s9, v12, vcc_lo
	global_load_b64 v[11:12], v[11:12], off
	s_waitcnt vmcnt(0)
	v_mul_f64 v[11:12], v[3:4], v[11:12]
	s_branch .LBB214_13
.LBB214_12:                             ;   in Loop: Header=BB214_13 Depth=2
	s_or_b32 exec_lo, exec_lo, s14
	v_add_co_u32 v9, vcc_lo, v9, 64
	v_add_co_ci_u32_e32 v10, vcc_lo, 0, v10, vcc_lo
	s_delay_alu instid0(VALU_DEP_1) | instskip(SKIP_1) | instid1(SALU_CYCLE_1)
	v_cmp_ge_i64_e32 vcc_lo, v[9:10], v[7:8]
	s_or_b32 s13, vcc_lo, s13
	s_and_not1_b32 exec_lo, exec_lo, s13
	s_cbranch_execz .LBB214_9
.LBB214_13:                             ;   Parent Loop BB214_10 Depth=1
                                        ; =>  This Loop Header: Depth=2
                                        ;       Child Loop BB214_15 Depth 3
                                        ;         Child Loop BB214_21 Depth 4
                                        ;         Child Loop BB214_27 Depth 4
	v_lshlrev_b64 v[13:14], 3, v[9:10]
	v_lshlrev_b64 v[15:16], 2, v[9:10]
	s_mov_b32 s14, 0
	s_delay_alu instid0(VALU_DEP_2) | instskip(NEXT) | instid1(VALU_DEP_3)
	v_add_co_u32 v13, vcc_lo, s38, v13
	v_add_co_ci_u32_e32 v14, vcc_lo, s39, v14, vcc_lo
	s_delay_alu instid0(VALU_DEP_3) | instskip(NEXT) | instid1(VALU_DEP_4)
	v_add_co_u32 v15, vcc_lo, s36, v15
	v_add_co_ci_u32_e32 v16, vcc_lo, s37, v16, vcc_lo
	global_load_b64 v[13:14], v[13:14], off
	global_load_b32 v15, v[15:16], off
	s_waitcnt vmcnt(1)
	v_mul_f64 v[13:14], v[11:12], v[13:14]
	s_waitcnt vmcnt(0)
	v_subrev_nc_u32_e32 v23, s25, v15
	s_delay_alu instid0(VALU_DEP_1) | instskip(NEXT) | instid1(VALU_DEP_1)
	v_mul_lo_u32 v15, 0x89, v23
	v_and_b32_e32 v24, 0x7fff, v15
	s_branch .LBB214_15
.LBB214_14:                             ;   in Loop: Header=BB214_15 Depth=3
	s_or_b32 exec_lo, exec_lo, s15
	s_xor_b32 s15, s35, -1
	s_delay_alu instid0(SALU_CYCLE_1) | instskip(NEXT) | instid1(SALU_CYCLE_1)
	s_and_b32 s15, exec_lo, s15
	s_or_b32 s14, s15, s14
	s_delay_alu instid0(SALU_CYCLE_1)
	s_and_not1_b32 exec_lo, exec_lo, s14
	s_cbranch_execz .LBB214_12
.LBB214_15:                             ;   Parent Loop BB214_10 Depth=1
                                        ;     Parent Loop BB214_13 Depth=2
                                        ; =>    This Loop Header: Depth=3
                                        ;         Child Loop BB214_21 Depth 4
                                        ;         Child Loop BB214_27 Depth 4
	s_delay_alu instid0(VALU_DEP_1)
	v_lshl_add_u32 v15, v24, 2, 0
	s_mov_b32 s15, exec_lo
                                        ; implicit-def: $sgpr35
	ds_load_b32 v16, v15
	s_waitcnt lgkmcnt(0)
	v_cmpx_ne_u32_e64 v16, v23
	s_xor_b32 s15, exec_lo, s15
	s_cbranch_execz .LBB214_25
; %bb.16:                               ;   in Loop: Header=BB214_15 Depth=3
	s_mov_b32 s40, exec_lo
                                        ; implicit-def: $sgpr35
	v_cmpx_ne_u32_e64 s33, v16
	s_xor_b32 s40, exec_lo, s40
; %bb.17:                               ;   in Loop: Header=BB214_15 Depth=3
	v_add_nc_u32_e32 v15, 1, v24
	s_mov_b32 s35, -1
	s_delay_alu instid0(VALU_DEP_1)
	v_and_b32_e32 v24, 0x7fff, v15
                                        ; implicit-def: $vgpr15
; %bb.18:                               ;   in Loop: Header=BB214_15 Depth=3
	s_and_not1_saveexec_b32 s40, s40
	s_cbranch_execz .LBB214_24
; %bb.19:                               ;   in Loop: Header=BB214_15 Depth=3
	v_mov_b32_e32 v16, s33
	s_mov_b32 s42, -1
	s_mov_b32 s41, exec_lo
	ds_cmpstore_rtn_b32 v15, v15, v23, v16
	s_waitcnt lgkmcnt(0)
	v_cmpx_eq_u32_e64 s33, v15
	s_cbranch_execz .LBB214_23
; %bb.20:                               ;   in Loop: Header=BB214_15 Depth=3
	v_lshlrev_b32_e32 v15, 3, v24
	s_mov_b32 s42, 0
	s_delay_alu instid0(VALU_DEP_1)
	v_add3_u32 v25, 0, v15, 0x20000
	ds_load_b64 v[15:16], v25
.LBB214_21:                             ;   Parent Loop BB214_10 Depth=1
                                        ;     Parent Loop BB214_13 Depth=2
                                        ;       Parent Loop BB214_15 Depth=3
                                        ; =>      This Inner Loop Header: Depth=4
	s_waitcnt lgkmcnt(0)
	v_add_f64 v[26:27], v[15:16], v[13:14]
	ds_cmpstore_rtn_b64 v[26:27], v25, v[26:27], v[15:16]
	s_waitcnt lgkmcnt(0)
	v_cmp_eq_u64_e32 vcc_lo, v[26:27], v[15:16]
	v_dual_mov_b32 v15, v26 :: v_dual_mov_b32 v16, v27
	s_or_b32 s42, vcc_lo, s42
	s_delay_alu instid0(SALU_CYCLE_1)
	s_and_not1_b32 exec_lo, exec_lo, s42
	s_cbranch_execnz .LBB214_21
; %bb.22:                               ;   in Loop: Header=BB214_15 Depth=3
	s_or_b32 exec_lo, exec_lo, s42
	s_delay_alu instid0(SALU_CYCLE_1)
	s_xor_b32 s42, exec_lo, -1
.LBB214_23:                             ;   in Loop: Header=BB214_15 Depth=3
	s_or_b32 exec_lo, exec_lo, s41
	s_delay_alu instid0(SALU_CYCLE_1) | instskip(SKIP_1) | instid1(SALU_CYCLE_1)
	s_and_not1_b32 s35, s35, exec_lo
	s_and_b32 s41, s42, exec_lo
	s_or_b32 s35, s35, s41
.LBB214_24:                             ;   in Loop: Header=BB214_15 Depth=3
	s_or_b32 exec_lo, exec_lo, s40
	s_delay_alu instid0(SALU_CYCLE_1)
	s_and_b32 s35, s35, exec_lo
.LBB214_25:                             ;   in Loop: Header=BB214_15 Depth=3
	s_and_not1_saveexec_b32 s15, s15
	s_cbranch_execz .LBB214_14
; %bb.26:                               ;   in Loop: Header=BB214_15 Depth=3
	v_lshlrev_b32_e32 v15, 3, v24
	s_mov_b32 s40, 0
	s_delay_alu instid0(VALU_DEP_1)
	v_add3_u32 v25, 0, v15, 0x20000
	ds_load_b64 v[15:16], v25
.LBB214_27:                             ;   Parent Loop BB214_10 Depth=1
                                        ;     Parent Loop BB214_13 Depth=2
                                        ;       Parent Loop BB214_15 Depth=3
                                        ; =>      This Inner Loop Header: Depth=4
	s_waitcnt lgkmcnt(0)
	v_add_f64 v[26:27], v[15:16], v[13:14]
	ds_cmpstore_rtn_b64 v[26:27], v25, v[26:27], v[15:16]
	s_waitcnt lgkmcnt(0)
	v_cmp_eq_u64_e32 vcc_lo, v[26:27], v[15:16]
	v_dual_mov_b32 v15, v26 :: v_dual_mov_b32 v16, v27
	s_or_b32 s40, vcc_lo, s40
	s_delay_alu instid0(SALU_CYCLE_1)
	s_and_not1_b32 exec_lo, exec_lo, s40
	s_cbranch_execnz .LBB214_27
; %bb.28:                               ;   in Loop: Header=BB214_15 Depth=3
	s_or_b32 exec_lo, exec_lo, s40
	s_delay_alu instid0(SALU_CYCLE_1)
	s_and_not1_b32 s35, s35, exec_lo
	s_branch .LBB214_14
.LBB214_29:
	s_or_b32 exec_lo, exec_lo, s2
.LBB214_30:
	s_delay_alu instid0(SALU_CYCLE_1)
	s_and_not1_b32 vcc_lo, exec_lo, s12
	s_cbranch_vccnz .LBB214_33
; %bb.31:
	s_waitcnt lgkmcnt(0)
	s_ashr_i32 s35, s34, 31
	v_sub_co_u32 v3, s4, v0, s27
	s_lshl_b64 s[0:1], s[34:35], 3
	v_sub_co_ci_u32_e64 v4, null, 0, 0, s4
	s_add_u32 s0, s16, s0
	s_addc_u32 s1, s17, s1
	s_load_b128 s[0:3], s[0:1], 0x0
	s_waitcnt lgkmcnt(0)
	v_add_co_u32 v3, vcc_lo, s0, v3
	v_add_co_ci_u32_e32 v4, vcc_lo, s1, v4, vcc_lo
	s_sub_u32 s0, s2, s27
	s_subb_u32 s1, s3, 0
	s_mov_b32 s3, 0
	s_mov_b32 s2, exec_lo
	v_cmpx_gt_i64_e64 s[0:1], v[3:4]
	s_cbranch_execnz .LBB214_70
.LBB214_32:
	s_or_b32 exec_lo, exec_lo, s2
.LBB214_33:
	v_mbcnt_lo_u32_b32 v1, -1, 0
	v_dual_mov_b32 v5, 0 :: v_dual_lshlrev_b32 v2, 2, v20
	s_add_i32 s38, 0, 0x6003c
	v_cmp_eq_u32_e32 vcc_lo, 0x3ff, v0
	s_delay_alu instid0(VALU_DEP_3) | instskip(NEXT) | instid1(VALU_DEP_3)
	v_xor_b32_e32 v1, 63, v1
	v_add3_u32 v4, 0, 0x60000, v2
	v_cmp_lt_u32_e64 s0, 63, v0
	v_cmp_lt_u32_e64 s1, 0x7f, v0
	;; [unrolled: 1-line block ×3, first 2 shown]
	v_lshrrev_b64 v[1:2], v1, -1
	v_cmp_lt_u32_e64 s3, 0xff, v0
	v_cmp_lt_u32_e64 s4, 0x13f, v0
	;; [unrolled: 1-line block ×12, first 2 shown]
	v_mov_b32_e32 v6, s38
	s_mov_b32 s16, 0
	s_add_i32 s17, 0, 0x60000
	s_add_i32 s18, 0, 0x60004
	;; [unrolled: 1-line block ×15, first 2 shown]
	s_waitcnt lgkmcnt(0)
	s_barrier
	buffer_gl0_inv
	s_branch .LBB214_35
.LBB214_34:                             ;   in Loop: Header=BB214_35 Depth=1
	s_or_b32 exec_lo, exec_lo, s15
	s_waitcnt lgkmcnt(0)
	s_barrier
	buffer_gl0_inv
	ds_load_b32 v2, v6
	v_add_nc_u32_e32 v19, 0x400, v19
	v_add_nc_u32_e32 v18, 0x2000, v18
	;; [unrolled: 1-line block ×3, first 2 shown]
	s_delay_alu instid0(VALU_DEP_3) | instskip(NEXT) | instid1(VALU_DEP_1)
	v_cmp_lt_u32_e64 s15, 0x7bff, v19
	s_or_b32 s16, s15, s16
	s_waitcnt lgkmcnt(0)
	v_add_nc_u32_e32 v5, v2, v5
	s_and_not1_b32 exec_lo, exec_lo, s16
	s_cbranch_execz .LBB214_86
.LBB214_35:                             ; =>This Inner Loop Header: Depth=1
	ds_load_b32 v7, v17
	ds_load_b64 v[2:3], v18
	s_waitcnt lgkmcnt(0)
	s_barrier
	buffer_gl0_inv
	v_cmp_gt_i32_e64 s15, s33, v7
	s_delay_alu instid0(VALU_DEP_1) | instskip(NEXT) | instid1(SALU_CYCLE_1)
	s_bcnt1_i32_b32 s43, s15
	v_dual_mov_b32 v9, s43 :: v_dual_and_b32 v8, s15, v1
	s_delay_alu instid0(VALU_DEP_1)
	v_bcnt_u32_b32 v8, v8, 0
	ds_store_b32 v4, v9
	s_waitcnt lgkmcnt(0)
	s_barrier
	buffer_gl0_inv
	s_and_saveexec_b32 s43, s0
	s_cbranch_execnz .LBB214_52
; %bb.36:                               ;   in Loop: Header=BB214_35 Depth=1
	s_or_b32 exec_lo, exec_lo, s43
	s_and_saveexec_b32 s43, s1
	s_cbranch_execnz .LBB214_53
.LBB214_37:                             ;   in Loop: Header=BB214_35 Depth=1
	s_or_b32 exec_lo, exec_lo, s43
	s_and_saveexec_b32 s43, s2
	s_cbranch_execnz .LBB214_54
.LBB214_38:                             ;   in Loop: Header=BB214_35 Depth=1
	s_or_b32 exec_lo, exec_lo, s43
	s_and_saveexec_b32 s43, s3
	s_cbranch_execnz .LBB214_55
.LBB214_39:                             ;   in Loop: Header=BB214_35 Depth=1
	s_or_b32 exec_lo, exec_lo, s43
	s_and_saveexec_b32 s43, s4
	s_cbranch_execnz .LBB214_56
.LBB214_40:                             ;   in Loop: Header=BB214_35 Depth=1
	s_or_b32 exec_lo, exec_lo, s43
	s_and_saveexec_b32 s43, s5
	s_cbranch_execnz .LBB214_57
.LBB214_41:                             ;   in Loop: Header=BB214_35 Depth=1
	s_or_b32 exec_lo, exec_lo, s43
	s_and_saveexec_b32 s43, s6
	s_cbranch_execnz .LBB214_58
.LBB214_42:                             ;   in Loop: Header=BB214_35 Depth=1
	s_or_b32 exec_lo, exec_lo, s43
	s_and_saveexec_b32 s43, s7
	s_cbranch_execnz .LBB214_59
.LBB214_43:                             ;   in Loop: Header=BB214_35 Depth=1
	s_or_b32 exec_lo, exec_lo, s43
	s_and_saveexec_b32 s43, s8
	s_cbranch_execnz .LBB214_60
.LBB214_44:                             ;   in Loop: Header=BB214_35 Depth=1
	s_or_b32 exec_lo, exec_lo, s43
	s_and_saveexec_b32 s43, s9
	s_cbranch_execnz .LBB214_61
.LBB214_45:                             ;   in Loop: Header=BB214_35 Depth=1
	s_or_b32 exec_lo, exec_lo, s43
	s_and_saveexec_b32 s43, s10
	s_cbranch_execnz .LBB214_62
.LBB214_46:                             ;   in Loop: Header=BB214_35 Depth=1
	s_or_b32 exec_lo, exec_lo, s43
	s_and_saveexec_b32 s43, s11
	s_cbranch_execnz .LBB214_63
.LBB214_47:                             ;   in Loop: Header=BB214_35 Depth=1
	s_or_b32 exec_lo, exec_lo, s43
	s_and_saveexec_b32 s43, s12
	s_cbranch_execnz .LBB214_64
.LBB214_48:                             ;   in Loop: Header=BB214_35 Depth=1
	s_or_b32 exec_lo, exec_lo, s43
	s_and_saveexec_b32 s43, s13
	s_cbranch_execnz .LBB214_65
.LBB214_49:                             ;   in Loop: Header=BB214_35 Depth=1
	s_or_b32 exec_lo, exec_lo, s43
	s_and_saveexec_b32 s43, s14
	s_cbranch_execnz .LBB214_66
.LBB214_50:                             ;   in Loop: Header=BB214_35 Depth=1
	s_or_b32 exec_lo, exec_lo, s43
	s_and_saveexec_b32 s43, s15
	s_cbranch_execnz .LBB214_67
.LBB214_51:                             ;   in Loop: Header=BB214_35 Depth=1
	s_or_b32 exec_lo, exec_lo, s43
	s_and_saveexec_b32 s15, vcc_lo
	s_cbranch_execz .LBB214_34
	s_branch .LBB214_68
.LBB214_52:                             ;   in Loop: Header=BB214_35 Depth=1
	v_mov_b32_e32 v9, s17
	ds_load_b32 v9, v9
	s_waitcnt lgkmcnt(0)
	v_add_nc_u32_e32 v8, v9, v8
	s_or_b32 exec_lo, exec_lo, s43
	s_and_saveexec_b32 s43, s1
	s_cbranch_execz .LBB214_37
.LBB214_53:                             ;   in Loop: Header=BB214_35 Depth=1
	v_mov_b32_e32 v9, s18
	ds_load_b32 v9, v9
	s_waitcnt lgkmcnt(0)
	v_add_nc_u32_e32 v8, v9, v8
	s_or_b32 exec_lo, exec_lo, s43
	s_and_saveexec_b32 s43, s2
	s_cbranch_execz .LBB214_38
.LBB214_54:                             ;   in Loop: Header=BB214_35 Depth=1
	v_mov_b32_e32 v9, s19
	ds_load_b32 v9, v9
	s_waitcnt lgkmcnt(0)
	v_add_nc_u32_e32 v8, v9, v8
	s_or_b32 exec_lo, exec_lo, s43
	s_and_saveexec_b32 s43, s3
	s_cbranch_execz .LBB214_39
.LBB214_55:                             ;   in Loop: Header=BB214_35 Depth=1
	v_mov_b32_e32 v9, s20
	ds_load_b32 v9, v9
	s_waitcnt lgkmcnt(0)
	v_add_nc_u32_e32 v8, v9, v8
	s_or_b32 exec_lo, exec_lo, s43
	s_and_saveexec_b32 s43, s4
	s_cbranch_execz .LBB214_40
.LBB214_56:                             ;   in Loop: Header=BB214_35 Depth=1
	v_mov_b32_e32 v9, s21
	ds_load_b32 v9, v9
	s_waitcnt lgkmcnt(0)
	v_add_nc_u32_e32 v8, v9, v8
	s_or_b32 exec_lo, exec_lo, s43
	s_and_saveexec_b32 s43, s5
	s_cbranch_execz .LBB214_41
.LBB214_57:                             ;   in Loop: Header=BB214_35 Depth=1
	v_mov_b32_e32 v9, s24
	ds_load_b32 v9, v9
	s_waitcnt lgkmcnt(0)
	v_add_nc_u32_e32 v8, v9, v8
	s_or_b32 exec_lo, exec_lo, s43
	s_and_saveexec_b32 s43, s6
	s_cbranch_execz .LBB214_42
.LBB214_58:                             ;   in Loop: Header=BB214_35 Depth=1
	v_mov_b32_e32 v9, s25
	ds_load_b32 v9, v9
	s_waitcnt lgkmcnt(0)
	v_add_nc_u32_e32 v8, v9, v8
	s_or_b32 exec_lo, exec_lo, s43
	s_and_saveexec_b32 s43, s7
	s_cbranch_execz .LBB214_43
.LBB214_59:                             ;   in Loop: Header=BB214_35 Depth=1
	v_mov_b32_e32 v9, s27
	ds_load_b32 v9, v9
	s_waitcnt lgkmcnt(0)
	v_add_nc_u32_e32 v8, v9, v8
	s_or_b32 exec_lo, exec_lo, s43
	s_and_saveexec_b32 s43, s8
	s_cbranch_execz .LBB214_44
.LBB214_60:                             ;   in Loop: Header=BB214_35 Depth=1
	v_mov_b32_e32 v9, s35
	ds_load_b32 v9, v9
	s_waitcnt lgkmcnt(0)
	v_add_nc_u32_e32 v8, v9, v8
	s_or_b32 exec_lo, exec_lo, s43
	s_and_saveexec_b32 s43, s9
	s_cbranch_execz .LBB214_45
.LBB214_61:                             ;   in Loop: Header=BB214_35 Depth=1
	v_mov_b32_e32 v9, s36
	ds_load_b32 v9, v9
	s_waitcnt lgkmcnt(0)
	v_add_nc_u32_e32 v8, v9, v8
	s_or_b32 exec_lo, exec_lo, s43
	s_and_saveexec_b32 s43, s10
	s_cbranch_execz .LBB214_46
.LBB214_62:                             ;   in Loop: Header=BB214_35 Depth=1
	v_mov_b32_e32 v9, s37
	ds_load_b32 v9, v9
	s_waitcnt lgkmcnt(0)
	v_add_nc_u32_e32 v8, v9, v8
	s_or_b32 exec_lo, exec_lo, s43
	s_and_saveexec_b32 s43, s11
	s_cbranch_execz .LBB214_47
.LBB214_63:                             ;   in Loop: Header=BB214_35 Depth=1
	v_mov_b32_e32 v9, s39
	ds_load_b32 v9, v9
	s_waitcnt lgkmcnt(0)
	v_add_nc_u32_e32 v8, v9, v8
	s_or_b32 exec_lo, exec_lo, s43
	s_and_saveexec_b32 s43, s12
	s_cbranch_execz .LBB214_48
.LBB214_64:                             ;   in Loop: Header=BB214_35 Depth=1
	v_mov_b32_e32 v9, s40
	ds_load_b32 v9, v9
	s_waitcnt lgkmcnt(0)
	v_add_nc_u32_e32 v8, v9, v8
	s_or_b32 exec_lo, exec_lo, s43
	s_and_saveexec_b32 s43, s13
	s_cbranch_execz .LBB214_49
.LBB214_65:                             ;   in Loop: Header=BB214_35 Depth=1
	v_mov_b32_e32 v9, s41
	ds_load_b32 v9, v9
	s_waitcnt lgkmcnt(0)
	v_add_nc_u32_e32 v8, v9, v8
	s_or_b32 exec_lo, exec_lo, s43
	s_and_saveexec_b32 s43, s14
	s_cbranch_execz .LBB214_50
.LBB214_66:                             ;   in Loop: Header=BB214_35 Depth=1
	v_mov_b32_e32 v9, s42
	ds_load_b32 v9, v9
	s_waitcnt lgkmcnt(0)
	v_add_nc_u32_e32 v8, v9, v8
	s_or_b32 exec_lo, exec_lo, s43
	s_and_saveexec_b32 s43, s15
	s_cbranch_execz .LBB214_51
.LBB214_67:                             ;   in Loop: Header=BB214_35 Depth=1
	s_delay_alu instid0(VALU_DEP_1) | instskip(NEXT) | instid1(VALU_DEP_1)
	v_add3_u32 v9, v5, -1, v8
	v_lshlrev_b32_e32 v10, 3, v9
	v_lshl_add_u32 v9, v9, 2, 0
	s_delay_alu instid0(VALU_DEP_2)
	v_add3_u32 v10, 0, v10, 0x20000
	ds_store_b32 v9, v7
	ds_store_b64 v10, v[2:3]
	s_or_b32 exec_lo, exec_lo, s43
	s_and_saveexec_b32 s15, vcc_lo
	s_cbranch_execz .LBB214_34
.LBB214_68:                             ;   in Loop: Header=BB214_35 Depth=1
	v_mov_b32_e32 v2, s38
	ds_store_b32 v2, v8
	s_branch .LBB214_34
.LBB214_69:                             ;   in Loop: Header=BB214_70 Depth=1
	s_or_b32 exec_lo, exec_lo, s4
	v_add_co_u32 v3, vcc_lo, 0x400, v3
	v_add_co_ci_u32_e32 v4, vcc_lo, 0, v4, vcc_lo
	s_delay_alu instid0(VALU_DEP_1) | instskip(SKIP_1) | instid1(SALU_CYCLE_1)
	v_cmp_le_i64_e32 vcc_lo, s[0:1], v[3:4]
	s_or_b32 s3, vcc_lo, s3
	s_and_not1_b32 exec_lo, exec_lo, s3
	s_cbranch_execz .LBB214_32
.LBB214_70:                             ; =>This Loop Header: Depth=1
                                        ;     Child Loop BB214_72 Depth 2
                                        ;       Child Loop BB214_78 Depth 3
                                        ;       Child Loop BB214_84 Depth 3
	v_lshlrev_b64 v[5:6], 3, v[3:4]
	v_lshlrev_b64 v[7:8], 2, v[3:4]
	s_mov_b32 s4, 0
	s_delay_alu instid0(VALU_DEP_2) | instskip(NEXT) | instid1(VALU_DEP_3)
	v_add_co_u32 v5, vcc_lo, s20, v5
	v_add_co_ci_u32_e32 v6, vcc_lo, s21, v6, vcc_lo
	s_delay_alu instid0(VALU_DEP_3) | instskip(NEXT) | instid1(VALU_DEP_4)
	v_add_co_u32 v7, vcc_lo, s18, v7
	v_add_co_ci_u32_e32 v8, vcc_lo, s19, v8, vcc_lo
	global_load_b64 v[5:6], v[5:6], off
	global_load_b32 v7, v[7:8], off
	s_waitcnt vmcnt(1)
	v_mul_f64 v[5:6], v[1:2], v[5:6]
	s_waitcnt vmcnt(0)
	v_subrev_nc_u32_e32 v9, s27, v7
	s_delay_alu instid0(VALU_DEP_1) | instskip(NEXT) | instid1(VALU_DEP_1)
	v_mul_lo_u32 v7, 0x89, v9
	v_and_b32_e32 v10, 0x7fff, v7
	s_branch .LBB214_72
.LBB214_71:                             ;   in Loop: Header=BB214_72 Depth=2
	s_or_b32 exec_lo, exec_lo, s5
	s_xor_b32 s5, s6, -1
	s_delay_alu instid0(SALU_CYCLE_1) | instskip(NEXT) | instid1(SALU_CYCLE_1)
	s_and_b32 s5, exec_lo, s5
	s_or_b32 s4, s5, s4
	s_delay_alu instid0(SALU_CYCLE_1)
	s_and_not1_b32 exec_lo, exec_lo, s4
	s_cbranch_execz .LBB214_69
.LBB214_72:                             ;   Parent Loop BB214_70 Depth=1
                                        ; =>  This Loop Header: Depth=2
                                        ;       Child Loop BB214_78 Depth 3
                                        ;       Child Loop BB214_84 Depth 3
	s_delay_alu instid0(VALU_DEP_1)
	v_lshl_add_u32 v7, v10, 2, 0
	s_mov_b32 s5, exec_lo
                                        ; implicit-def: $sgpr6
	ds_load_b32 v8, v7
	s_waitcnt lgkmcnt(0)
	v_cmpx_ne_u32_e64 v8, v9
	s_xor_b32 s5, exec_lo, s5
	s_cbranch_execz .LBB214_82
; %bb.73:                               ;   in Loop: Header=BB214_72 Depth=2
	s_mov_b32 s7, exec_lo
                                        ; implicit-def: $sgpr6
	v_cmpx_ne_u32_e64 s33, v8
	s_xor_b32 s7, exec_lo, s7
; %bb.74:                               ;   in Loop: Header=BB214_72 Depth=2
	v_add_nc_u32_e32 v7, 1, v10
	s_mov_b32 s6, -1
	s_delay_alu instid0(VALU_DEP_1)
	v_and_b32_e32 v10, 0x7fff, v7
                                        ; implicit-def: $vgpr7
; %bb.75:                               ;   in Loop: Header=BB214_72 Depth=2
	s_and_not1_saveexec_b32 s7, s7
	s_cbranch_execz .LBB214_81
; %bb.76:                               ;   in Loop: Header=BB214_72 Depth=2
	v_mov_b32_e32 v8, s33
	s_mov_b32 s9, -1
	s_mov_b32 s8, exec_lo
	ds_cmpstore_rtn_b32 v7, v7, v9, v8
	s_waitcnt lgkmcnt(0)
	v_cmpx_eq_u32_e64 s33, v7
	s_cbranch_execz .LBB214_80
; %bb.77:                               ;   in Loop: Header=BB214_72 Depth=2
	v_lshlrev_b32_e32 v7, 3, v10
	s_mov_b32 s9, 0
	s_delay_alu instid0(VALU_DEP_1)
	v_add3_u32 v11, 0, v7, 0x20000
	ds_load_b64 v[7:8], v11
.LBB214_78:                             ;   Parent Loop BB214_70 Depth=1
                                        ;     Parent Loop BB214_72 Depth=2
                                        ; =>    This Inner Loop Header: Depth=3
	s_waitcnt lgkmcnt(0)
	v_add_f64 v[12:13], v[7:8], v[5:6]
	ds_cmpstore_rtn_b64 v[12:13], v11, v[12:13], v[7:8]
	s_waitcnt lgkmcnt(0)
	v_cmp_eq_u64_e32 vcc_lo, v[12:13], v[7:8]
	v_dual_mov_b32 v7, v12 :: v_dual_mov_b32 v8, v13
	s_or_b32 s9, vcc_lo, s9
	s_delay_alu instid0(SALU_CYCLE_1)
	s_and_not1_b32 exec_lo, exec_lo, s9
	s_cbranch_execnz .LBB214_78
; %bb.79:                               ;   in Loop: Header=BB214_72 Depth=2
	s_or_b32 exec_lo, exec_lo, s9
	s_delay_alu instid0(SALU_CYCLE_1)
	s_xor_b32 s9, exec_lo, -1
.LBB214_80:                             ;   in Loop: Header=BB214_72 Depth=2
	s_or_b32 exec_lo, exec_lo, s8
	s_delay_alu instid0(SALU_CYCLE_1) | instskip(SKIP_1) | instid1(SALU_CYCLE_1)
	s_and_not1_b32 s6, s6, exec_lo
	s_and_b32 s8, s9, exec_lo
	s_or_b32 s6, s6, s8
.LBB214_81:                             ;   in Loop: Header=BB214_72 Depth=2
	s_or_b32 exec_lo, exec_lo, s7
	s_delay_alu instid0(SALU_CYCLE_1)
	s_and_b32 s6, s6, exec_lo
.LBB214_82:                             ;   in Loop: Header=BB214_72 Depth=2
	s_and_not1_saveexec_b32 s5, s5
	s_cbranch_execz .LBB214_71
; %bb.83:                               ;   in Loop: Header=BB214_72 Depth=2
	v_lshlrev_b32_e32 v7, 3, v10
	s_mov_b32 s7, 0
	s_delay_alu instid0(VALU_DEP_1)
	v_add3_u32 v11, 0, v7, 0x20000
	ds_load_b64 v[7:8], v11
.LBB214_84:                             ;   Parent Loop BB214_70 Depth=1
                                        ;     Parent Loop BB214_72 Depth=2
                                        ; =>    This Inner Loop Header: Depth=3
	s_waitcnt lgkmcnt(0)
	v_add_f64 v[12:13], v[7:8], v[5:6]
	ds_cmpstore_rtn_b64 v[12:13], v11, v[12:13], v[7:8]
	s_waitcnt lgkmcnt(0)
	v_cmp_eq_u64_e32 vcc_lo, v[12:13], v[7:8]
	v_dual_mov_b32 v7, v12 :: v_dual_mov_b32 v8, v13
	s_or_b32 s7, vcc_lo, s7
	s_delay_alu instid0(SALU_CYCLE_1)
	s_and_not1_b32 exec_lo, exec_lo, s7
	s_cbranch_execnz .LBB214_84
; %bb.85:                               ;   in Loop: Header=BB214_72 Depth=2
	s_or_b32 exec_lo, exec_lo, s7
	s_delay_alu instid0(SALU_CYCLE_1)
	s_and_not1_b32 s6, s6, exec_lo
	s_branch .LBB214_71
.LBB214_86:
	s_or_b32 exec_lo, exec_lo, s16
	s_ashr_i32 s35, s34, 31
	s_mov_b32 s4, exec_lo
	s_lshl_b64 s[0:1], s[34:35], 3
	s_delay_alu instid0(SALU_CYCLE_1) | instskip(SKIP_4) | instid1(SALU_CYCLE_1)
	s_add_u32 s0, s22, s0
	s_addc_u32 s1, s23, s1
	s_load_b128 s[0:3], s[0:1], 0x0
	s_waitcnt lgkmcnt(0)
	s_sub_i32 s3, s2, s0
	v_cmpx_gt_i32_e64 s3, v0
	s_cbranch_execz .LBB214_96
; %bb.87:
	s_sub_u32 s4, s0, s26
	s_subb_u32 s5, s1, 0
	s_sub_i32 s0, s0, s2
	s_and_b32 s1, s3, 7
	s_cmp_lt_u32 s0, -7
	s_mov_b32 s8, 0
	s_cselect_b32 s2, -1, 0
	s_and_b32 s6, s3, -8
	s_cmp_lg_u32 s1, 0
	s_cselect_b32 s7, -1, 0
	s_branch .LBB214_89
.LBB214_88:                             ;   in Loop: Header=BB214_89 Depth=1
	s_delay_alu instid0(VALU_DEP_1) | instskip(SKIP_4) | instid1(VALU_DEP_4)
	v_lshlrev_b64 v[6:7], 2, v[3:4]
	v_lshlrev_b64 v[3:4], 3, v[3:4]
	v_add_nc_u32_e32 v0, 0x400, v0
	s_waitcnt lgkmcnt(1)
	v_add_nc_u32_e32 v8, s26, v5
	v_add_co_u32 v5, vcc_lo, s28, v6
	v_add_co_ci_u32_e32 v6, vcc_lo, s29, v7, vcc_lo
	v_cmp_le_i32_e32 vcc_lo, s3, v0
	v_add_co_u32 v3, s0, s30, v3
	s_delay_alu instid0(VALU_DEP_1)
	v_add_co_ci_u32_e64 v4, s0, s31, v4, s0
	s_or_b32 s8, vcc_lo, s8
	global_store_b32 v[5:6], v8, off
	s_waitcnt lgkmcnt(0)
	global_store_b64 v[3:4], v[1:2], off
	s_and_not1_b32 exec_lo, exec_lo, s8
	s_cbranch_execz .LBB214_96
.LBB214_89:                             ; =>This Loop Header: Depth=1
                                        ;     Child Loop BB214_91 Depth 2
                                        ;     Child Loop BB214_95 Depth 2
	v_lshlrev_b32_e32 v1, 3, v0
	v_lshl_add_u32 v2, v0, 2, 0
	v_dual_mov_b32 v3, s4 :: v_dual_mov_b32 v4, s5
	s_and_not1_b32 vcc_lo, exec_lo, s2
	s_delay_alu instid0(VALU_DEP_3)
	v_add3_u32 v1, 0, v1, 0x20000
	s_mov_b32 s0, 0
	ds_load_b32 v5, v2
	ds_load_b64 v[1:2], v1
	s_cbranch_vccnz .LBB214_93
; %bb.90:                               ;   in Loop: Header=BB214_89 Depth=1
	v_dual_mov_b32 v3, s4 :: v_dual_mov_b32 v4, s5
	s_mov_b32 s9, 0
	s_mov_b32 s10, 0
.LBB214_91:                             ;   Parent Loop BB214_89 Depth=1
                                        ; =>  This Inner Loop Header: Depth=2
	s_delay_alu instid0(SALU_CYCLE_1)
	v_mov_b32_e32 v12, s10
	s_add_i32 s9, s9, 8
	s_add_i32 s10, s10, 32
	s_cmp_eq_u32 s6, s9
	ds_load_2addr_b32 v[6:7], v12 offset1:1
	ds_load_2addr_b32 v[8:9], v12 offset0:2 offset1:3
	ds_load_2addr_b32 v[10:11], v12 offset0:4 offset1:5
	;; [unrolled: 1-line block ×3, first 2 shown]
	s_waitcnt lgkmcnt(3)
	v_cmp_gt_i32_e32 vcc_lo, v5, v6
	v_cndmask_b32_e64 v6, 0, 1, vcc_lo
	v_cmp_gt_i32_e32 vcc_lo, v5, v7
	v_cndmask_b32_e64 v7, 0, 1, vcc_lo
	s_waitcnt lgkmcnt(2)
	v_cmp_gt_i32_e32 vcc_lo, v5, v8
	v_cndmask_b32_e64 v8, 0, 1, vcc_lo
	v_cmp_gt_i32_e32 vcc_lo, v5, v9
	v_cndmask_b32_e64 v9, 0, 1, vcc_lo
	s_waitcnt lgkmcnt(1)
	v_cmp_gt_i32_e32 vcc_lo, v5, v10
	v_cndmask_b32_e64 v10, 0, 1, vcc_lo
	v_add_co_u32 v3, vcc_lo, v3, v6
	v_add_co_ci_u32_e32 v4, vcc_lo, 0, v4, vcc_lo
	v_cmp_gt_i32_e32 vcc_lo, v5, v11
	s_delay_alu instid0(VALU_DEP_3) | instskip(NEXT) | instid1(VALU_DEP_1)
	v_add_co_u32 v3, s0, v3, v7
	v_add_co_ci_u32_e64 v4, s0, 0, v4, s0
	v_cndmask_b32_e64 v6, 0, 1, vcc_lo
	s_delay_alu instid0(VALU_DEP_3) | instskip(NEXT) | instid1(VALU_DEP_3)
	v_add_co_u32 v3, vcc_lo, v3, v8
	v_add_co_ci_u32_e32 v4, vcc_lo, 0, v4, vcc_lo
	s_waitcnt lgkmcnt(0)
	v_cmp_gt_i32_e32 vcc_lo, v5, v12
	s_delay_alu instid0(VALU_DEP_3) | instskip(NEXT) | instid1(VALU_DEP_1)
	v_add_co_u32 v3, s0, v3, v9
	v_add_co_ci_u32_e64 v4, s0, 0, v4, s0
	v_cndmask_b32_e64 v7, 0, 1, vcc_lo
	s_delay_alu instid0(VALU_DEP_3) | instskip(NEXT) | instid1(VALU_DEP_3)
	v_add_co_u32 v3, vcc_lo, v3, v10
	v_add_co_ci_u32_e32 v4, vcc_lo, 0, v4, vcc_lo
	v_cmp_gt_i32_e32 vcc_lo, v5, v13
	s_delay_alu instid0(VALU_DEP_3) | instskip(NEXT) | instid1(VALU_DEP_1)
	v_add_co_u32 v3, s0, v3, v6
	v_add_co_ci_u32_e64 v4, s0, 0, v4, s0
	v_cndmask_b32_e64 v6, 0, 1, vcc_lo
	s_delay_alu instid0(VALU_DEP_3) | instskip(NEXT) | instid1(VALU_DEP_3)
	v_add_co_u32 v3, vcc_lo, v3, v7
	v_add_co_ci_u32_e32 v4, vcc_lo, 0, v4, vcc_lo
	s_delay_alu instid0(VALU_DEP_2) | instskip(NEXT) | instid1(VALU_DEP_2)
	v_add_co_u32 v3, vcc_lo, v3, v6
	v_add_co_ci_u32_e32 v4, vcc_lo, 0, v4, vcc_lo
	s_cbranch_scc0 .LBB214_91
; %bb.92:                               ;   in Loop: Header=BB214_89 Depth=1
	s_mov_b32 s0, s6
.LBB214_93:                             ;   in Loop: Header=BB214_89 Depth=1
	s_and_not1_b32 vcc_lo, exec_lo, s7
	s_cbranch_vccnz .LBB214_88
; %bb.94:                               ;   in Loop: Header=BB214_89 Depth=1
	s_lshl_b32 s0, s0, 2
	s_mov_b32 s9, s1
	s_add_i32 s0, s0, 0
.LBB214_95:                             ;   Parent Loop BB214_89 Depth=1
                                        ; =>  This Inner Loop Header: Depth=2
	s_delay_alu instid0(SALU_CYCLE_1)
	v_mov_b32_e32 v6, s0
	s_add_i32 s9, s9, -1
	s_add_i32 s0, s0, 4
	s_cmp_lg_u32 s9, 0
	ds_load_b32 v6, v6
	s_waitcnt lgkmcnt(0)
	v_cmp_gt_i32_e32 vcc_lo, v5, v6
	v_cndmask_b32_e64 v6, 0, 1, vcc_lo
	s_delay_alu instid0(VALU_DEP_1)
	v_add_co_u32 v3, vcc_lo, v3, v6
	v_add_co_ci_u32_e32 v4, vcc_lo, 0, v4, vcc_lo
	s_cbranch_scc1 .LBB214_95
	s_branch .LBB214_88
.LBB214_96:
	s_nop 0
	s_sendmsg sendmsg(MSG_DEALLOC_VGPRS)
	s_endpgm
	.section	.rodata,"a",@progbits
	.p2align	6, 0x0
	.amdhsa_kernel _ZN9rocsparseL26csrgemm_fill_block_per_rowILj1024ELj64ELj32768ELj137ELj64ElidEEvT5_PKS1_S3_NS_24const_host_device_scalarIT6_EEPKT4_S3_PKS5_S9_S3_SB_S6_S9_S3_SB_S9_PS1_PS5_21rocsparse_index_base_SE_SE_SE_bbb
		.amdhsa_group_segment_fixed_size 0
		.amdhsa_private_segment_fixed_size 0
		.amdhsa_kernarg_size 156
		.amdhsa_user_sgpr_count 15
		.amdhsa_user_sgpr_dispatch_ptr 0
		.amdhsa_user_sgpr_queue_ptr 0
		.amdhsa_user_sgpr_kernarg_segment_ptr 1
		.amdhsa_user_sgpr_dispatch_id 0
		.amdhsa_user_sgpr_private_segment_size 0
		.amdhsa_wavefront_size32 1
		.amdhsa_uses_dynamic_stack 0
		.amdhsa_enable_private_segment 0
		.amdhsa_system_sgpr_workgroup_id_x 1
		.amdhsa_system_sgpr_workgroup_id_y 0
		.amdhsa_system_sgpr_workgroup_id_z 0
		.amdhsa_system_sgpr_workgroup_info 0
		.amdhsa_system_vgpr_workitem_id 0
		.amdhsa_next_free_vgpr 28
		.amdhsa_next_free_sgpr 44
		.amdhsa_reserve_vcc 1
		.amdhsa_float_round_mode_32 0
		.amdhsa_float_round_mode_16_64 0
		.amdhsa_float_denorm_mode_32 3
		.amdhsa_float_denorm_mode_16_64 3
		.amdhsa_dx10_clamp 1
		.amdhsa_ieee_mode 1
		.amdhsa_fp16_overflow 0
		.amdhsa_workgroup_processor_mode 1
		.amdhsa_memory_ordered 1
		.amdhsa_forward_progress 0
		.amdhsa_shared_vgpr_count 0
		.amdhsa_exception_fp_ieee_invalid_op 0
		.amdhsa_exception_fp_denorm_src 0
		.amdhsa_exception_fp_ieee_div_zero 0
		.amdhsa_exception_fp_ieee_overflow 0
		.amdhsa_exception_fp_ieee_underflow 0
		.amdhsa_exception_fp_ieee_inexact 0
		.amdhsa_exception_int_div_zero 0
	.end_amdhsa_kernel
	.section	.text._ZN9rocsparseL26csrgemm_fill_block_per_rowILj1024ELj64ELj32768ELj137ELj64ElidEEvT5_PKS1_S3_NS_24const_host_device_scalarIT6_EEPKT4_S3_PKS5_S9_S3_SB_S6_S9_S3_SB_S9_PS1_PS5_21rocsparse_index_base_SE_SE_SE_bbb,"axG",@progbits,_ZN9rocsparseL26csrgemm_fill_block_per_rowILj1024ELj64ELj32768ELj137ELj64ElidEEvT5_PKS1_S3_NS_24const_host_device_scalarIT6_EEPKT4_S3_PKS5_S9_S3_SB_S6_S9_S3_SB_S9_PS1_PS5_21rocsparse_index_base_SE_SE_SE_bbb,comdat
.Lfunc_end214:
	.size	_ZN9rocsparseL26csrgemm_fill_block_per_rowILj1024ELj64ELj32768ELj137ELj64ElidEEvT5_PKS1_S3_NS_24const_host_device_scalarIT6_EEPKT4_S3_PKS5_S9_S3_SB_S6_S9_S3_SB_S9_PS1_PS5_21rocsparse_index_base_SE_SE_SE_bbb, .Lfunc_end214-_ZN9rocsparseL26csrgemm_fill_block_per_rowILj1024ELj64ELj32768ELj137ELj64ElidEEvT5_PKS1_S3_NS_24const_host_device_scalarIT6_EEPKT4_S3_PKS5_S9_S3_SB_S6_S9_S3_SB_S9_PS1_PS5_21rocsparse_index_base_SE_SE_SE_bbb
                                        ; -- End function
	.section	.AMDGPU.csdata,"",@progbits
; Kernel info:
; codeLenInByte = 4028
; NumSgprs: 46
; NumVgprs: 28
; ScratchSize: 0
; MemoryBound: 0
; FloatMode: 240
; IeeeMode: 1
; LDSByteSize: 0 bytes/workgroup (compile time only)
; SGPRBlocks: 5
; VGPRBlocks: 3
; NumSGPRsForWavesPerEU: 46
; NumVGPRsForWavesPerEU: 28
; Occupancy: 16
; WaveLimiterHint : 1
; COMPUTE_PGM_RSRC2:SCRATCH_EN: 0
; COMPUTE_PGM_RSRC2:USER_SGPR: 15
; COMPUTE_PGM_RSRC2:TRAP_HANDLER: 0
; COMPUTE_PGM_RSRC2:TGID_X_EN: 1
; COMPUTE_PGM_RSRC2:TGID_Y_EN: 0
; COMPUTE_PGM_RSRC2:TGID_Z_EN: 0
; COMPUTE_PGM_RSRC2:TIDIG_COMP_CNT: 0
	.section	.text._ZN9rocsparseL36csrgemm_fill_block_per_row_multipassILj512ELj16ELj2048ELj32ElidEEvT4_PKS1_S3_NS_24const_host_device_scalarIT5_EEPKT3_S3_PKS5_S9_S3_SB_S6_S9_S3_SB_S9_PS1_PS5_PS7_21rocsparse_index_base_SF_SF_SF_bbb,"axG",@progbits,_ZN9rocsparseL36csrgemm_fill_block_per_row_multipassILj512ELj16ELj2048ELj32ElidEEvT4_PKS1_S3_NS_24const_host_device_scalarIT5_EEPKT3_S3_PKS5_S9_S3_SB_S6_S9_S3_SB_S9_PS1_PS5_PS7_21rocsparse_index_base_SF_SF_SF_bbb,comdat
	.globl	_ZN9rocsparseL36csrgemm_fill_block_per_row_multipassILj512ELj16ELj2048ELj32ElidEEvT4_PKS1_S3_NS_24const_host_device_scalarIT5_EEPKT3_S3_PKS5_S9_S3_SB_S6_S9_S3_SB_S9_PS1_PS5_PS7_21rocsparse_index_base_SF_SF_SF_bbb ; -- Begin function _ZN9rocsparseL36csrgemm_fill_block_per_row_multipassILj512ELj16ELj2048ELj32ElidEEvT4_PKS1_S3_NS_24const_host_device_scalarIT5_EEPKT3_S3_PKS5_S9_S3_SB_S6_S9_S3_SB_S9_PS1_PS5_PS7_21rocsparse_index_base_SF_SF_SF_bbb
	.p2align	8
	.type	_ZN9rocsparseL36csrgemm_fill_block_per_row_multipassILj512ELj16ELj2048ELj32ElidEEvT4_PKS1_S3_NS_24const_host_device_scalarIT5_EEPKT3_S3_PKS5_S9_S3_SB_S6_S9_S3_SB_S9_PS1_PS5_PS7_21rocsparse_index_base_SF_SF_SF_bbb,@function
_ZN9rocsparseL36csrgemm_fill_block_per_row_multipassILj512ELj16ELj2048ELj32ElidEEvT4_PKS1_S3_NS_24const_host_device_scalarIT5_EEPKT3_S3_PKS5_S9_S3_SB_S6_S9_S3_SB_S9_PS1_PS5_PS7_21rocsparse_index_base_SF_SF_SF_bbb: ; @_ZN9rocsparseL36csrgemm_fill_block_per_row_multipassILj512ELj16ELj2048ELj32ElidEEvT4_PKS1_S3_NS_24const_host_device_scalarIT5_EEPKT3_S3_PKS5_S9_S3_SB_S6_S9_S3_SB_S9_PS1_PS5_PS7_21rocsparse_index_base_SF_SF_SF_bbb
; %bb.0:
	s_clause 0x4
	s_load_b32 s11, s[0:1], 0xa0
	s_load_b64 s[8:9], s[0:1], 0x18
	s_load_b128 s[4:7], s[0:1], 0x8
	s_load_b128 s[28:31], s[0:1], 0x90
	s_load_b64 s[2:3], s[0:1], 0x50
	s_waitcnt lgkmcnt(0)
	s_and_b32 s10, 1, s11
	s_bitcmp1_b32 s11, 16
	s_cselect_b32 s12, -1, 0
	s_cmp_eq_u32 s10, 1
	s_cselect_b32 s10, -1, 0
	s_delay_alu instid0(SALU_CYCLE_1)
	s_and_b32 s13, s10, exec_lo
	s_cselect_b32 s17, s9, 0
	s_cselect_b32 s16, s8, 0
	s_xor_b32 s13, s10, -1
	v_dual_mov_b32 v1, s16 :: v_dual_mov_b32 v2, s17
	s_or_b32 s13, s13, s12
	s_delay_alu instid0(SALU_CYCLE_1)
	s_and_b32 vcc_lo, exec_lo, s13
	s_cbranch_vccnz .LBB215_2
; %bb.1:
	v_dual_mov_b32 v1, s8 :: v_dual_mov_b32 v2, s9
	flat_load_b64 v[1:2], v[1:2]
.LBB215_2:
	s_load_b64 s[8:9], s[0:1], 0x20
	s_bitcmp1_b32 s11, 8
	s_cselect_b32 s33, -1, 0
	s_delay_alu instid0(SALU_CYCLE_1)
	s_and_b32 s11, s33, exec_lo
	s_cselect_b32 s17, s3, 0
	s_cselect_b32 s16, s2, 0
	s_xor_b32 s11, s33, -1
	v_dual_mov_b32 v3, s16 :: v_dual_mov_b32 v4, s17
	s_or_b32 s11, s11, s12
	s_delay_alu instid0(SALU_CYCLE_1)
	s_and_b32 vcc_lo, exec_lo, s11
	s_cbranch_vccnz .LBB215_4
; %bb.3:
	v_dual_mov_b32 v4, s3 :: v_dual_mov_b32 v3, s2
	flat_load_b64 v[3:4], v[3:4]
.LBB215_4:
	s_load_b32 s2, s[4:5], 0x0
	s_mov_b32 s3, 0
	s_mov_b64 s[34:35], 0
	s_waitcnt lgkmcnt(0)
	s_add_i32 s2, s2, s15
	s_delay_alu instid0(SALU_CYCLE_1) | instskip(NEXT) | instid1(SALU_CYCLE_1)
	s_lshl_b64 s[2:3], s[2:3], 2
	s_add_u32 s2, s6, s2
	s_addc_u32 s3, s7, s3
	s_and_not1_b32 vcc_lo, exec_lo, s10
	s_load_b32 s4, s[2:3], 0x0
	s_mov_b64 s[2:3], 0
	s_cbranch_vccz .LBB215_7
; %bb.5:
	s_and_not1_b32 vcc_lo, exec_lo, s10
	s_cbranch_vccz .LBB215_8
.LBB215_6:
	s_load_b32 s52, s[0:1], 0x0
	s_waitcnt lgkmcnt(0)
	s_cmp_lt_i32 s52, 1
	s_cbranch_scc0 .LBB215_9
	s_branch .LBB215_66
.LBB215_7:
	s_waitcnt lgkmcnt(0)
	s_ashr_i32 s5, s4, 31
	s_delay_alu instid0(SALU_CYCLE_1) | instskip(NEXT) | instid1(SALU_CYCLE_1)
	s_lshl_b64 s[2:3], s[4:5], 3
	s_add_u32 s2, s8, s2
	s_addc_u32 s3, s9, s3
	s_load_b64 s[2:3], s[2:3], 0x0
	s_waitcnt lgkmcnt(0)
	s_sub_u32 s2, s2, s28
	s_subb_u32 s3, s3, 0
	s_and_not1_b32 vcc_lo, exec_lo, s10
	s_cbranch_vccnz .LBB215_6
.LBB215_8:
	s_waitcnt lgkmcnt(0)
	s_ashr_i32 s5, s4, 31
	s_delay_alu instid0(SALU_CYCLE_1) | instskip(NEXT) | instid1(SALU_CYCLE_1)
	s_lshl_b64 s[6:7], s[4:5], 3
	s_add_u32 s6, s8, s6
	s_addc_u32 s7, s9, s7
	s_load_b64 s[6:7], s[6:7], 0x8
	s_waitcnt lgkmcnt(0)
	s_sub_u32 s34, s6, s28
	s_subb_u32 s35, s7, 0
	s_load_b32 s52, s[0:1], 0x0
	s_waitcnt lgkmcnt(0)
	s_cmp_lt_i32 s52, 1
	s_cbranch_scc1 .LBB215_66
.LBB215_9:
	s_clause 0x4
	s_load_b256 s[20:27], s[0:1], 0x58
	s_load_b64 s[48:49], s[0:1], 0x88
	s_load_b128 s[44:47], s[0:1], 0x78
	s_load_b64 s[50:51], s[0:1], 0x48
	s_load_b256 s[36:43], s[0:1], 0x28
	v_lshrrev_b32_e32 v6, 4, v0
	v_mbcnt_lo_u32_b32 v9, -1, 0
	v_sub_co_u32 v29, s1, v0, s31
	s_ashr_i32 s5, s4, 31
	v_sub_co_ci_u32_e64 v30, null, 0, 0, s1
	v_add_co_u32 v7, s1, s2, v6
	v_xor_b32_e32 v6, 8, v9
	s_lshl_b64 s[4:5], s[4:5], 3
	v_xor_b32_e32 v10, 4, v9
	v_xor_b32_e32 v12, 2, v9
	;; [unrolled: 1-line block ×3, first 2 shown]
	v_cmp_gt_i32_e64 s2, 32, v6
	s_waitcnt lgkmcnt(0)
	s_add_u32 s6, s26, s4
	s_addc_u32 s7, s27, s5
	v_add_co_ci_u32_e64 v8, null, s3, 0, s1
	s_load_b64 s[6:7], s[6:7], 0x0
	v_cndmask_b32_e64 v6, v9, v6, s2
	v_cmp_gt_i32_e64 s2, 32, v10
	s_delay_alu instid0(VALU_DEP_3)
	v_cmp_gt_i64_e32 vcc_lo, s[34:35], v[7:8]
	v_xor_b32_e32 v14, 63, v9
	v_lshrrev_b32_e32 v11, 3, v0
	v_dual_mov_b32 v5, 0 :: v_dual_and_b32 v28, 15, v0
	v_cndmask_b32_e64 v10, v9, v10, s2
	v_cmp_gt_i32_e64 s2, 32, v12
	s_delay_alu instid0(VALU_DEP_4)
	v_and_b32_e32 v35, 60, v11
	v_cmp_eq_u32_e64 s0, 0, v0
	v_cmp_eq_u32_e64 s1, 15, v28
	v_dual_mov_b32 v40, 0x800 :: v_dual_lshlrev_b32 v31, 2, v6
	v_cndmask_b32_e64 v12, v9, v12, s2
	v_cmp_gt_i32_e64 s2, 32, v13
	v_cmp_gt_u32_e64 s3, 32, v0
	v_cmp_gt_u32_e64 s8, 0xc0, v0
	;; [unrolled: 1-line block ×3, first 2 shown]
	s_waitcnt lgkmcnt(0)
	s_sub_u32 s18, s6, s30
	v_cndmask_b32_e64 v9, v9, v13, s2
	s_subb_u32 s19, s7, 0
	s_add_u32 s26, s20, s4
	s_addc_u32 s27, s21, s5
	s_and_b32 s55, s10, vcc_lo
	v_lshlrev_b32_e32 v32, 2, v10
	v_dual_mov_b32 v39, v5 :: v_dual_lshlrev_b32 v34, 2, v9
	v_lshrrev_b64 v[9:10], v14, -1
	s_add_u32 s56, s40, 8
	v_dual_mov_b32 v10, s18 :: v_dual_lshlrev_b32 v33, 2, v12
	s_addc_u32 s57, s41, 0
	v_cmp_eq_u32_e64 s2, 0x1ff, v0
	v_cmp_gt_u32_e64 s4, 64, v0
	v_cmp_gt_u32_e64 s5, 0x60, v0
	v_cmp_gt_u32_e64 s6, 0x80, v0
	v_cmp_gt_u32_e64 s7, 0xa0, v0
	v_cmp_gt_u32_e64 s10, 0x100, v0
	v_cmp_gt_u32_e64 s11, 0x120, v0
	v_cmp_gt_u32_e64 s12, 0x140, v0
	v_cmp_gt_u32_e64 s13, 0x160, v0
	v_cmp_gt_u32_e64 s14, 0x180, v0
	v_cmp_gt_u32_e64 s15, 0x1a0, v0
	v_cmp_gt_u32_e64 s16, 0x1c0, v0
	v_cmp_gt_u32_e64 s17, 0x1e0, v0
	s_add_u32 s44, s44, -4
	v_or_b32_e32 v36, 0xfffffe00, v0
	v_dual_mov_b32 v38, 1 :: v_dual_lshlrev_b32 v37, 3, v0
	v_dual_mov_b32 v11, s19 :: v_dual_mov_b32 v6, v5
	s_addc_u32 s45, s45, -1
	s_add_u32 s46, s46, -8
	s_mov_b32 s53, s29
	s_mov_b32 s54, s31
	s_addc_u32 s47, s47, -1
	s_branch .LBB215_11
.LBB215_10:                             ;   in Loop: Header=BB215_11 Depth=1
	s_or_b32 exec_lo, exec_lo, s19
	ds_load_b32 v39, v5 offset:18432
	s_waitcnt lgkmcnt(0)
	s_barrier
	buffer_gl0_inv
	v_cmp_le_i32_e32 vcc_lo, s52, v39
	v_add_nc_u32_e32 v40, 0x800, v39
	s_cbranch_vccnz .LBB215_66
.LBB215_11:                             ; =>This Loop Header: Depth=1
                                        ;     Child Loop BB215_12 Depth 2
                                        ;     Child Loop BB215_18 Depth 2
                                        ;       Child Loop BB215_24 Depth 3
                                        ;         Child Loop BB215_28 Depth 4
                                        ;     Child Loop BB215_43 Depth 2
                                        ;       Child Loop BB215_47 Depth 3
                                        ;     Child Loop BB215_57 Depth 2
                                        ;     Child Loop BB215_62 Depth 2
	v_dual_mov_b32 v12, v37 :: v_dual_mov_b32 v13, v36
	s_mov_b32 s18, 0
.LBB215_12:                             ;   Parent Loop BB215_11 Depth=1
                                        ; =>  This Inner Loop Header: Depth=2
	ds_store_b8 v13, v5 offset:16896
	v_add_nc_u32_e32 v13, 0x200, v13
	ds_store_b64 v12, v[5:6]
	v_add_nc_u32_e32 v12, 0x1000, v12
	v_cmp_lt_u32_e32 vcc_lo, 0x5ff, v13
	s_or_b32 s18, vcc_lo, s18
	s_delay_alu instid0(SALU_CYCLE_1)
	s_and_not1_b32 exec_lo, exec_lo, s18
	s_cbranch_execnz .LBB215_12
; %bb.13:                               ;   in Loop: Header=BB215_11 Depth=1
	s_or_b32 exec_lo, exec_lo, s18
	s_and_saveexec_b32 s18, s0
	s_cbranch_execz .LBB215_15
; %bb.14:                               ;   in Loop: Header=BB215_11 Depth=1
	v_mov_b32_e32 v12, s52
	ds_store_b32 v5, v12 offset:18432
.LBB215_15:                             ;   in Loop: Header=BB215_11 Depth=1
	s_or_b32 exec_lo, exec_lo, s18
	v_mov_b32_e32 v41, s52
	s_waitcnt vmcnt(0) lgkmcnt(0)
	s_barrier
	buffer_gl0_inv
	s_and_saveexec_b32 s21, s55
	s_cbranch_execz .LBB215_39
; %bb.16:                               ;   in Loop: Header=BB215_11 Depth=1
	v_mov_b32_e32 v13, v8
	v_cmp_ne_u32_e64 s18, 0, v39
	v_dual_mov_b32 v41, s52 :: v_dual_mov_b32 v12, v7
	s_mov_b32 s58, 0
	s_branch .LBB215_18
.LBB215_17:                             ;   in Loop: Header=BB215_18 Depth=2
	s_or_b32 exec_lo, exec_lo, s20
	v_add_co_u32 v12, vcc_lo, v12, 32
	v_add_co_ci_u32_e32 v13, vcc_lo, 0, v13, vcc_lo
	s_delay_alu instid0(VALU_DEP_1) | instskip(SKIP_1) | instid1(SALU_CYCLE_1)
	v_cmp_le_i64_e32 vcc_lo, s[34:35], v[12:13]
	s_or_b32 s58, vcc_lo, s58
	s_and_not1_b32 exec_lo, exec_lo, s58
	s_cbranch_execz .LBB215_38
.LBB215_18:                             ;   Parent Loop BB215_11 Depth=1
                                        ; =>  This Loop Header: Depth=2
                                        ;       Child Loop BB215_24 Depth 3
                                        ;         Child Loop BB215_28 Depth 4
	s_delay_alu instid0(VALU_DEP_1) | instskip(NEXT) | instid1(VALU_DEP_1)
	v_lshlrev_b64 v[14:15], 2, v[12:13]
	v_add_co_u32 v16, vcc_lo, s36, v14
	s_delay_alu instid0(VALU_DEP_2)
	v_add_co_ci_u32_e32 v17, vcc_lo, s37, v15, vcc_lo
	v_lshlrev_b64 v[14:15], 3, v[12:13]
	s_waitcnt lgkmcnt(0)
	global_load_b32 v18, v[16:17], off
	v_add_co_u32 v16, vcc_lo, s38, v14
	v_add_co_ci_u32_e32 v17, vcc_lo, s39, v15, vcc_lo
	s_and_b32 vcc_lo, exec_lo, s18
	global_load_b64 v[20:21], v[16:17], off
	s_waitcnt vmcnt(1)
	v_subrev_nc_u32_e32 v16, s28, v18
	s_delay_alu instid0(VALU_DEP_1)
	v_ashrrev_i32_e32 v17, 31, v16
	s_cbranch_vccz .LBB215_37
; %bb.19:                               ;   in Loop: Header=BB215_18 Depth=2
	v_add_co_u32 v18, vcc_lo, s48, v14
	v_add_co_ci_u32_e32 v19, vcc_lo, s49, v15, vcc_lo
	global_load_b64 v[22:23], v[18:19], off
	s_cbranch_execnz .LBB215_21
.LBB215_20:                             ;   in Loop: Header=BB215_18 Depth=2
	s_delay_alu instid0(VALU_DEP_1) | instskip(NEXT) | instid1(VALU_DEP_1)
	v_lshlrev_b64 v[18:19], 3, v[16:17]
	v_add_co_u32 v18, vcc_lo, s40, v18
	s_delay_alu instid0(VALU_DEP_2)
	v_add_co_ci_u32_e32 v19, vcc_lo, s41, v19, vcc_lo
	global_load_b64 v[18:19], v[18:19], off
	s_waitcnt vmcnt(0)
	v_sub_co_u32 v22, vcc_lo, v18, s53
	v_subrev_co_ci_u32_e32 v23, vcc_lo, 0, v19, vcc_lo
.LBB215_21:                             ;   in Loop: Header=BB215_18 Depth=2
	v_lshlrev_b64 v[16:17], 3, v[16:17]
	s_mov_b32 s59, exec_lo
	s_delay_alu instid0(VALU_DEP_1) | instskip(NEXT) | instid1(VALU_DEP_2)
	v_add_co_u32 v16, vcc_lo, s56, v16
	v_add_co_ci_u32_e32 v17, vcc_lo, s57, v17, vcc_lo
	global_load_b64 v[16:17], v[16:17], off
	s_waitcnt vmcnt(0)
	v_sub_co_u32 v18, vcc_lo, v16, s53
	v_subrev_co_ci_u32_e32 v19, vcc_lo, 0, v17, vcc_lo
	v_add_co_u32 v16, vcc_lo, v22, v28
	v_add_co_ci_u32_e32 v17, vcc_lo, 0, v23, vcc_lo
	s_delay_alu instid0(VALU_DEP_1)
	v_cmpx_lt_i64_e64 v[16:17], v[18:19]
	s_cbranch_execz .LBB215_35
; %bb.22:                               ;   in Loop: Header=BB215_18 Depth=2
	v_mul_f64 v[20:21], v[1:2], v[20:21]
	v_dual_mov_b32 v23, v17 :: v_dual_mov_b32 v22, v16
	s_mov_b32 s61, 0
                                        ; implicit-def: $sgpr60
                                        ; implicit-def: $sgpr62
	s_branch .LBB215_24
.LBB215_23:                             ;   in Loop: Header=BB215_24 Depth=3
	s_or_b32 exec_lo, exec_lo, s20
	s_delay_alu instid0(SALU_CYCLE_1) | instskip(SKIP_4) | instid1(SALU_CYCLE_1)
	s_and_b32 s19, exec_lo, s63
	v_dual_mov_b32 v22, v26 :: v_dual_mov_b32 v23, v27
	s_or_b32 s61, s19, s61
	s_and_not1_b32 s19, s60, exec_lo
	s_and_b32 s20, s62, exec_lo
	s_or_b32 s60, s19, s20
	s_and_not1_b32 exec_lo, exec_lo, s61
	s_cbranch_execz .LBB215_32
.LBB215_24:                             ;   Parent Loop BB215_11 Depth=1
                                        ;     Parent Loop BB215_18 Depth=2
                                        ; =>    This Loop Header: Depth=3
                                        ;         Child Loop BB215_28 Depth 4
	s_delay_alu instid0(VALU_DEP_1) | instskip(NEXT) | instid1(VALU_DEP_1)
	v_lshlrev_b64 v[24:25], 2, v[22:23]
	v_add_co_u32 v24, vcc_lo, s42, v24
	s_delay_alu instid0(VALU_DEP_2) | instskip(SKIP_3) | instid1(VALU_DEP_1)
	v_add_co_ci_u32_e32 v25, vcc_lo, s43, v25, vcc_lo
	global_load_b32 v24, v[24:25], off
	s_waitcnt vmcnt(0)
	v_subrev_nc_u32_e32 v42, s29, v24
	v_cmp_lt_i32_e64 s19, v42, v39
	v_cmp_ge_i32_e64 s20, v42, v40
	v_cmp_lt_i32_e32 vcc_lo, v42, v40
	s_delay_alu instid0(VALU_DEP_2) | instskip(SKIP_2) | instid1(SALU_CYCLE_1)
	s_or_b32 s63, s19, s20
	s_mov_b32 s19, 0
                                        ; implicit-def: $sgpr20
	s_and_saveexec_b32 s64, s63
	s_xor_b32 s63, exec_lo, s64
; %bb.25:                               ;   in Loop: Header=BB215_24 Depth=3
	s_mov_b32 s20, -1
	s_and_b32 s19, vcc_lo, exec_lo
; %bb.26:                               ;   in Loop: Header=BB215_24 Depth=3
	s_and_not1_saveexec_b32 s63, s63
	s_cbranch_execz .LBB215_30
; %bb.27:                               ;   in Loop: Header=BB215_24 Depth=3
	v_lshlrev_b64 v[24:25], 3, v[22:23]
	v_sub_nc_u32_e32 v26, v42, v39
	s_mov_b32 s64, 0
	s_delay_alu instid0(VALU_DEP_1) | instskip(NEXT) | instid1(VALU_DEP_3)
	v_lshlrev_b32_e32 v43, 3, v26
	v_add_co_u32 v24, vcc_lo, s50, v24
	s_delay_alu instid0(VALU_DEP_4)
	v_add_co_ci_u32_e32 v25, vcc_lo, s51, v25, vcc_lo
	ds_store_b8 v26, v38 offset:16384
	ds_load_b64 v[26:27], v43
	global_load_b64 v[24:25], v[24:25], off
	s_waitcnt vmcnt(0)
	v_mul_f64 v[24:25], v[20:21], v[24:25]
.LBB215_28:                             ;   Parent Loop BB215_11 Depth=1
                                        ;     Parent Loop BB215_18 Depth=2
                                        ;       Parent Loop BB215_24 Depth=3
                                        ; =>      This Inner Loop Header: Depth=4
	s_waitcnt lgkmcnt(0)
	s_delay_alu instid0(VALU_DEP_1)
	v_add_f64 v[44:45], v[26:27], v[24:25]
	ds_cmpstore_rtn_b64 v[44:45], v43, v[44:45], v[26:27]
	s_waitcnt lgkmcnt(0)
	v_cmp_eq_u64_e32 vcc_lo, v[44:45], v[26:27]
	v_dual_mov_b32 v26, v44 :: v_dual_mov_b32 v27, v45
	s_or_b32 s64, vcc_lo, s64
	s_delay_alu instid0(SALU_CYCLE_1)
	s_and_not1_b32 exec_lo, exec_lo, s64
	s_cbranch_execnz .LBB215_28
; %bb.29:                               ;   in Loop: Header=BB215_24 Depth=3
	s_or_b32 exec_lo, exec_lo, s64
	s_delay_alu instid0(SALU_CYCLE_1)
	s_or_b32 s19, s19, exec_lo
.LBB215_30:                             ;   in Loop: Header=BB215_24 Depth=3
	s_or_b32 exec_lo, exec_lo, s63
	v_dual_mov_b32 v25, v23 :: v_dual_mov_b32 v24, v22
	s_and_not1_b32 s62, s62, exec_lo
	s_and_b32 s20, s20, exec_lo
	s_mov_b32 s63, -1
	s_or_b32 s62, s62, s20
                                        ; implicit-def: $vgpr26_vgpr27
	s_and_saveexec_b32 s20, s19
	s_cbranch_execz .LBB215_23
; %bb.31:                               ;   in Loop: Header=BB215_24 Depth=3
	v_add_co_u32 v26, vcc_lo, v22, 16
	v_add_co_ci_u32_e32 v27, vcc_lo, 0, v23, vcc_lo
	v_dual_mov_b32 v25, v23 :: v_dual_mov_b32 v24, v22
	s_and_not1_b32 s62, s62, exec_lo
	s_delay_alu instid0(VALU_DEP_2)
	v_cmp_ge_i64_e32 vcc_lo, v[26:27], v[18:19]
	s_or_not1_b32 s63, vcc_lo, exec_lo
	s_branch .LBB215_23
.LBB215_32:                             ;   in Loop: Header=BB215_18 Depth=2
	s_or_b32 exec_lo, exec_lo, s61
	s_and_saveexec_b32 s19, s60
	s_delay_alu instid0(SALU_CYCLE_1)
	s_xor_b32 s19, exec_lo, s19
; %bb.33:                               ;   in Loop: Header=BB215_18 Depth=2
	v_min_i32_e32 v41, v42, v41
	v_dual_mov_b32 v16, v24 :: v_dual_mov_b32 v17, v25
; %bb.34:                               ;   in Loop: Header=BB215_18 Depth=2
	s_or_b32 exec_lo, exec_lo, s19
.LBB215_35:                             ;   in Loop: Header=BB215_18 Depth=2
	s_delay_alu instid0(SALU_CYCLE_1)
	s_or_b32 exec_lo, exec_lo, s59
	ds_bpermute_b32 v18, v31, v16
	ds_bpermute_b32 v19, v31, v17
	s_waitcnt lgkmcnt(0)
	v_cmp_lt_i64_e32 vcc_lo, v[18:19], v[16:17]
	v_dual_cndmask_b32 v17, v17, v19 :: v_dual_cndmask_b32 v16, v16, v18
	ds_bpermute_b32 v19, v32, v17
	ds_bpermute_b32 v18, v32, v16
	s_waitcnt lgkmcnt(0)
	v_cmp_lt_i64_e32 vcc_lo, v[18:19], v[16:17]
	v_dual_cndmask_b32 v17, v17, v19 :: v_dual_cndmask_b32 v16, v16, v18
	;; [unrolled: 5-line block ×3, first 2 shown]
	ds_bpermute_b32 v19, v34, v17
	ds_bpermute_b32 v18, v34, v16
	s_and_saveexec_b32 s20, s1
	s_cbranch_execz .LBB215_17
; %bb.36:                               ;   in Loop: Header=BB215_18 Depth=2
	s_waitcnt lgkmcnt(0)
	v_cmp_lt_i64_e32 vcc_lo, v[18:19], v[16:17]
	v_add_co_u32 v14, s19, s48, v14
	s_delay_alu instid0(VALU_DEP_1)
	v_add_co_ci_u32_e64 v15, s19, s49, v15, s19
	v_dual_cndmask_b32 v17, v17, v19 :: v_dual_cndmask_b32 v16, v16, v18
	global_store_b64 v[14:15], v[16:17], off
	s_branch .LBB215_17
.LBB215_37:                             ;   in Loop: Header=BB215_18 Depth=2
                                        ; implicit-def: $vgpr22_vgpr23
	s_branch .LBB215_20
.LBB215_38:                             ;   in Loop: Header=BB215_11 Depth=1
	s_or_b32 exec_lo, exec_lo, s58
.LBB215_39:                             ;   in Loop: Header=BB215_11 Depth=1
	s_delay_alu instid0(SALU_CYCLE_1) | instskip(NEXT) | instid1(SALU_CYCLE_1)
	s_or_b32 exec_lo, exec_lo, s21
	s_and_not1_b32 vcc_lo, exec_lo, s33
	s_cbranch_vccnz .LBB215_55
; %bb.40:                               ;   in Loop: Header=BB215_11 Depth=1
	s_load_b128 s[60:63], s[26:27], 0x0
	s_mov_b32 s58, exec_lo
	s_waitcnt lgkmcnt(0)
	v_add_co_u32 v12, vcc_lo, s60, v29
	v_add_co_ci_u32_e32 v13, vcc_lo, s61, v30, vcc_lo
	s_sub_u32 s20, s62, s54
	s_subb_u32 s21, s63, 0
	s_delay_alu instid0(VALU_DEP_1) | instid1(SALU_CYCLE_1)
	v_cmpx_gt_i64_e64 s[20:21], v[12:13]
	s_cbranch_execz .LBB215_54
; %bb.41:                               ;   in Loop: Header=BB215_11 Depth=1
	s_mov_b32 s59, 0
                                        ; implicit-def: $sgpr60
                                        ; implicit-def: $sgpr61
	s_branch .LBB215_43
.LBB215_42:                             ;   in Loop: Header=BB215_43 Depth=2
	s_or_b32 exec_lo, exec_lo, s62
	s_delay_alu instid0(SALU_CYCLE_1) | instskip(NEXT) | instid1(SALU_CYCLE_1)
	s_and_b32 s18, exec_lo, s19
	s_or_b32 s59, s18, s59
	s_and_not1_b32 s18, s60, exec_lo
	s_and_b32 s19, s61, exec_lo
	s_delay_alu instid0(SALU_CYCLE_1)
	s_or_b32 s60, s18, s19
	s_and_not1_b32 exec_lo, exec_lo, s59
	s_cbranch_execz .LBB215_51
.LBB215_43:                             ;   Parent Loop BB215_11 Depth=1
                                        ; =>  This Loop Header: Depth=2
                                        ;       Child Loop BB215_47 Depth 3
	v_lshlrev_b64 v[14:15], 2, v[12:13]
	s_delay_alu instid0(VALU_DEP_1) | instskip(NEXT) | instid1(VALU_DEP_2)
	v_add_co_u32 v14, vcc_lo, s22, v14
	v_add_co_ci_u32_e32 v15, vcc_lo, s23, v15, vcc_lo
	global_load_b32 v14, v[14:15], off
	s_waitcnt vmcnt(0)
	v_subrev_nc_u32_e32 v18, s31, v14
	s_delay_alu instid0(VALU_DEP_1) | instskip(SKIP_2) | instid1(VALU_DEP_2)
	v_cmp_lt_i32_e64 s18, v18, v39
	v_cmp_ge_i32_e64 s19, v18, v40
	v_cmp_lt_i32_e32 vcc_lo, v18, v40
	s_or_b32 s62, s18, s19
	s_mov_b32 s18, 0
                                        ; implicit-def: $sgpr19
	s_and_saveexec_b32 s63, s62
	s_delay_alu instid0(SALU_CYCLE_1)
	s_xor_b32 s62, exec_lo, s63
; %bb.44:                               ;   in Loop: Header=BB215_43 Depth=2
	s_mov_b32 s19, -1
	s_and_b32 s18, vcc_lo, exec_lo
; %bb.45:                               ;   in Loop: Header=BB215_43 Depth=2
	s_and_not1_saveexec_b32 s62, s62
	s_cbranch_execz .LBB215_49
; %bb.46:                               ;   in Loop: Header=BB215_43 Depth=2
	v_lshlrev_b64 v[14:15], 3, v[12:13]
	v_sub_nc_u32_e32 v16, v18, v39
	s_mov_b32 s63, 0
	s_delay_alu instid0(VALU_DEP_1) | instskip(NEXT) | instid1(VALU_DEP_3)
	v_lshlrev_b32_e32 v19, 3, v16
	v_add_co_u32 v14, vcc_lo, s24, v14
	s_delay_alu instid0(VALU_DEP_4)
	v_add_co_ci_u32_e32 v15, vcc_lo, s25, v15, vcc_lo
	ds_store_b8 v16, v38 offset:16384
	ds_load_b64 v[16:17], v19
	global_load_b64 v[14:15], v[14:15], off
	s_waitcnt vmcnt(0)
	v_mul_f64 v[14:15], v[3:4], v[14:15]
.LBB215_47:                             ;   Parent Loop BB215_11 Depth=1
                                        ;     Parent Loop BB215_43 Depth=2
                                        ; =>    This Inner Loop Header: Depth=3
	s_waitcnt lgkmcnt(0)
	s_delay_alu instid0(VALU_DEP_1)
	v_add_f64 v[20:21], v[16:17], v[14:15]
	ds_cmpstore_rtn_b64 v[20:21], v19, v[20:21], v[16:17]
	s_waitcnt lgkmcnt(0)
	v_cmp_eq_u64_e32 vcc_lo, v[20:21], v[16:17]
	v_dual_mov_b32 v16, v20 :: v_dual_mov_b32 v17, v21
	s_or_b32 s63, vcc_lo, s63
	s_delay_alu instid0(SALU_CYCLE_1)
	s_and_not1_b32 exec_lo, exec_lo, s63
	s_cbranch_execnz .LBB215_47
; %bb.48:                               ;   in Loop: Header=BB215_43 Depth=2
	s_or_b32 exec_lo, exec_lo, s63
	s_delay_alu instid0(SALU_CYCLE_1)
	s_or_b32 s18, s18, exec_lo
.LBB215_49:                             ;   in Loop: Header=BB215_43 Depth=2
	s_or_b32 exec_lo, exec_lo, s62
	s_delay_alu instid0(SALU_CYCLE_1)
	s_and_not1_b32 s61, s61, exec_lo
	s_and_b32 s62, s19, exec_lo
	s_mov_b32 s19, -1
	s_or_b32 s61, s61, s62
	s_and_saveexec_b32 s62, s18
	s_cbranch_execz .LBB215_42
; %bb.50:                               ;   in Loop: Header=BB215_43 Depth=2
	v_add_co_u32 v12, vcc_lo, 0x200, v12
	v_add_co_ci_u32_e32 v13, vcc_lo, 0, v13, vcc_lo
	s_and_not1_b32 s61, s61, exec_lo
	s_delay_alu instid0(VALU_DEP_1)
	v_cmp_le_i64_e32 vcc_lo, s[20:21], v[12:13]
	s_or_not1_b32 s19, vcc_lo, exec_lo
	s_branch .LBB215_42
.LBB215_51:                             ;   in Loop: Header=BB215_11 Depth=1
	s_or_b32 exec_lo, exec_lo, s59
	s_and_saveexec_b32 s18, s60
	s_delay_alu instid0(SALU_CYCLE_1)
	s_xor_b32 s18, exec_lo, s18
; %bb.52:                               ;   in Loop: Header=BB215_11 Depth=1
	v_min_i32_e32 v41, v18, v41
; %bb.53:                               ;   in Loop: Header=BB215_11 Depth=1
	s_or_b32 exec_lo, exec_lo, s18
.LBB215_54:                             ;   in Loop: Header=BB215_11 Depth=1
	s_delay_alu instid0(SALU_CYCLE_1)
	s_or_b32 exec_lo, exec_lo, s58
.LBB215_55:                             ;   in Loop: Header=BB215_11 Depth=1
	ds_bpermute_b32 v12, v31, v41
	s_waitcnt lgkmcnt(0)
	v_min_i32_e32 v12, v12, v41
	ds_bpermute_b32 v13, v32, v12
	s_waitcnt lgkmcnt(0)
	v_min_i32_e32 v12, v13, v12
	;; [unrolled: 3-line block ×3, first 2 shown]
	ds_bpermute_b32 v13, v34, v12
	s_and_saveexec_b32 s18, s1
	s_cbranch_execz .LBB215_60
; %bb.56:                               ;   in Loop: Header=BB215_11 Depth=1
	s_waitcnt lgkmcnt(0)
	v_min_i32_e32 v12, v13, v12
	s_mov_b32 s20, exec_lo
	s_brev_b32 s19, -2
.LBB215_57:                             ;   Parent Loop BB215_11 Depth=1
                                        ; =>  This Inner Loop Header: Depth=2
	s_ctz_i32_b32 s21, s20
	s_delay_alu instid0(VALU_DEP_1) | instid1(SALU_CYCLE_1)
	v_readlane_b32 s58, v12, s21
	s_lshl_b32 s21, 1, s21
	s_delay_alu instid0(SALU_CYCLE_1) | instskip(NEXT) | instid1(VALU_DEP_1)
	s_and_not1_b32 s20, s20, s21
	s_min_i32 s19, s19, s58
	s_cmp_lg_u32 s20, 0
	s_cbranch_scc1 .LBB215_57
; %bb.58:                               ;   in Loop: Header=BB215_11 Depth=1
	v_mbcnt_lo_u32_b32 v12, exec_lo, 0
	s_mov_b32 s20, exec_lo
	s_delay_alu instid0(VALU_DEP_1)
	v_cmpx_eq_u32_e32 0, v12
	s_xor_b32 s20, exec_lo, s20
	s_cbranch_execz .LBB215_60
; %bb.59:                               ;   in Loop: Header=BB215_11 Depth=1
	v_mov_b32_e32 v12, s19
	ds_min_i32 v5, v12 offset:18432
.LBB215_60:                             ;   in Loop: Header=BB215_11 Depth=1
	s_or_b32 exec_lo, exec_lo, s18
	v_dual_mov_b32 v15, v37 :: v_dual_add_nc_u32 v14, s30, v39
	v_mov_b32_e32 v16, v0
	s_mov_b32 s19, 0
	s_waitcnt lgkmcnt(0)
	s_waitcnt_vscnt null, 0x0
	s_barrier
	buffer_gl0_inv
	s_branch .LBB215_62
.LBB215_61:                             ;   in Loop: Header=BB215_62 Depth=2
	s_or_b32 exec_lo, exec_lo, s18
	s_waitcnt lgkmcnt(0)
	s_waitcnt_vscnt null, 0x0
	s_barrier
	buffer_gl0_inv
	ds_load_b32 v12, v5 offset:60
	v_add_nc_u32_e32 v13, 0x200, v16
	v_cmp_lt_u32_e32 vcc_lo, 0x5ff, v16
	s_delay_alu instid0(VALU_DEP_2) | instskip(SKIP_4) | instid1(VALU_DEP_1)
	v_dual_mov_b32 v16, v13 :: v_dual_add_nc_u32 v15, 0x1000, v15
	s_or_b32 s19, vcc_lo, s19
	s_waitcnt lgkmcnt(0)
	v_ashrrev_i32_e32 v17, 31, v12
	v_add_co_u32 v10, s18, v10, v12
	v_add_co_ci_u32_e64 v11, s18, v11, v17, s18
	s_and_not1_b32 exec_lo, exec_lo, s19
	s_cbranch_execz .LBB215_10
.LBB215_62:                             ;   Parent Loop BB215_11 Depth=1
                                        ; =>  This Inner Loop Header: Depth=2
	ds_load_u8 v25, v16 offset:16384
	ds_load_b64 v[12:13], v15
	s_waitcnt lgkmcnt(0)
	s_barrier
	buffer_gl0_inv
	v_cmp_ne_u16_e32 vcc_lo, 0, v25
	s_bcnt1_i32_b32 s18, vcc_lo
	s_delay_alu instid0(SALU_CYCLE_1)
	v_dual_mov_b32 v17, s18 :: v_dual_and_b32 v26, vcc_lo, v9
	s_mov_b32 s18, exec_lo
	ds_store_b32 v35, v17
	s_waitcnt lgkmcnt(0)
	s_barrier
	buffer_gl0_inv
	ds_load_b128 v[17:20], v5
	ds_load_b128 v[21:24], v5 offset:16
	ds_load_b128 v[39:42], v5 offset:32
	s_waitcnt lgkmcnt(2)
	v_cndmask_b32_e64 v17, v17, 0, s3
	v_cndmask_b32_e64 v27, v18, 0, s4
	v_cndmask_b32_e64 v43, v19, 0, s5
	v_cndmask_b32_e64 v20, v20, 0, s6
	s_waitcnt lgkmcnt(1)
	v_cndmask_b32_e64 v21, v21, 0, s7
	v_bcnt_u32_b32 v26, v26, v17
	ds_load_b96 v[17:19], v5 offset:48
	v_cndmask_b32_e64 v22, v22, 0, s8
	v_cndmask_b32_e64 v23, v23, 0, s9
	v_add3_u32 v26, v26, v27, v43
	s_delay_alu instid0(VALU_DEP_1) | instskip(SKIP_3) | instid1(VALU_DEP_3)
	v_add3_u32 v20, v26, v20, v21
	v_cndmask_b32_e64 v21, v24, 0, s10
	s_waitcnt lgkmcnt(1)
	v_cndmask_b32_e64 v24, v39, 0, s11
	v_add3_u32 v20, v20, v22, v23
	v_cndmask_b32_e64 v22, v40, 0, s12
	v_cndmask_b32_e64 v23, v41, 0, s13
	s_delay_alu instid0(VALU_DEP_3)
	v_add3_u32 v20, v20, v21, v24
	v_cndmask_b32_e64 v21, v42, 0, s14
	s_waitcnt lgkmcnt(0)
	v_cndmask_b32_e64 v17, v17, 0, s15
	v_cndmask_b32_e64 v18, v18, 0, s16
	;; [unrolled: 1-line block ×3, first 2 shown]
	v_add3_u32 v20, v20, v22, v23
	s_delay_alu instid0(VALU_DEP_1) | instskip(SKIP_1) | instid1(VALU_DEP_2)
	v_add3_u32 v17, v20, v21, v17
	v_and_b32_e32 v20, 1, v25
	v_add3_u32 v17, v17, v18, v19
	s_delay_alu instid0(VALU_DEP_2)
	v_cmpx_eq_u32_e32 1, v20
	s_cbranch_execz .LBB215_64
; %bb.63:                               ;   in Loop: Header=BB215_62 Depth=2
	s_delay_alu instid0(VALU_DEP_2) | instskip(SKIP_2) | instid1(VALU_DEP_3)
	v_ashrrev_i32_e32 v19, 31, v17
	v_add_co_u32 v18, vcc_lo, v10, v17
	v_add_nc_u32_e32 v22, v14, v16
	v_add_co_ci_u32_e32 v19, vcc_lo, v11, v19, vcc_lo
	s_delay_alu instid0(VALU_DEP_1) | instskip(SKIP_1) | instid1(VALU_DEP_2)
	v_lshlrev_b64 v[20:21], 2, v[18:19]
	v_lshlrev_b64 v[18:19], 3, v[18:19]
	v_add_co_u32 v20, vcc_lo, s44, v20
	s_delay_alu instid0(VALU_DEP_3) | instskip(NEXT) | instid1(VALU_DEP_3)
	v_add_co_ci_u32_e32 v21, vcc_lo, s45, v21, vcc_lo
	v_add_co_u32 v18, vcc_lo, s46, v18
	s_delay_alu instid0(VALU_DEP_4)
	v_add_co_ci_u32_e32 v19, vcc_lo, s47, v19, vcc_lo
	global_store_b32 v[20:21], v22, off
	global_store_b64 v[18:19], v[12:13], off
.LBB215_64:                             ;   in Loop: Header=BB215_62 Depth=2
	s_or_b32 exec_lo, exec_lo, s18
	s_and_saveexec_b32 s18, s2
	s_cbranch_execz .LBB215_61
; %bb.65:                               ;   in Loop: Header=BB215_62 Depth=2
	ds_store_b32 v5, v17 offset:60
	s_branch .LBB215_61
.LBB215_66:
	s_endpgm
	.section	.rodata,"a",@progbits
	.p2align	6, 0x0
	.amdhsa_kernel _ZN9rocsparseL36csrgemm_fill_block_per_row_multipassILj512ELj16ELj2048ELj32ElidEEvT4_PKS1_S3_NS_24const_host_device_scalarIT5_EEPKT3_S3_PKS5_S9_S3_SB_S6_S9_S3_SB_S9_PS1_PS5_PS7_21rocsparse_index_base_SF_SF_SF_bbb
		.amdhsa_group_segment_fixed_size 18440
		.amdhsa_private_segment_fixed_size 0
		.amdhsa_kernarg_size 164
		.amdhsa_user_sgpr_count 15
		.amdhsa_user_sgpr_dispatch_ptr 0
		.amdhsa_user_sgpr_queue_ptr 0
		.amdhsa_user_sgpr_kernarg_segment_ptr 1
		.amdhsa_user_sgpr_dispatch_id 0
		.amdhsa_user_sgpr_private_segment_size 0
		.amdhsa_wavefront_size32 1
		.amdhsa_uses_dynamic_stack 0
		.amdhsa_enable_private_segment 0
		.amdhsa_system_sgpr_workgroup_id_x 1
		.amdhsa_system_sgpr_workgroup_id_y 0
		.amdhsa_system_sgpr_workgroup_id_z 0
		.amdhsa_system_sgpr_workgroup_info 0
		.amdhsa_system_vgpr_workitem_id 0
		.amdhsa_next_free_vgpr 46
		.amdhsa_next_free_sgpr 65
		.amdhsa_reserve_vcc 1
		.amdhsa_float_round_mode_32 0
		.amdhsa_float_round_mode_16_64 0
		.amdhsa_float_denorm_mode_32 3
		.amdhsa_float_denorm_mode_16_64 3
		.amdhsa_dx10_clamp 1
		.amdhsa_ieee_mode 1
		.amdhsa_fp16_overflow 0
		.amdhsa_workgroup_processor_mode 1
		.amdhsa_memory_ordered 1
		.amdhsa_forward_progress 0
		.amdhsa_shared_vgpr_count 0
		.amdhsa_exception_fp_ieee_invalid_op 0
		.amdhsa_exception_fp_denorm_src 0
		.amdhsa_exception_fp_ieee_div_zero 0
		.amdhsa_exception_fp_ieee_overflow 0
		.amdhsa_exception_fp_ieee_underflow 0
		.amdhsa_exception_fp_ieee_inexact 0
		.amdhsa_exception_int_div_zero 0
	.end_amdhsa_kernel
	.section	.text._ZN9rocsparseL36csrgemm_fill_block_per_row_multipassILj512ELj16ELj2048ELj32ElidEEvT4_PKS1_S3_NS_24const_host_device_scalarIT5_EEPKT3_S3_PKS5_S9_S3_SB_S6_S9_S3_SB_S9_PS1_PS5_PS7_21rocsparse_index_base_SF_SF_SF_bbb,"axG",@progbits,_ZN9rocsparseL36csrgemm_fill_block_per_row_multipassILj512ELj16ELj2048ELj32ElidEEvT4_PKS1_S3_NS_24const_host_device_scalarIT5_EEPKT3_S3_PKS5_S9_S3_SB_S6_S9_S3_SB_S9_PS1_PS5_PS7_21rocsparse_index_base_SF_SF_SF_bbb,comdat
.Lfunc_end215:
	.size	_ZN9rocsparseL36csrgemm_fill_block_per_row_multipassILj512ELj16ELj2048ELj32ElidEEvT4_PKS1_S3_NS_24const_host_device_scalarIT5_EEPKT3_S3_PKS5_S9_S3_SB_S6_S9_S3_SB_S9_PS1_PS5_PS7_21rocsparse_index_base_SF_SF_SF_bbb, .Lfunc_end215-_ZN9rocsparseL36csrgemm_fill_block_per_row_multipassILj512ELj16ELj2048ELj32ElidEEvT4_PKS1_S3_NS_24const_host_device_scalarIT5_EEPKT3_S3_PKS5_S9_S3_SB_S6_S9_S3_SB_S9_PS1_PS5_PS7_21rocsparse_index_base_SF_SF_SF_bbb
                                        ; -- End function
	.section	.AMDGPU.csdata,"",@progbits
; Kernel info:
; codeLenInByte = 3272
; NumSgprs: 67
; NumVgprs: 46
; ScratchSize: 0
; MemoryBound: 0
; FloatMode: 240
; IeeeMode: 1
; LDSByteSize: 18440 bytes/workgroup (compile time only)
; SGPRBlocks: 8
; VGPRBlocks: 5
; NumSGPRsForWavesPerEU: 67
; NumVGPRsForWavesPerEU: 46
; Occupancy: 16
; WaveLimiterHint : 1
; COMPUTE_PGM_RSRC2:SCRATCH_EN: 0
; COMPUTE_PGM_RSRC2:USER_SGPR: 15
; COMPUTE_PGM_RSRC2:TRAP_HANDLER: 0
; COMPUTE_PGM_RSRC2:TGID_X_EN: 1
; COMPUTE_PGM_RSRC2:TGID_Y_EN: 0
; COMPUTE_PGM_RSRC2:TGID_Z_EN: 0
; COMPUTE_PGM_RSRC2:TIDIG_COMP_CNT: 0
	.section	.text._ZN9rocsparseL36csrgemm_fill_block_per_row_multipassILj512ELj16ELj2048ELj64ElidEEvT4_PKS1_S3_NS_24const_host_device_scalarIT5_EEPKT3_S3_PKS5_S9_S3_SB_S6_S9_S3_SB_S9_PS1_PS5_PS7_21rocsparse_index_base_SF_SF_SF_bbb,"axG",@progbits,_ZN9rocsparseL36csrgemm_fill_block_per_row_multipassILj512ELj16ELj2048ELj64ElidEEvT4_PKS1_S3_NS_24const_host_device_scalarIT5_EEPKT3_S3_PKS5_S9_S3_SB_S6_S9_S3_SB_S9_PS1_PS5_PS7_21rocsparse_index_base_SF_SF_SF_bbb,comdat
	.globl	_ZN9rocsparseL36csrgemm_fill_block_per_row_multipassILj512ELj16ELj2048ELj64ElidEEvT4_PKS1_S3_NS_24const_host_device_scalarIT5_EEPKT3_S3_PKS5_S9_S3_SB_S6_S9_S3_SB_S9_PS1_PS5_PS7_21rocsparse_index_base_SF_SF_SF_bbb ; -- Begin function _ZN9rocsparseL36csrgemm_fill_block_per_row_multipassILj512ELj16ELj2048ELj64ElidEEvT4_PKS1_S3_NS_24const_host_device_scalarIT5_EEPKT3_S3_PKS5_S9_S3_SB_S6_S9_S3_SB_S9_PS1_PS5_PS7_21rocsparse_index_base_SF_SF_SF_bbb
	.p2align	8
	.type	_ZN9rocsparseL36csrgemm_fill_block_per_row_multipassILj512ELj16ELj2048ELj64ElidEEvT4_PKS1_S3_NS_24const_host_device_scalarIT5_EEPKT3_S3_PKS5_S9_S3_SB_S6_S9_S3_SB_S9_PS1_PS5_PS7_21rocsparse_index_base_SF_SF_SF_bbb,@function
_ZN9rocsparseL36csrgemm_fill_block_per_row_multipassILj512ELj16ELj2048ELj64ElidEEvT4_PKS1_S3_NS_24const_host_device_scalarIT5_EEPKT3_S3_PKS5_S9_S3_SB_S6_S9_S3_SB_S9_PS1_PS5_PS7_21rocsparse_index_base_SF_SF_SF_bbb: ; @_ZN9rocsparseL36csrgemm_fill_block_per_row_multipassILj512ELj16ELj2048ELj64ElidEEvT4_PKS1_S3_NS_24const_host_device_scalarIT5_EEPKT3_S3_PKS5_S9_S3_SB_S6_S9_S3_SB_S9_PS1_PS5_PS7_21rocsparse_index_base_SF_SF_SF_bbb
; %bb.0:
	s_clause 0x4
	s_load_b32 s11, s[0:1], 0xa0
	s_load_b64 s[8:9], s[0:1], 0x18
	s_load_b128 s[4:7], s[0:1], 0x8
	s_load_b128 s[28:31], s[0:1], 0x90
	s_load_b64 s[2:3], s[0:1], 0x50
	s_waitcnt lgkmcnt(0)
	s_and_b32 s10, 1, s11
	s_bitcmp1_b32 s11, 16
	s_cselect_b32 s12, -1, 0
	s_cmp_eq_u32 s10, 1
	s_cselect_b32 s10, -1, 0
	s_delay_alu instid0(SALU_CYCLE_1)
	s_and_b32 s13, s10, exec_lo
	s_cselect_b32 s17, s9, 0
	s_cselect_b32 s16, s8, 0
	s_xor_b32 s13, s10, -1
	v_dual_mov_b32 v1, s16 :: v_dual_mov_b32 v2, s17
	s_or_b32 s13, s13, s12
	s_delay_alu instid0(SALU_CYCLE_1)
	s_and_b32 vcc_lo, exec_lo, s13
	s_cbranch_vccnz .LBB216_2
; %bb.1:
	v_dual_mov_b32 v1, s8 :: v_dual_mov_b32 v2, s9
	flat_load_b64 v[1:2], v[1:2]
.LBB216_2:
	s_load_b64 s[8:9], s[0:1], 0x20
	s_bitcmp1_b32 s11, 8
	s_cselect_b32 s33, -1, 0
	s_delay_alu instid0(SALU_CYCLE_1)
	s_and_b32 s11, s33, exec_lo
	s_cselect_b32 s17, s3, 0
	s_cselect_b32 s16, s2, 0
	s_xor_b32 s11, s33, -1
	v_dual_mov_b32 v3, s16 :: v_dual_mov_b32 v4, s17
	s_or_b32 s11, s11, s12
	s_delay_alu instid0(SALU_CYCLE_1)
	s_and_b32 vcc_lo, exec_lo, s11
	s_cbranch_vccnz .LBB216_4
; %bb.3:
	v_dual_mov_b32 v4, s3 :: v_dual_mov_b32 v3, s2
	flat_load_b64 v[3:4], v[3:4]
.LBB216_4:
	s_load_b32 s2, s[4:5], 0x0
	s_mov_b32 s3, 0
	s_mov_b64 s[34:35], 0
	s_mov_b64 s[4:5], 0
	s_waitcnt lgkmcnt(0)
	s_add_i32 s2, s2, s15
	s_delay_alu instid0(SALU_CYCLE_1) | instskip(NEXT) | instid1(SALU_CYCLE_1)
	s_lshl_b64 s[2:3], s[2:3], 2
	s_add_u32 s2, s6, s2
	s_addc_u32 s3, s7, s3
	s_and_not1_b32 vcc_lo, exec_lo, s10
	s_load_b32 s2, s[2:3], 0x0
	s_cbranch_vccz .LBB216_7
; %bb.5:
	s_and_not1_b32 vcc_lo, exec_lo, s10
	s_cbranch_vccz .LBB216_8
.LBB216_6:
	s_load_b32 s44, s[0:1], 0x0
	s_waitcnt lgkmcnt(0)
	s_cmp_lt_i32 s44, 1
	s_cbranch_scc0 .LBB216_9
	s_branch .LBB216_66
.LBB216_7:
	s_waitcnt lgkmcnt(0)
	s_ashr_i32 s3, s2, 31
	s_delay_alu instid0(SALU_CYCLE_1) | instskip(NEXT) | instid1(SALU_CYCLE_1)
	s_lshl_b64 s[4:5], s[2:3], 3
	s_add_u32 s4, s8, s4
	s_addc_u32 s5, s9, s5
	s_load_b64 s[4:5], s[4:5], 0x0
	s_waitcnt lgkmcnt(0)
	s_sub_u32 s4, s4, s28
	s_subb_u32 s5, s5, 0
	s_and_not1_b32 vcc_lo, exec_lo, s10
	s_cbranch_vccnz .LBB216_6
.LBB216_8:
	s_waitcnt lgkmcnt(0)
	s_ashr_i32 s3, s2, 31
	s_delay_alu instid0(SALU_CYCLE_1) | instskip(NEXT) | instid1(SALU_CYCLE_1)
	s_lshl_b64 s[6:7], s[2:3], 3
	s_add_u32 s6, s8, s6
	s_addc_u32 s7, s9, s7
	s_load_b64 s[6:7], s[6:7], 0x8
	s_waitcnt lgkmcnt(0)
	s_sub_u32 s34, s6, s28
	s_subb_u32 s35, s7, 0
	s_load_b32 s44, s[0:1], 0x0
	s_waitcnt lgkmcnt(0)
	s_cmp_lt_i32 s44, 1
	s_cbranch_scc1 .LBB216_66
.LBB216_9:
	s_clause 0x4
	s_load_b256 s[12:19], s[0:1], 0x58
	s_load_b64 s[40:41], s[0:1], 0x88
	s_load_b128 s[36:39], s[0:1], 0x78
	s_load_b64 s[42:43], s[0:1], 0x48
	s_load_b256 s[20:27], s[0:1], 0x28
	v_mbcnt_lo_u32_b32 v9, -1, 0
	s_ashr_i32 s3, s2, 31
	v_lshrrev_b32_e32 v6, 4, v0
	s_lshl_b64 s[6:7], s[2:3], 3
	v_sub_co_u32 v29, s1, v0, s31
	v_xor_b32_e32 v10, 8, v9
	v_xor_b32_e32 v11, 4, v9
	;; [unrolled: 1-line block ×4, first 2 shown]
	v_sub_co_ci_u32_e64 v30, null, 0, 0, s1
	v_add_co_u32 v7, s1, s4, v6
	s_delay_alu instid0(VALU_DEP_1)
	v_add_co_ci_u32_e64 v8, null, s5, 0, s1
	s_waitcnt lgkmcnt(0)
	s_add_u32 s2, s18, s6
	s_addc_u32 s3, s19, s7
	v_xor_b32_e32 v14, 63, v9
	s_load_b64 s[8:9], s[2:3], 0x0
	v_cmp_gt_i32_e64 s2, 32, v10
	v_cmp_gt_i64_e32 vcc_lo, s[34:35], v[7:8]
	v_dual_mov_b32 v5, 0 :: v_dual_and_b32 v28, 15, v0
	v_cmp_eq_u32_e64 s0, 0, v0
	s_delay_alu instid0(VALU_DEP_4) | instskip(SKIP_1) | instid1(VALU_DEP_4)
	v_cndmask_b32_e64 v10, v9, v10, s2
	v_cmp_gt_i32_e64 s2, 32, v11
	v_cmp_eq_u32_e64 s1, 15, v28
	v_dual_mov_b32 v6, v5 :: v_dual_and_b32 v35, 28, v6
	s_delay_alu instid0(VALU_DEP_4) | instskip(NEXT) | instid1(VALU_DEP_4)
	v_dual_mov_b32 v40, 0x800 :: v_dual_lshlrev_b32 v31, 2, v10
	v_cndmask_b32_e64 v11, v9, v11, s2
	v_cmp_gt_i32_e64 s2, 32, v12
	v_cmp_gt_u32_e64 s3, 64, v0
	v_cmp_gt_u32_e64 s4, 0x80, v0
	;; [unrolled: 1-line block ×3, first 2 shown]
	v_or_b32_e32 v36, 0xfffffe00, v0
	v_cndmask_b32_e64 v12, v9, v12, s2
	v_cmp_gt_i32_e64 s2, 32, v13
	s_waitcnt lgkmcnt(0)
	s_sub_u32 s50, s8, s30
	s_subb_u32 s51, s9, 0
	s_add_u32 s18, s12, s6
	s_addc_u32 s19, s13, s7
	v_cndmask_b32_e64 v9, v9, v13, s2
	s_and_b32 s47, s10, vcc_lo
	s_add_u32 s48, s24, 8
	v_lshlrev_b32_e32 v32, 2, v11
	v_lshlrev_b32_e32 v33, 2, v12
	v_dual_mov_b32 v39, v5 :: v_dual_lshlrev_b32 v34, 2, v9
	v_lshrrev_b64 v[9:10], v14, -1
	s_addc_u32 s49, s25, 0
	v_mov_b32_e32 v10, s50
	v_cmp_eq_u32_e64 s2, 0x1ff, v0
	v_cmp_gt_u32_e64 s6, 0x100, v0
	v_cmp_gt_u32_e64 s7, 0x140, v0
	;; [unrolled: 1-line block ×4, first 2 shown]
	s_add_u32 s36, s36, -4
	v_dual_mov_b32 v38, 1 :: v_dual_lshlrev_b32 v37, 3, v0
	v_mov_b32_e32 v11, s51
	s_addc_u32 s37, s37, -1
	s_add_u32 s38, s38, -8
	s_mov_b32 s45, s29
	s_mov_b32 s46, s31
	s_addc_u32 s39, s39, -1
	s_branch .LBB216_11
.LBB216_10:                             ;   in Loop: Header=BB216_11 Depth=1
	s_or_b32 exec_lo, exec_lo, s11
	ds_load_b32 v39, v5 offset:18432
	s_waitcnt lgkmcnt(0)
	s_barrier
	buffer_gl0_inv
	v_cmp_le_i32_e32 vcc_lo, s44, v39
	v_add_nc_u32_e32 v40, 0x800, v39
	s_cbranch_vccnz .LBB216_66
.LBB216_11:                             ; =>This Loop Header: Depth=1
                                        ;     Child Loop BB216_12 Depth 2
                                        ;     Child Loop BB216_18 Depth 2
                                        ;       Child Loop BB216_24 Depth 3
                                        ;         Child Loop BB216_28 Depth 4
                                        ;     Child Loop BB216_43 Depth 2
                                        ;       Child Loop BB216_47 Depth 3
                                        ;     Child Loop BB216_57 Depth 2
                                        ;     Child Loop BB216_62 Depth 2
	v_dual_mov_b32 v12, v37 :: v_dual_mov_b32 v13, v36
	s_mov_b32 s10, 0
.LBB216_12:                             ;   Parent Loop BB216_11 Depth=1
                                        ; =>  This Inner Loop Header: Depth=2
	ds_store_b8 v13, v5 offset:16896
	v_add_nc_u32_e32 v13, 0x200, v13
	ds_store_b64 v12, v[5:6]
	v_add_nc_u32_e32 v12, 0x1000, v12
	v_cmp_lt_u32_e32 vcc_lo, 0x5ff, v13
	s_or_b32 s10, vcc_lo, s10
	s_delay_alu instid0(SALU_CYCLE_1)
	s_and_not1_b32 exec_lo, exec_lo, s10
	s_cbranch_execnz .LBB216_12
; %bb.13:                               ;   in Loop: Header=BB216_11 Depth=1
	s_or_b32 exec_lo, exec_lo, s10
	s_and_saveexec_b32 s10, s0
	s_cbranch_execz .LBB216_15
; %bb.14:                               ;   in Loop: Header=BB216_11 Depth=1
	v_mov_b32_e32 v12, s44
	ds_store_b32 v5, v12 offset:18432
.LBB216_15:                             ;   in Loop: Header=BB216_11 Depth=1
	s_or_b32 exec_lo, exec_lo, s10
	v_mov_b32_e32 v41, s44
	s_waitcnt vmcnt(0) lgkmcnt(0)
	s_barrier
	buffer_gl0_inv
	s_and_saveexec_b32 s13, s47
	s_cbranch_execz .LBB216_39
; %bb.16:                               ;   in Loop: Header=BB216_11 Depth=1
	v_mov_b32_e32 v13, v8
	v_cmp_ne_u32_e64 s10, 0, v39
	v_dual_mov_b32 v41, s44 :: v_dual_mov_b32 v12, v7
	s_mov_b32 s50, 0
	s_branch .LBB216_18
.LBB216_17:                             ;   in Loop: Header=BB216_18 Depth=2
	s_or_b32 exec_lo, exec_lo, s12
	v_add_co_u32 v12, vcc_lo, v12, 32
	v_add_co_ci_u32_e32 v13, vcc_lo, 0, v13, vcc_lo
	s_delay_alu instid0(VALU_DEP_1) | instskip(SKIP_1) | instid1(SALU_CYCLE_1)
	v_cmp_le_i64_e32 vcc_lo, s[34:35], v[12:13]
	s_or_b32 s50, vcc_lo, s50
	s_and_not1_b32 exec_lo, exec_lo, s50
	s_cbranch_execz .LBB216_38
.LBB216_18:                             ;   Parent Loop BB216_11 Depth=1
                                        ; =>  This Loop Header: Depth=2
                                        ;       Child Loop BB216_24 Depth 3
                                        ;         Child Loop BB216_28 Depth 4
	s_delay_alu instid0(VALU_DEP_1) | instskip(NEXT) | instid1(VALU_DEP_1)
	v_lshlrev_b64 v[14:15], 2, v[12:13]
	v_add_co_u32 v16, vcc_lo, s20, v14
	s_delay_alu instid0(VALU_DEP_2)
	v_add_co_ci_u32_e32 v17, vcc_lo, s21, v15, vcc_lo
	v_lshlrev_b64 v[14:15], 3, v[12:13]
	s_waitcnt lgkmcnt(0)
	global_load_b32 v18, v[16:17], off
	v_add_co_u32 v16, vcc_lo, s22, v14
	v_add_co_ci_u32_e32 v17, vcc_lo, s23, v15, vcc_lo
	s_and_b32 vcc_lo, exec_lo, s10
	global_load_b64 v[20:21], v[16:17], off
	s_waitcnt vmcnt(1)
	v_subrev_nc_u32_e32 v16, s28, v18
	s_delay_alu instid0(VALU_DEP_1)
	v_ashrrev_i32_e32 v17, 31, v16
	s_cbranch_vccz .LBB216_37
; %bb.19:                               ;   in Loop: Header=BB216_18 Depth=2
	v_add_co_u32 v18, vcc_lo, s40, v14
	v_add_co_ci_u32_e32 v19, vcc_lo, s41, v15, vcc_lo
	global_load_b64 v[22:23], v[18:19], off
	s_cbranch_execnz .LBB216_21
.LBB216_20:                             ;   in Loop: Header=BB216_18 Depth=2
	s_delay_alu instid0(VALU_DEP_1) | instskip(NEXT) | instid1(VALU_DEP_1)
	v_lshlrev_b64 v[18:19], 3, v[16:17]
	v_add_co_u32 v18, vcc_lo, s24, v18
	s_delay_alu instid0(VALU_DEP_2)
	v_add_co_ci_u32_e32 v19, vcc_lo, s25, v19, vcc_lo
	global_load_b64 v[18:19], v[18:19], off
	s_waitcnt vmcnt(0)
	v_sub_co_u32 v22, vcc_lo, v18, s45
	v_subrev_co_ci_u32_e32 v23, vcc_lo, 0, v19, vcc_lo
.LBB216_21:                             ;   in Loop: Header=BB216_18 Depth=2
	v_lshlrev_b64 v[16:17], 3, v[16:17]
	s_mov_b32 s51, exec_lo
	s_delay_alu instid0(VALU_DEP_1) | instskip(NEXT) | instid1(VALU_DEP_2)
	v_add_co_u32 v16, vcc_lo, s48, v16
	v_add_co_ci_u32_e32 v17, vcc_lo, s49, v17, vcc_lo
	global_load_b64 v[16:17], v[16:17], off
	s_waitcnt vmcnt(0)
	v_sub_co_u32 v18, vcc_lo, v16, s45
	v_subrev_co_ci_u32_e32 v19, vcc_lo, 0, v17, vcc_lo
	v_add_co_u32 v16, vcc_lo, v22, v28
	v_add_co_ci_u32_e32 v17, vcc_lo, 0, v23, vcc_lo
	s_delay_alu instid0(VALU_DEP_1)
	v_cmpx_lt_i64_e64 v[16:17], v[18:19]
	s_cbranch_execz .LBB216_35
; %bb.22:                               ;   in Loop: Header=BB216_18 Depth=2
	v_mul_f64 v[20:21], v[1:2], v[20:21]
	v_dual_mov_b32 v23, v17 :: v_dual_mov_b32 v22, v16
	s_mov_b32 s53, 0
                                        ; implicit-def: $sgpr52
                                        ; implicit-def: $sgpr54
	s_branch .LBB216_24
.LBB216_23:                             ;   in Loop: Header=BB216_24 Depth=3
	s_or_b32 exec_lo, exec_lo, s12
	s_delay_alu instid0(SALU_CYCLE_1) | instskip(SKIP_4) | instid1(SALU_CYCLE_1)
	s_and_b32 s11, exec_lo, s55
	v_dual_mov_b32 v22, v26 :: v_dual_mov_b32 v23, v27
	s_or_b32 s53, s11, s53
	s_and_not1_b32 s11, s52, exec_lo
	s_and_b32 s12, s54, exec_lo
	s_or_b32 s52, s11, s12
	s_and_not1_b32 exec_lo, exec_lo, s53
	s_cbranch_execz .LBB216_32
.LBB216_24:                             ;   Parent Loop BB216_11 Depth=1
                                        ;     Parent Loop BB216_18 Depth=2
                                        ; =>    This Loop Header: Depth=3
                                        ;         Child Loop BB216_28 Depth 4
	s_delay_alu instid0(VALU_DEP_1) | instskip(NEXT) | instid1(VALU_DEP_1)
	v_lshlrev_b64 v[24:25], 2, v[22:23]
	v_add_co_u32 v24, vcc_lo, s26, v24
	s_delay_alu instid0(VALU_DEP_2) | instskip(SKIP_3) | instid1(VALU_DEP_1)
	v_add_co_ci_u32_e32 v25, vcc_lo, s27, v25, vcc_lo
	global_load_b32 v24, v[24:25], off
	s_waitcnt vmcnt(0)
	v_subrev_nc_u32_e32 v42, s29, v24
	v_cmp_lt_i32_e64 s11, v42, v39
	v_cmp_ge_i32_e64 s12, v42, v40
	v_cmp_lt_i32_e32 vcc_lo, v42, v40
	s_delay_alu instid0(VALU_DEP_2) | instskip(SKIP_2) | instid1(SALU_CYCLE_1)
	s_or_b32 s55, s11, s12
	s_mov_b32 s11, 0
                                        ; implicit-def: $sgpr12
	s_and_saveexec_b32 s56, s55
	s_xor_b32 s55, exec_lo, s56
; %bb.25:                               ;   in Loop: Header=BB216_24 Depth=3
	s_mov_b32 s12, -1
	s_and_b32 s11, vcc_lo, exec_lo
; %bb.26:                               ;   in Loop: Header=BB216_24 Depth=3
	s_and_not1_saveexec_b32 s55, s55
	s_cbranch_execz .LBB216_30
; %bb.27:                               ;   in Loop: Header=BB216_24 Depth=3
	v_lshlrev_b64 v[24:25], 3, v[22:23]
	v_sub_nc_u32_e32 v26, v42, v39
	s_mov_b32 s56, 0
	s_delay_alu instid0(VALU_DEP_1) | instskip(NEXT) | instid1(VALU_DEP_3)
	v_lshlrev_b32_e32 v43, 3, v26
	v_add_co_u32 v24, vcc_lo, s42, v24
	s_delay_alu instid0(VALU_DEP_4)
	v_add_co_ci_u32_e32 v25, vcc_lo, s43, v25, vcc_lo
	ds_store_b8 v26, v38 offset:16384
	ds_load_b64 v[26:27], v43
	global_load_b64 v[24:25], v[24:25], off
	s_waitcnt vmcnt(0)
	v_mul_f64 v[24:25], v[20:21], v[24:25]
.LBB216_28:                             ;   Parent Loop BB216_11 Depth=1
                                        ;     Parent Loop BB216_18 Depth=2
                                        ;       Parent Loop BB216_24 Depth=3
                                        ; =>      This Inner Loop Header: Depth=4
	s_waitcnt lgkmcnt(0)
	s_delay_alu instid0(VALU_DEP_1)
	v_add_f64 v[44:45], v[26:27], v[24:25]
	ds_cmpstore_rtn_b64 v[44:45], v43, v[44:45], v[26:27]
	s_waitcnt lgkmcnt(0)
	v_cmp_eq_u64_e32 vcc_lo, v[44:45], v[26:27]
	v_dual_mov_b32 v26, v44 :: v_dual_mov_b32 v27, v45
	s_or_b32 s56, vcc_lo, s56
	s_delay_alu instid0(SALU_CYCLE_1)
	s_and_not1_b32 exec_lo, exec_lo, s56
	s_cbranch_execnz .LBB216_28
; %bb.29:                               ;   in Loop: Header=BB216_24 Depth=3
	s_or_b32 exec_lo, exec_lo, s56
	s_delay_alu instid0(SALU_CYCLE_1)
	s_or_b32 s11, s11, exec_lo
.LBB216_30:                             ;   in Loop: Header=BB216_24 Depth=3
	s_or_b32 exec_lo, exec_lo, s55
	v_dual_mov_b32 v25, v23 :: v_dual_mov_b32 v24, v22
	s_and_not1_b32 s54, s54, exec_lo
	s_and_b32 s12, s12, exec_lo
	s_mov_b32 s55, -1
	s_or_b32 s54, s54, s12
                                        ; implicit-def: $vgpr26_vgpr27
	s_and_saveexec_b32 s12, s11
	s_cbranch_execz .LBB216_23
; %bb.31:                               ;   in Loop: Header=BB216_24 Depth=3
	v_add_co_u32 v26, vcc_lo, v22, 16
	v_add_co_ci_u32_e32 v27, vcc_lo, 0, v23, vcc_lo
	v_dual_mov_b32 v25, v23 :: v_dual_mov_b32 v24, v22
	s_and_not1_b32 s54, s54, exec_lo
	s_delay_alu instid0(VALU_DEP_2)
	v_cmp_ge_i64_e32 vcc_lo, v[26:27], v[18:19]
	s_or_not1_b32 s55, vcc_lo, exec_lo
	s_branch .LBB216_23
.LBB216_32:                             ;   in Loop: Header=BB216_18 Depth=2
	s_or_b32 exec_lo, exec_lo, s53
	s_and_saveexec_b32 s11, s52
	s_delay_alu instid0(SALU_CYCLE_1)
	s_xor_b32 s11, exec_lo, s11
; %bb.33:                               ;   in Loop: Header=BB216_18 Depth=2
	v_min_i32_e32 v41, v42, v41
	v_dual_mov_b32 v16, v24 :: v_dual_mov_b32 v17, v25
; %bb.34:                               ;   in Loop: Header=BB216_18 Depth=2
	s_or_b32 exec_lo, exec_lo, s11
.LBB216_35:                             ;   in Loop: Header=BB216_18 Depth=2
	s_delay_alu instid0(SALU_CYCLE_1)
	s_or_b32 exec_lo, exec_lo, s51
	ds_bpermute_b32 v18, v31, v16
	ds_bpermute_b32 v19, v31, v17
	s_waitcnt lgkmcnt(0)
	v_cmp_lt_i64_e32 vcc_lo, v[18:19], v[16:17]
	v_dual_cndmask_b32 v17, v17, v19 :: v_dual_cndmask_b32 v16, v16, v18
	ds_bpermute_b32 v19, v32, v17
	ds_bpermute_b32 v18, v32, v16
	s_waitcnt lgkmcnt(0)
	v_cmp_lt_i64_e32 vcc_lo, v[18:19], v[16:17]
	v_dual_cndmask_b32 v17, v17, v19 :: v_dual_cndmask_b32 v16, v16, v18
	;; [unrolled: 5-line block ×3, first 2 shown]
	ds_bpermute_b32 v19, v34, v17
	ds_bpermute_b32 v18, v34, v16
	s_and_saveexec_b32 s12, s1
	s_cbranch_execz .LBB216_17
; %bb.36:                               ;   in Loop: Header=BB216_18 Depth=2
	s_waitcnt lgkmcnt(0)
	v_cmp_lt_i64_e32 vcc_lo, v[18:19], v[16:17]
	v_add_co_u32 v14, s11, s40, v14
	s_delay_alu instid0(VALU_DEP_1)
	v_add_co_ci_u32_e64 v15, s11, s41, v15, s11
	v_dual_cndmask_b32 v17, v17, v19 :: v_dual_cndmask_b32 v16, v16, v18
	global_store_b64 v[14:15], v[16:17], off
	s_branch .LBB216_17
.LBB216_37:                             ;   in Loop: Header=BB216_18 Depth=2
                                        ; implicit-def: $vgpr22_vgpr23
	s_branch .LBB216_20
.LBB216_38:                             ;   in Loop: Header=BB216_11 Depth=1
	s_or_b32 exec_lo, exec_lo, s50
.LBB216_39:                             ;   in Loop: Header=BB216_11 Depth=1
	s_delay_alu instid0(SALU_CYCLE_1) | instskip(NEXT) | instid1(SALU_CYCLE_1)
	s_or_b32 exec_lo, exec_lo, s13
	s_and_not1_b32 vcc_lo, exec_lo, s33
	s_cbranch_vccnz .LBB216_55
; %bb.40:                               ;   in Loop: Header=BB216_11 Depth=1
	s_load_b128 s[52:55], s[18:19], 0x0
	s_mov_b32 s50, exec_lo
	s_waitcnt lgkmcnt(0)
	v_add_co_u32 v12, vcc_lo, s52, v29
	v_add_co_ci_u32_e32 v13, vcc_lo, s53, v30, vcc_lo
	s_sub_u32 s12, s54, s46
	s_subb_u32 s13, s55, 0
	s_delay_alu instid0(VALU_DEP_1) | instid1(SALU_CYCLE_1)
	v_cmpx_gt_i64_e64 s[12:13], v[12:13]
	s_cbranch_execz .LBB216_54
; %bb.41:                               ;   in Loop: Header=BB216_11 Depth=1
	s_mov_b32 s51, 0
                                        ; implicit-def: $sgpr52
                                        ; implicit-def: $sgpr53
	s_branch .LBB216_43
.LBB216_42:                             ;   in Loop: Header=BB216_43 Depth=2
	s_or_b32 exec_lo, exec_lo, s54
	s_delay_alu instid0(SALU_CYCLE_1) | instskip(NEXT) | instid1(SALU_CYCLE_1)
	s_and_b32 s10, exec_lo, s11
	s_or_b32 s51, s10, s51
	s_and_not1_b32 s10, s52, exec_lo
	s_and_b32 s11, s53, exec_lo
	s_delay_alu instid0(SALU_CYCLE_1)
	s_or_b32 s52, s10, s11
	s_and_not1_b32 exec_lo, exec_lo, s51
	s_cbranch_execz .LBB216_51
.LBB216_43:                             ;   Parent Loop BB216_11 Depth=1
                                        ; =>  This Loop Header: Depth=2
                                        ;       Child Loop BB216_47 Depth 3
	v_lshlrev_b64 v[14:15], 2, v[12:13]
	s_delay_alu instid0(VALU_DEP_1) | instskip(NEXT) | instid1(VALU_DEP_2)
	v_add_co_u32 v14, vcc_lo, s14, v14
	v_add_co_ci_u32_e32 v15, vcc_lo, s15, v15, vcc_lo
	global_load_b32 v14, v[14:15], off
	s_waitcnt vmcnt(0)
	v_subrev_nc_u32_e32 v18, s31, v14
	s_delay_alu instid0(VALU_DEP_1) | instskip(SKIP_2) | instid1(VALU_DEP_2)
	v_cmp_lt_i32_e64 s10, v18, v39
	v_cmp_ge_i32_e64 s11, v18, v40
	v_cmp_lt_i32_e32 vcc_lo, v18, v40
	s_or_b32 s54, s10, s11
	s_mov_b32 s10, 0
                                        ; implicit-def: $sgpr11
	s_and_saveexec_b32 s55, s54
	s_delay_alu instid0(SALU_CYCLE_1)
	s_xor_b32 s54, exec_lo, s55
; %bb.44:                               ;   in Loop: Header=BB216_43 Depth=2
	s_mov_b32 s11, -1
	s_and_b32 s10, vcc_lo, exec_lo
; %bb.45:                               ;   in Loop: Header=BB216_43 Depth=2
	s_and_not1_saveexec_b32 s54, s54
	s_cbranch_execz .LBB216_49
; %bb.46:                               ;   in Loop: Header=BB216_43 Depth=2
	v_lshlrev_b64 v[14:15], 3, v[12:13]
	v_sub_nc_u32_e32 v16, v18, v39
	s_mov_b32 s55, 0
	s_delay_alu instid0(VALU_DEP_1) | instskip(NEXT) | instid1(VALU_DEP_3)
	v_lshlrev_b32_e32 v19, 3, v16
	v_add_co_u32 v14, vcc_lo, s16, v14
	s_delay_alu instid0(VALU_DEP_4)
	v_add_co_ci_u32_e32 v15, vcc_lo, s17, v15, vcc_lo
	ds_store_b8 v16, v38 offset:16384
	ds_load_b64 v[16:17], v19
	global_load_b64 v[14:15], v[14:15], off
	s_waitcnt vmcnt(0)
	v_mul_f64 v[14:15], v[3:4], v[14:15]
.LBB216_47:                             ;   Parent Loop BB216_11 Depth=1
                                        ;     Parent Loop BB216_43 Depth=2
                                        ; =>    This Inner Loop Header: Depth=3
	s_waitcnt lgkmcnt(0)
	s_delay_alu instid0(VALU_DEP_1)
	v_add_f64 v[20:21], v[16:17], v[14:15]
	ds_cmpstore_rtn_b64 v[20:21], v19, v[20:21], v[16:17]
	s_waitcnt lgkmcnt(0)
	v_cmp_eq_u64_e32 vcc_lo, v[20:21], v[16:17]
	v_dual_mov_b32 v16, v20 :: v_dual_mov_b32 v17, v21
	s_or_b32 s55, vcc_lo, s55
	s_delay_alu instid0(SALU_CYCLE_1)
	s_and_not1_b32 exec_lo, exec_lo, s55
	s_cbranch_execnz .LBB216_47
; %bb.48:                               ;   in Loop: Header=BB216_43 Depth=2
	s_or_b32 exec_lo, exec_lo, s55
	s_delay_alu instid0(SALU_CYCLE_1)
	s_or_b32 s10, s10, exec_lo
.LBB216_49:                             ;   in Loop: Header=BB216_43 Depth=2
	s_or_b32 exec_lo, exec_lo, s54
	s_delay_alu instid0(SALU_CYCLE_1)
	s_and_not1_b32 s53, s53, exec_lo
	s_and_b32 s54, s11, exec_lo
	s_mov_b32 s11, -1
	s_or_b32 s53, s53, s54
	s_and_saveexec_b32 s54, s10
	s_cbranch_execz .LBB216_42
; %bb.50:                               ;   in Loop: Header=BB216_43 Depth=2
	v_add_co_u32 v12, vcc_lo, 0x200, v12
	v_add_co_ci_u32_e32 v13, vcc_lo, 0, v13, vcc_lo
	s_and_not1_b32 s53, s53, exec_lo
	s_delay_alu instid0(VALU_DEP_1)
	v_cmp_le_i64_e32 vcc_lo, s[12:13], v[12:13]
	s_or_not1_b32 s11, vcc_lo, exec_lo
	s_branch .LBB216_42
.LBB216_51:                             ;   in Loop: Header=BB216_11 Depth=1
	s_or_b32 exec_lo, exec_lo, s51
	s_and_saveexec_b32 s10, s52
	s_delay_alu instid0(SALU_CYCLE_1)
	s_xor_b32 s10, exec_lo, s10
; %bb.52:                               ;   in Loop: Header=BB216_11 Depth=1
	v_min_i32_e32 v41, v18, v41
; %bb.53:                               ;   in Loop: Header=BB216_11 Depth=1
	s_or_b32 exec_lo, exec_lo, s10
.LBB216_54:                             ;   in Loop: Header=BB216_11 Depth=1
	s_delay_alu instid0(SALU_CYCLE_1)
	s_or_b32 exec_lo, exec_lo, s50
.LBB216_55:                             ;   in Loop: Header=BB216_11 Depth=1
	ds_bpermute_b32 v12, v31, v41
	s_waitcnt lgkmcnt(0)
	v_min_i32_e32 v12, v12, v41
	ds_bpermute_b32 v13, v32, v12
	s_waitcnt lgkmcnt(0)
	v_min_i32_e32 v12, v13, v12
	;; [unrolled: 3-line block ×3, first 2 shown]
	ds_bpermute_b32 v13, v34, v12
	s_and_saveexec_b32 s10, s1
	s_cbranch_execz .LBB216_60
; %bb.56:                               ;   in Loop: Header=BB216_11 Depth=1
	s_waitcnt lgkmcnt(0)
	v_min_i32_e32 v12, v13, v12
	s_mov_b32 s12, exec_lo
	s_brev_b32 s11, -2
.LBB216_57:                             ;   Parent Loop BB216_11 Depth=1
                                        ; =>  This Inner Loop Header: Depth=2
	s_ctz_i32_b32 s13, s12
	s_delay_alu instid0(VALU_DEP_1) | instid1(SALU_CYCLE_1)
	v_readlane_b32 s50, v12, s13
	s_lshl_b32 s13, 1, s13
	s_delay_alu instid0(SALU_CYCLE_1) | instskip(NEXT) | instid1(VALU_DEP_1)
	s_and_not1_b32 s12, s12, s13
	s_min_i32 s11, s11, s50
	s_cmp_lg_u32 s12, 0
	s_cbranch_scc1 .LBB216_57
; %bb.58:                               ;   in Loop: Header=BB216_11 Depth=1
	v_mbcnt_lo_u32_b32 v12, exec_lo, 0
	s_mov_b32 s12, exec_lo
	s_delay_alu instid0(VALU_DEP_1)
	v_cmpx_eq_u32_e32 0, v12
	s_xor_b32 s12, exec_lo, s12
	s_cbranch_execz .LBB216_60
; %bb.59:                               ;   in Loop: Header=BB216_11 Depth=1
	v_mov_b32_e32 v12, s11
	ds_min_i32 v5, v12 offset:18432
.LBB216_60:                             ;   in Loop: Header=BB216_11 Depth=1
	s_or_b32 exec_lo, exec_lo, s10
	v_dual_mov_b32 v15, v37 :: v_dual_add_nc_u32 v14, s30, v39
	v_mov_b32_e32 v16, v0
	s_mov_b32 s11, 0
	s_waitcnt lgkmcnt(0)
	s_waitcnt_vscnt null, 0x0
	s_barrier
	buffer_gl0_inv
	s_branch .LBB216_62
.LBB216_61:                             ;   in Loop: Header=BB216_62 Depth=2
	s_or_b32 exec_lo, exec_lo, s10
	s_waitcnt lgkmcnt(0)
	s_waitcnt_vscnt null, 0x0
	s_barrier
	buffer_gl0_inv
	ds_load_b32 v12, v5 offset:28
	v_add_nc_u32_e32 v13, 0x200, v16
	v_cmp_lt_u32_e32 vcc_lo, 0x5ff, v16
	s_delay_alu instid0(VALU_DEP_2) | instskip(SKIP_4) | instid1(VALU_DEP_1)
	v_dual_mov_b32 v16, v13 :: v_dual_add_nc_u32 v15, 0x1000, v15
	s_or_b32 s11, vcc_lo, s11
	s_waitcnt lgkmcnt(0)
	v_ashrrev_i32_e32 v17, 31, v12
	v_add_co_u32 v10, s10, v10, v12
	v_add_co_ci_u32_e64 v11, s10, v11, v17, s10
	s_and_not1_b32 exec_lo, exec_lo, s11
	s_cbranch_execz .LBB216_10
.LBB216_62:                             ;   Parent Loop BB216_11 Depth=1
                                        ; =>  This Inner Loop Header: Depth=2
	ds_load_u8 v24, v16 offset:16384
	ds_load_b64 v[12:13], v15
	s_waitcnt lgkmcnt(0)
	s_barrier
	buffer_gl0_inv
	v_cmp_ne_u16_e32 vcc_lo, 0, v24
	s_bcnt1_i32_b32 s10, vcc_lo
	v_and_b32_e32 v25, vcc_lo, v9
	v_mov_b32_e32 v17, s10
	s_mov_b32 s10, exec_lo
	ds_store_b32 v35, v17
	s_waitcnt lgkmcnt(0)
	s_barrier
	buffer_gl0_inv
	ds_load_b128 v[17:20], v5
	ds_load_b96 v[21:23], v5 offset:16
	s_waitcnt lgkmcnt(1)
	v_cndmask_b32_e64 v17, v17, 0, s3
	v_cndmask_b32_e64 v18, v18, 0, s4
	;; [unrolled: 1-line block ×4, first 2 shown]
	s_waitcnt lgkmcnt(0)
	v_cndmask_b32_e64 v21, v21, 0, s7
	v_bcnt_u32_b32 v17, v25, v17
	s_delay_alu instid0(VALU_DEP_1) | instskip(SKIP_2) | instid1(VALU_DEP_3)
	v_add3_u32 v17, v17, v18, v19
	v_cndmask_b32_e64 v18, v22, 0, s8
	v_cndmask_b32_e64 v19, v23, 0, s9
	v_add3_u32 v17, v17, v20, v21
	v_and_b32_e32 v20, 1, v24
	s_delay_alu instid0(VALU_DEP_2) | instskip(NEXT) | instid1(VALU_DEP_2)
	v_add3_u32 v17, v17, v18, v19
	v_cmpx_eq_u32_e32 1, v20
	s_cbranch_execz .LBB216_64
; %bb.63:                               ;   in Loop: Header=BB216_62 Depth=2
	s_delay_alu instid0(VALU_DEP_2) | instskip(SKIP_2) | instid1(VALU_DEP_3)
	v_ashrrev_i32_e32 v19, 31, v17
	v_add_co_u32 v18, vcc_lo, v10, v17
	v_add_nc_u32_e32 v22, v14, v16
	v_add_co_ci_u32_e32 v19, vcc_lo, v11, v19, vcc_lo
	s_delay_alu instid0(VALU_DEP_1) | instskip(SKIP_1) | instid1(VALU_DEP_2)
	v_lshlrev_b64 v[20:21], 2, v[18:19]
	v_lshlrev_b64 v[18:19], 3, v[18:19]
	v_add_co_u32 v20, vcc_lo, s36, v20
	s_delay_alu instid0(VALU_DEP_3) | instskip(NEXT) | instid1(VALU_DEP_3)
	v_add_co_ci_u32_e32 v21, vcc_lo, s37, v21, vcc_lo
	v_add_co_u32 v18, vcc_lo, s38, v18
	s_delay_alu instid0(VALU_DEP_4)
	v_add_co_ci_u32_e32 v19, vcc_lo, s39, v19, vcc_lo
	global_store_b32 v[20:21], v22, off
	global_store_b64 v[18:19], v[12:13], off
.LBB216_64:                             ;   in Loop: Header=BB216_62 Depth=2
	s_or_b32 exec_lo, exec_lo, s10
	s_and_saveexec_b32 s10, s2
	s_cbranch_execz .LBB216_61
; %bb.65:                               ;   in Loop: Header=BB216_62 Depth=2
	ds_store_b32 v5, v17 offset:28
	s_branch .LBB216_61
.LBB216_66:
	s_endpgm
	.section	.rodata,"a",@progbits
	.p2align	6, 0x0
	.amdhsa_kernel _ZN9rocsparseL36csrgemm_fill_block_per_row_multipassILj512ELj16ELj2048ELj64ElidEEvT4_PKS1_S3_NS_24const_host_device_scalarIT5_EEPKT3_S3_PKS5_S9_S3_SB_S6_S9_S3_SB_S9_PS1_PS5_PS7_21rocsparse_index_base_SF_SF_SF_bbb
		.amdhsa_group_segment_fixed_size 18440
		.amdhsa_private_segment_fixed_size 0
		.amdhsa_kernarg_size 164
		.amdhsa_user_sgpr_count 15
		.amdhsa_user_sgpr_dispatch_ptr 0
		.amdhsa_user_sgpr_queue_ptr 0
		.amdhsa_user_sgpr_kernarg_segment_ptr 1
		.amdhsa_user_sgpr_dispatch_id 0
		.amdhsa_user_sgpr_private_segment_size 0
		.amdhsa_wavefront_size32 1
		.amdhsa_uses_dynamic_stack 0
		.amdhsa_enable_private_segment 0
		.amdhsa_system_sgpr_workgroup_id_x 1
		.amdhsa_system_sgpr_workgroup_id_y 0
		.amdhsa_system_sgpr_workgroup_id_z 0
		.amdhsa_system_sgpr_workgroup_info 0
		.amdhsa_system_vgpr_workitem_id 0
		.amdhsa_next_free_vgpr 46
		.amdhsa_next_free_sgpr 57
		.amdhsa_reserve_vcc 1
		.amdhsa_float_round_mode_32 0
		.amdhsa_float_round_mode_16_64 0
		.amdhsa_float_denorm_mode_32 3
		.amdhsa_float_denorm_mode_16_64 3
		.amdhsa_dx10_clamp 1
		.amdhsa_ieee_mode 1
		.amdhsa_fp16_overflow 0
		.amdhsa_workgroup_processor_mode 1
		.amdhsa_memory_ordered 1
		.amdhsa_forward_progress 0
		.amdhsa_shared_vgpr_count 0
		.amdhsa_exception_fp_ieee_invalid_op 0
		.amdhsa_exception_fp_denorm_src 0
		.amdhsa_exception_fp_ieee_div_zero 0
		.amdhsa_exception_fp_ieee_overflow 0
		.amdhsa_exception_fp_ieee_underflow 0
		.amdhsa_exception_fp_ieee_inexact 0
		.amdhsa_exception_int_div_zero 0
	.end_amdhsa_kernel
	.section	.text._ZN9rocsparseL36csrgemm_fill_block_per_row_multipassILj512ELj16ELj2048ELj64ElidEEvT4_PKS1_S3_NS_24const_host_device_scalarIT5_EEPKT3_S3_PKS5_S9_S3_SB_S6_S9_S3_SB_S9_PS1_PS5_PS7_21rocsparse_index_base_SF_SF_SF_bbb,"axG",@progbits,_ZN9rocsparseL36csrgemm_fill_block_per_row_multipassILj512ELj16ELj2048ELj64ElidEEvT4_PKS1_S3_NS_24const_host_device_scalarIT5_EEPKT3_S3_PKS5_S9_S3_SB_S6_S9_S3_SB_S9_PS1_PS5_PS7_21rocsparse_index_base_SF_SF_SF_bbb,comdat
.Lfunc_end216:
	.size	_ZN9rocsparseL36csrgemm_fill_block_per_row_multipassILj512ELj16ELj2048ELj64ElidEEvT4_PKS1_S3_NS_24const_host_device_scalarIT5_EEPKT3_S3_PKS5_S9_S3_SB_S6_S9_S3_SB_S9_PS1_PS5_PS7_21rocsparse_index_base_SF_SF_SF_bbb, .Lfunc_end216-_ZN9rocsparseL36csrgemm_fill_block_per_row_multipassILj512ELj16ELj2048ELj64ElidEEvT4_PKS1_S3_NS_24const_host_device_scalarIT5_EEPKT3_S3_PKS5_S9_S3_SB_S6_S9_S3_SB_S9_PS1_PS5_PS7_21rocsparse_index_base_SF_SF_SF_bbb
                                        ; -- End function
	.section	.AMDGPU.csdata,"",@progbits
; Kernel info:
; codeLenInByte = 3048
; NumSgprs: 59
; NumVgprs: 46
; ScratchSize: 0
; MemoryBound: 0
; FloatMode: 240
; IeeeMode: 1
; LDSByteSize: 18440 bytes/workgroup (compile time only)
; SGPRBlocks: 7
; VGPRBlocks: 5
; NumSGPRsForWavesPerEU: 59
; NumVGPRsForWavesPerEU: 46
; Occupancy: 16
; WaveLimiterHint : 1
; COMPUTE_PGM_RSRC2:SCRATCH_EN: 0
; COMPUTE_PGM_RSRC2:USER_SGPR: 15
; COMPUTE_PGM_RSRC2:TRAP_HANDLER: 0
; COMPUTE_PGM_RSRC2:TGID_X_EN: 1
; COMPUTE_PGM_RSRC2:TGID_Y_EN: 0
; COMPUTE_PGM_RSRC2:TGID_Z_EN: 0
; COMPUTE_PGM_RSRC2:TIDIG_COMP_CNT: 0
	.section	.text._ZN9rocsparseL26csrgemm_group_reduce_part2ILj256ELj11E21rocsparse_complex_numIfEliEEvT3_PKT2_PS3_Pij,"axG",@progbits,_ZN9rocsparseL26csrgemm_group_reduce_part2ILj256ELj11E21rocsparse_complex_numIfEliEEvT3_PKT2_PS3_Pij,comdat
	.globl	_ZN9rocsparseL26csrgemm_group_reduce_part2ILj256ELj11E21rocsparse_complex_numIfEliEEvT3_PKT2_PS3_Pij ; -- Begin function _ZN9rocsparseL26csrgemm_group_reduce_part2ILj256ELj11E21rocsparse_complex_numIfEliEEvT3_PKT2_PS3_Pij
	.p2align	8
	.type	_ZN9rocsparseL26csrgemm_group_reduce_part2ILj256ELj11E21rocsparse_complex_numIfEliEEvT3_PKT2_PS3_Pij,@function
_ZN9rocsparseL26csrgemm_group_reduce_part2ILj256ELj11E21rocsparse_complex_numIfEliEEvT3_PKT2_PS3_Pij: ; @_ZN9rocsparseL26csrgemm_group_reduce_part2ILj256ELj11E21rocsparse_complex_numIfEliEEvT3_PKT2_PS3_Pij
; %bb.0:
	s_clause 0x1
	s_load_b32 s8, s[0:1], 0x0
	s_load_b64 s[2:3], s[0:1], 0x10
	v_mul_u32_u24_e32 v2, 11, v0
	v_mov_b32_e32 v6, 0
	v_lshl_or_b32 v1, s15, 8, v0
	s_mov_b32 s9, 0
	s_mov_b32 s10, exec_lo
	v_lshlrev_b32_e32 v5, 2, v2
	ds_store_2addr_b32 v5, v6, v6 offset1:1
	ds_store_2addr_b32 v5, v6, v6 offset0:2 offset1:3
	ds_store_2addr_b32 v5, v6, v6 offset0:4 offset1:5
	;; [unrolled: 1-line block ×4, first 2 shown]
	ds_store_b32 v5, v6 offset:40
	s_waitcnt lgkmcnt(0)
	buffer_gl0_inv
	v_cmpx_gt_i32_e64 s8, v1
	s_cbranch_execz .LBB217_43
; %bb.1:
	s_clause 0x3
	s_load_b32 s11, s[0:1], 0x20
	s_load_b32 s12, s[0:1], 0x28
	s_load_b64 s[4:5], s[0:1], 0x8
	s_load_b64 s[6:7], s[0:1], 0x18
	v_dual_mov_b32 v7, 6 :: v_dual_mov_b32 v8, 7
	v_dual_mov_b32 v9, 8 :: v_dual_mov_b32 v10, 9
	;; [unrolled: 1-line block ×5, first 2 shown]
	s_waitcnt lgkmcnt(0)
	s_cmpk_lt_u32 s11, 0xc084
	s_cselect_b32 s0, -1, 0
	s_cmp_lt_u32 s11, 0x18084
	s_cselect_b32 s13, -1, 0
	s_cmp_lt_u32 s11, 0x30084
	;; [unrolled: 2-line block ×3, first 2 shown]
	s_cselect_b32 s16, -1, 0
	s_lshl_b32 s1, s12, 8
	s_xor_b32 s11, s0, -1
	s_xor_b32 s12, s13, -1
	;; [unrolled: 1-line block ×4, first 2 shown]
	s_branch .LBB217_3
.LBB217_2:                              ;   in Loop: Header=BB217_3 Depth=1
	s_or_b32 exec_lo, exec_lo, s0
	v_add_nc_u32_e32 v1, s1, v1
	s_delay_alu instid0(VALU_DEP_1) | instskip(SKIP_1) | instid1(SALU_CYCLE_1)
	v_cmp_le_i32_e32 vcc_lo, s8, v1
	s_or_b32 s9, vcc_lo, s9
	s_and_not1_b32 exec_lo, exec_lo, s9
	s_cbranch_execz .LBB217_43
.LBB217_3:                              ; =>This Inner Loop Header: Depth=1
	v_ashrrev_i32_e32 v2, 31, v1
	s_mov_b32 s0, exec_lo
	s_delay_alu instid0(VALU_DEP_1) | instskip(NEXT) | instid1(VALU_DEP_1)
	v_lshlrev_b64 v[3:4], 3, v[1:2]
	v_add_co_u32 v3, vcc_lo, s4, v3
	s_delay_alu instid0(VALU_DEP_2) | instskip(SKIP_4) | instid1(VALU_DEP_1)
	v_add_co_ci_u32_e32 v4, vcc_lo, s5, v4, vcc_lo
	global_load_b128 v[17:20], v[3:4], off
	s_waitcnt vmcnt(0)
	v_sub_co_u32 v3, vcc_lo, v19, v17
	v_sub_co_ci_u32_e32 v4, vcc_lo, v20, v18, vcc_lo
	v_cmpx_lt_i64_e32 16, v[3:4]
	s_xor_b32 s16, exec_lo, s0
	s_cbranch_execz .LBB217_41
; %bb.4:                                ;   in Loop: Header=BB217_3 Depth=1
	s_mov_b32 s0, exec_lo
	v_cmpx_lt_u64_e32 32, v[3:4]
	s_xor_b32 s17, exec_lo, s0
	s_cbranch_execz .LBB217_38
; %bb.5:                                ;   in Loop: Header=BB217_3 Depth=1
	s_mov_b32 s0, exec_lo
	v_cmpx_lt_u64_e32 0x100, v[3:4]
	;; [unrolled: 5-line block ×5, first 2 shown]
	s_xor_b32 s21, exec_lo, s0
	s_cbranch_execz .LBB217_26
; %bb.9:                                ;   in Loop: Header=BB217_3 Depth=1
	v_cmp_gt_u64_e32 vcc_lo, 0x1001, v[3:4]
	s_and_b32 s0, s11, vcc_lo
	s_delay_alu instid0(SALU_CYCLE_1) | instskip(NEXT) | instid1(SALU_CYCLE_1)
	s_and_saveexec_b32 s22, s0
	s_xor_b32 s0, exec_lo, s22
	s_cbranch_execz .LBB217_11
; %bb.10:                               ;   in Loop: Header=BB217_3 Depth=1
	ds_load_b32 v17, v5 offset:24
	v_lshlrev_b64 v[3:4], 2, v[1:2]
	s_delay_alu instid0(VALU_DEP_1) | instskip(NEXT) | instid1(VALU_DEP_2)
	v_add_co_u32 v3, vcc_lo, s6, v3
	v_add_co_ci_u32_e32 v4, vcc_lo, s7, v4, vcc_lo
	global_store_b32 v[3:4], v7, off
                                        ; implicit-def: $vgpr3_vgpr4
	s_waitcnt lgkmcnt(0)
	v_add_nc_u32_e32 v17, 1, v17
	ds_store_b32 v5, v17 offset:24
.LBB217_11:                             ;   in Loop: Header=BB217_3 Depth=1
	s_and_not1_saveexec_b32 s22, s0
	s_cbranch_execz .LBB217_25
; %bb.12:                               ;   in Loop: Header=BB217_3 Depth=1
	v_cmp_gt_u64_e32 vcc_lo, 0x2001, v[3:4]
	s_and_b32 s0, s12, vcc_lo
	s_delay_alu instid0(SALU_CYCLE_1) | instskip(NEXT) | instid1(SALU_CYCLE_1)
	s_and_saveexec_b32 s23, s0
	s_xor_b32 s0, exec_lo, s23
	s_cbranch_execz .LBB217_14
; %bb.13:                               ;   in Loop: Header=BB217_3 Depth=1
	ds_load_b32 v17, v5 offset:28
	v_lshlrev_b64 v[3:4], 2, v[1:2]
	s_delay_alu instid0(VALU_DEP_1) | instskip(NEXT) | instid1(VALU_DEP_2)
	v_add_co_u32 v3, vcc_lo, s6, v3
	v_add_co_ci_u32_e32 v4, vcc_lo, s7, v4, vcc_lo
	global_store_b32 v[3:4], v8, off
                                        ; implicit-def: $vgpr3_vgpr4
	s_waitcnt lgkmcnt(0)
	v_add_nc_u32_e32 v17, 1, v17
	ds_store_b32 v5, v17 offset:28
.LBB217_14:                             ;   in Loop: Header=BB217_3 Depth=1
	s_and_not1_saveexec_b32 s23, s0
	s_cbranch_execz .LBB217_24
; %bb.15:                               ;   in Loop: Header=BB217_3 Depth=1
	;; [unrolled: 21-line block ×3, first 2 shown]
	v_lshlrev_b64 v[17:18], 2, v[1:2]
	v_cmp_gt_u64_e32 vcc_lo, 0x8001, v[3:4]
	s_delay_alu instid0(VALU_DEP_2) | instskip(NEXT) | instid1(VALU_DEP_1)
	v_add_co_u32 v3, s0, s6, v17
	v_add_co_ci_u32_e64 v4, s0, s7, v18, s0
	s_and_b32 s0, s14, vcc_lo
	s_delay_alu instid0(SALU_CYCLE_1) | instskip(NEXT) | instid1(SALU_CYCLE_1)
	s_and_saveexec_b32 s25, s0
	s_xor_b32 s0, exec_lo, s25
	s_cbranch_execz .LBB217_20
; %bb.19:                               ;   in Loop: Header=BB217_3 Depth=1
	ds_load_b32 v17, v5 offset:36
	global_store_b32 v[3:4], v10, off
                                        ; implicit-def: $vgpr3_vgpr4
	s_waitcnt lgkmcnt(0)
	v_add_nc_u32_e32 v17, 1, v17
	ds_store_b32 v5, v17 offset:36
.LBB217_20:                             ;   in Loop: Header=BB217_3 Depth=1
	s_and_not1_saveexec_b32 s0, s0
	s_cbranch_execz .LBB217_22
; %bb.21:                               ;   in Loop: Header=BB217_3 Depth=1
	ds_load_b32 v17, v5 offset:40
	global_store_b32 v[3:4], v11, off
	s_waitcnt lgkmcnt(0)
	v_add_nc_u32_e32 v17, 1, v17
	ds_store_b32 v5, v17 offset:40
.LBB217_22:                             ;   in Loop: Header=BB217_3 Depth=1
	s_or_b32 exec_lo, exec_lo, s0
.LBB217_23:                             ;   in Loop: Header=BB217_3 Depth=1
	s_delay_alu instid0(SALU_CYCLE_1)
	s_or_b32 exec_lo, exec_lo, s24
.LBB217_24:                             ;   in Loop: Header=BB217_3 Depth=1
	s_delay_alu instid0(SALU_CYCLE_1)
	s_or_b32 exec_lo, exec_lo, s23
.LBB217_25:                             ;   in Loop: Header=BB217_3 Depth=1
	s_delay_alu instid0(SALU_CYCLE_1)
	s_or_b32 exec_lo, exec_lo, s22
.LBB217_26:                             ;   in Loop: Header=BB217_3 Depth=1
	s_and_not1_saveexec_b32 s0, s21
	s_cbranch_execz .LBB217_28
; %bb.27:                               ;   in Loop: Header=BB217_3 Depth=1
	ds_load_b32 v17, v5 offset:20
	v_lshlrev_b64 v[3:4], 2, v[1:2]
	s_delay_alu instid0(VALU_DEP_1) | instskip(NEXT) | instid1(VALU_DEP_2)
	v_add_co_u32 v3, vcc_lo, s6, v3
	v_add_co_ci_u32_e32 v4, vcc_lo, s7, v4, vcc_lo
	global_store_b32 v[3:4], v12, off
	s_waitcnt lgkmcnt(0)
	v_add_nc_u32_e32 v17, 1, v17
	ds_store_b32 v5, v17 offset:20
.LBB217_28:                             ;   in Loop: Header=BB217_3 Depth=1
	s_or_b32 exec_lo, exec_lo, s0
.LBB217_29:                             ;   in Loop: Header=BB217_3 Depth=1
	s_and_not1_saveexec_b32 s0, s20
	s_cbranch_execz .LBB217_31
; %bb.30:                               ;   in Loop: Header=BB217_3 Depth=1
	ds_load_b32 v17, v5 offset:16
	v_lshlrev_b64 v[3:4], 2, v[1:2]
	s_delay_alu instid0(VALU_DEP_1) | instskip(NEXT) | instid1(VALU_DEP_2)
	v_add_co_u32 v3, vcc_lo, s6, v3
	v_add_co_ci_u32_e32 v4, vcc_lo, s7, v4, vcc_lo
	global_store_b32 v[3:4], v13, off
	s_waitcnt lgkmcnt(0)
	v_add_nc_u32_e32 v17, 1, v17
	ds_store_b32 v5, v17 offset:16
.LBB217_31:                             ;   in Loop: Header=BB217_3 Depth=1
	s_or_b32 exec_lo, exec_lo, s0
.LBB217_32:                             ;   in Loop: Header=BB217_3 Depth=1
	s_and_not1_saveexec_b32 s0, s19
	s_cbranch_execz .LBB217_34
; %bb.33:                               ;   in Loop: Header=BB217_3 Depth=1
	ds_load_b32 v17, v5 offset:12
	v_lshlrev_b64 v[3:4], 2, v[1:2]
	s_delay_alu instid0(VALU_DEP_1) | instskip(NEXT) | instid1(VALU_DEP_2)
	v_add_co_u32 v3, vcc_lo, s6, v3
	v_add_co_ci_u32_e32 v4, vcc_lo, s7, v4, vcc_lo
	global_store_b32 v[3:4], v14, off
	s_waitcnt lgkmcnt(0)
	v_add_nc_u32_e32 v17, 1, v17
	ds_store_b32 v5, v17 offset:12
.LBB217_34:                             ;   in Loop: Header=BB217_3 Depth=1
	s_or_b32 exec_lo, exec_lo, s0
.LBB217_35:                             ;   in Loop: Header=BB217_3 Depth=1
	s_and_not1_saveexec_b32 s0, s18
	s_cbranch_execz .LBB217_37
; %bb.36:                               ;   in Loop: Header=BB217_3 Depth=1
	ds_load_b32 v17, v5 offset:8
	v_lshlrev_b64 v[3:4], 2, v[1:2]
	s_delay_alu instid0(VALU_DEP_1) | instskip(NEXT) | instid1(VALU_DEP_2)
	v_add_co_u32 v3, vcc_lo, s6, v3
	v_add_co_ci_u32_e32 v4, vcc_lo, s7, v4, vcc_lo
	global_store_b32 v[3:4], v15, off
	s_waitcnt lgkmcnt(0)
	v_add_nc_u32_e32 v17, 1, v17
	ds_store_b32 v5, v17 offset:8
.LBB217_37:                             ;   in Loop: Header=BB217_3 Depth=1
	s_or_b32 exec_lo, exec_lo, s0
.LBB217_38:                             ;   in Loop: Header=BB217_3 Depth=1
	s_and_not1_saveexec_b32 s0, s17
	s_cbranch_execz .LBB217_40
; %bb.39:                               ;   in Loop: Header=BB217_3 Depth=1
	ds_load_b32 v17, v5 offset:4
	v_lshlrev_b64 v[3:4], 2, v[1:2]
	s_delay_alu instid0(VALU_DEP_1) | instskip(NEXT) | instid1(VALU_DEP_2)
	v_add_co_u32 v3, vcc_lo, s6, v3
	v_add_co_ci_u32_e32 v4, vcc_lo, s7, v4, vcc_lo
	global_store_b32 v[3:4], v16, off
	s_waitcnt lgkmcnt(0)
	v_add_nc_u32_e32 v17, 1, v17
	ds_store_b32 v5, v17 offset:4
.LBB217_40:                             ;   in Loop: Header=BB217_3 Depth=1
	s_or_b32 exec_lo, exec_lo, s0
.LBB217_41:                             ;   in Loop: Header=BB217_3 Depth=1
	s_and_not1_saveexec_b32 s0, s16
	s_cbranch_execz .LBB217_2
; %bb.42:                               ;   in Loop: Header=BB217_3 Depth=1
	ds_load_b32 v4, v5
	v_lshlrev_b64 v[2:3], 2, v[1:2]
	s_delay_alu instid0(VALU_DEP_1) | instskip(NEXT) | instid1(VALU_DEP_2)
	v_add_co_u32 v2, vcc_lo, s6, v2
	v_add_co_ci_u32_e32 v3, vcc_lo, s7, v3, vcc_lo
	global_store_b32 v[2:3], v6, off
	s_waitcnt lgkmcnt(0)
	v_add_nc_u32_e32 v4, 1, v4
	ds_store_b32 v5, v4
	s_branch .LBB217_2
.LBB217_43:
	s_or_b32 exec_lo, exec_lo, s10
	s_delay_alu instid0(SALU_CYCLE_1)
	s_mov_b32 s0, exec_lo
	s_waitcnt lgkmcnt(0)
	s_waitcnt_vscnt null, 0x0
	s_barrier
	buffer_gl0_inv
	s_barrier
	buffer_gl0_inv
	;; [unrolled: 2-line block ×3, first 2 shown]
	v_cmpx_gt_u32_e32 0x80, v0
	s_cbranch_execz .LBB217_45
; %bb.44:
	v_add_nc_u32_e32 v1, 0x1600, v5
	v_add_nc_u32_e32 v3, 0x1608, v5
	;; [unrolled: 1-line block ×5, first 2 shown]
	ds_load_2addr_b32 v[1:2], v1 offset1:1
	ds_load_2addr_b32 v[3:4], v3 offset1:1
	;; [unrolled: 1-line block ×4, first 2 shown]
	ds_load_2addr_b32 v[10:11], v5 offset0:2 offset1:3
	ds_load_2addr_b32 v[12:13], v5 offset0:4 offset1:5
	;; [unrolled: 1-line block ×3, first 2 shown]
	v_add_nc_u32_e32 v22, 40, v5
	ds_load_2addr_b32 v[16:17], v16 offset1:1
	ds_load_2addr_b32 v[18:19], v18 offset1:1
	ds_load_2addr_b32 v[20:21], v5 offset0:8 offset1:9
	ds_load_2addr_stride64_b32 v[22:23], v22 offset1:22
	s_waitcnt lgkmcnt(6)
	v_add_nc_u32_e32 v3, v10, v3
	v_add_nc_u32_e32 v1, v8, v1
	;; [unrolled: 1-line block ×4, first 2 shown]
	s_waitcnt lgkmcnt(5)
	v_add_nc_u32_e32 v6, v12, v6
	v_add_nc_u32_e32 v7, v13, v7
	s_waitcnt lgkmcnt(3)
	v_add_nc_u32_e32 v8, v14, v16
	v_add_nc_u32_e32 v9, v15, v17
	;; [unrolled: 3-line block ×3, first 2 shown]
	s_waitcnt lgkmcnt(0)
	v_add_nc_u32_e32 v12, v22, v23
	ds_store_2addr_b32 v5, v1, v2 offset1:1
	ds_store_2addr_b32 v5, v3, v4 offset0:2 offset1:3
	ds_store_2addr_b32 v5, v6, v7 offset0:4 offset1:5
	;; [unrolled: 1-line block ×4, first 2 shown]
	ds_store_b32 v5, v12 offset:40
.LBB217_45:
	s_or_b32 exec_lo, exec_lo, s0
	s_delay_alu instid0(SALU_CYCLE_1)
	s_mov_b32 s0, exec_lo
	s_waitcnt lgkmcnt(0)
	s_barrier
	buffer_gl0_inv
	v_cmpx_gt_u32_e32 64, v0
	s_cbranch_execz .LBB217_47
; %bb.46:
	v_add_nc_u32_e32 v1, 0xb00, v5
	v_add_nc_u32_e32 v3, 0xb08, v5
	;; [unrolled: 1-line block ×5, first 2 shown]
	ds_load_2addr_b32 v[1:2], v1 offset1:1
	ds_load_2addr_b32 v[3:4], v3 offset1:1
	;; [unrolled: 1-line block ×4, first 2 shown]
	ds_load_2addr_b32 v[10:11], v5 offset0:2 offset1:3
	ds_load_2addr_b32 v[12:13], v5 offset0:4 offset1:5
	ds_load_2addr_b32 v[14:15], v5 offset0:6 offset1:7
	v_add_nc_u32_e32 v22, 40, v5
	ds_load_2addr_b32 v[16:17], v16 offset1:1
	ds_load_2addr_b32 v[18:19], v18 offset1:1
	ds_load_2addr_b32 v[20:21], v5 offset0:8 offset1:9
	ds_load_2addr_stride64_b32 v[22:23], v22 offset1:11
	s_waitcnt lgkmcnt(6)
	v_add_nc_u32_e32 v3, v10, v3
	v_add_nc_u32_e32 v1, v8, v1
	;; [unrolled: 1-line block ×4, first 2 shown]
	s_waitcnt lgkmcnt(5)
	v_add_nc_u32_e32 v6, v12, v6
	v_add_nc_u32_e32 v7, v13, v7
	s_waitcnt lgkmcnt(3)
	v_add_nc_u32_e32 v8, v14, v16
	v_add_nc_u32_e32 v9, v15, v17
	;; [unrolled: 3-line block ×3, first 2 shown]
	s_waitcnt lgkmcnt(0)
	v_add_nc_u32_e32 v12, v22, v23
	ds_store_2addr_b32 v5, v1, v2 offset1:1
	ds_store_2addr_b32 v5, v3, v4 offset0:2 offset1:3
	ds_store_2addr_b32 v5, v6, v7 offset0:4 offset1:5
	;; [unrolled: 1-line block ×4, first 2 shown]
	ds_store_b32 v5, v12 offset:40
.LBB217_47:
	s_or_b32 exec_lo, exec_lo, s0
	s_delay_alu instid0(SALU_CYCLE_1)
	s_mov_b32 s0, exec_lo
	s_waitcnt lgkmcnt(0)
	s_barrier
	buffer_gl0_inv
	v_cmpx_gt_u32_e32 32, v0
	s_cbranch_execz .LBB217_49
; %bb.48:
	v_add_nc_u32_e32 v6, 0x580, v5
	v_add_nc_u32_e32 v8, 0x588, v5
	ds_load_2addr_b32 v[1:2], v5 offset1:1
	ds_load_2addr_b32 v[3:4], v5 offset0:2 offset1:3
	v_add_nc_u32_e32 v10, 0x590, v5
	v_add_nc_u32_e32 v16, 0x598, v5
	ds_load_2addr_b32 v[6:7], v6 offset1:1
	v_add_nc_u32_e32 v18, 0x5a0, v5
	ds_load_2addr_b32 v[8:9], v8 offset1:1
	ds_load_2addr_b32 v[10:11], v10 offset1:1
	ds_load_2addr_b32 v[12:13], v5 offset0:4 offset1:5
	ds_load_2addr_b32 v[14:15], v5 offset0:6 offset1:7
	ds_load_2addr_b32 v[16:17], v16 offset1:1
	ds_load_2addr_b32 v[18:19], v18 offset1:1
	ds_load_2addr_b32 v[20:21], v5 offset0:8 offset1:9
	ds_load_b32 v22, v5 offset:1448
	ds_load_b32 v23, v5 offset:40
	s_waitcnt lgkmcnt(8)
	v_add_nc_u32_e32 v3, v3, v8
	v_add_nc_u32_e32 v4, v4, v9
	s_waitcnt lgkmcnt(4)
	v_add_nc_u32_e32 v8, v14, v16
	v_add_nc_u32_e32 v1, v1, v6
	;; [unrolled: 1-line block ×6, first 2 shown]
	s_waitcnt lgkmcnt(2)
	v_add_nc_u32_e32 v10, v20, v18
	v_add_nc_u32_e32 v11, v21, v19
	s_waitcnt lgkmcnt(0)
	v_add_nc_u32_e32 v12, v23, v22
	ds_store_2addr_b32 v5, v1, v2 offset1:1
	ds_store_2addr_b32 v5, v3, v4 offset0:2 offset1:3
	ds_store_2addr_b32 v5, v6, v7 offset0:4 offset1:5
	;; [unrolled: 1-line block ×4, first 2 shown]
	ds_store_b32 v5, v12 offset:40
.LBB217_49:
	s_or_b32 exec_lo, exec_lo, s0
	s_delay_alu instid0(SALU_CYCLE_1)
	s_mov_b32 s0, exec_lo
	s_waitcnt lgkmcnt(0)
	s_barrier
	buffer_gl0_inv
	v_cmpx_gt_u32_e32 16, v0
	s_cbranch_execz .LBB217_51
; %bb.50:
	ds_load_2addr_b32 v[1:2], v5 offset0:176 offset1:177
	ds_load_2addr_b32 v[3:4], v5 offset1:1
	ds_load_2addr_b32 v[6:7], v5 offset0:2 offset1:3
	ds_load_2addr_b32 v[8:9], v5 offset0:178 offset1:179
	ds_load_2addr_b32 v[10:11], v5 offset0:180 offset1:181
	ds_load_2addr_b32 v[12:13], v5 offset0:4 offset1:5
	ds_load_2addr_b32 v[14:15], v5 offset0:6 offset1:7
	ds_load_2addr_b32 v[16:17], v5 offset0:182 offset1:183
	ds_load_2addr_b32 v[18:19], v5 offset0:184 offset1:185
	ds_load_2addr_b32 v[20:21], v5 offset0:8 offset1:9
	ds_load_2addr_b32 v[22:23], v5 offset0:10 offset1:186
	s_waitcnt lgkmcnt(9)
	v_add_nc_u32_e32 v1, v3, v1
	v_add_nc_u32_e32 v2, v4, v2
	s_waitcnt lgkmcnt(7)
	v_add_nc_u32_e32 v3, v6, v8
	v_add_nc_u32_e32 v4, v7, v9
	s_waitcnt lgkmcnt(5)
	v_add_nc_u32_e32 v6, v12, v10
	v_add_nc_u32_e32 v7, v13, v11
	s_waitcnt lgkmcnt(3)
	v_add_nc_u32_e32 v8, v14, v16
	v_add_nc_u32_e32 v9, v15, v17
	s_waitcnt lgkmcnt(1)
	v_add_nc_u32_e32 v10, v20, v18
	v_add_nc_u32_e32 v11, v21, v19
	s_waitcnt lgkmcnt(0)
	v_add_nc_u32_e32 v12, v22, v23
	ds_store_2addr_b32 v5, v1, v2 offset1:1
	ds_store_2addr_b32 v5, v3, v4 offset0:2 offset1:3
	ds_store_2addr_b32 v5, v6, v7 offset0:4 offset1:5
	ds_store_2addr_b32 v5, v8, v9 offset0:6 offset1:7
	ds_store_2addr_b32 v5, v10, v11 offset0:8 offset1:9
	ds_store_b32 v5, v12 offset:40
.LBB217_51:
	s_or_b32 exec_lo, exec_lo, s0
	s_delay_alu instid0(SALU_CYCLE_1)
	s_mov_b32 s0, exec_lo
	s_waitcnt lgkmcnt(0)
	s_barrier
	buffer_gl0_inv
	v_cmpx_gt_u32_e32 8, v0
	s_cbranch_execz .LBB217_53
; %bb.52:
	ds_load_2addr_b32 v[1:2], v5 offset0:88 offset1:89
	ds_load_2addr_b32 v[3:4], v5 offset1:1
	ds_load_2addr_b32 v[6:7], v5 offset0:2 offset1:3
	ds_load_2addr_b32 v[8:9], v5 offset0:90 offset1:91
	ds_load_2addr_b32 v[10:11], v5 offset0:92 offset1:93
	ds_load_2addr_b32 v[12:13], v5 offset0:4 offset1:5
	ds_load_2addr_b32 v[14:15], v5 offset0:6 offset1:7
	ds_load_2addr_b32 v[16:17], v5 offset0:94 offset1:95
	ds_load_2addr_b32 v[18:19], v5 offset0:96 offset1:97
	ds_load_2addr_b32 v[20:21], v5 offset0:8 offset1:9
	ds_load_2addr_b32 v[22:23], v5 offset0:10 offset1:98
	s_waitcnt lgkmcnt(9)
	v_add_nc_u32_e32 v1, v3, v1
	v_add_nc_u32_e32 v2, v4, v2
	s_waitcnt lgkmcnt(7)
	v_add_nc_u32_e32 v3, v6, v8
	v_add_nc_u32_e32 v4, v7, v9
	s_waitcnt lgkmcnt(5)
	v_add_nc_u32_e32 v6, v12, v10
	v_add_nc_u32_e32 v7, v13, v11
	s_waitcnt lgkmcnt(3)
	v_add_nc_u32_e32 v8, v14, v16
	v_add_nc_u32_e32 v9, v15, v17
	s_waitcnt lgkmcnt(1)
	v_add_nc_u32_e32 v10, v20, v18
	v_add_nc_u32_e32 v11, v21, v19
	s_waitcnt lgkmcnt(0)
	v_add_nc_u32_e32 v12, v22, v23
	ds_store_2addr_b32 v5, v1, v2 offset1:1
	ds_store_2addr_b32 v5, v3, v4 offset0:2 offset1:3
	ds_store_2addr_b32 v5, v6, v7 offset0:4 offset1:5
	ds_store_2addr_b32 v5, v8, v9 offset0:6 offset1:7
	ds_store_2addr_b32 v5, v10, v11 offset0:8 offset1:9
	ds_store_b32 v5, v12 offset:40
.LBB217_53:
	;; [unrolled: 44-line block ×4, first 2 shown]
	s_or_b32 exec_lo, exec_lo, s0
	s_delay_alu instid0(SALU_CYCLE_1)
	s_mov_b32 s0, exec_lo
	s_waitcnt lgkmcnt(0)
	s_barrier
	buffer_gl0_inv
	v_cmpx_eq_u32_e32 0, v0
	s_cbranch_execz .LBB217_59
; %bb.58:
	v_mov_b32_e32 v23, 0
	ds_load_b128 v[1:4], v23
	ds_load_b128 v[5:8], v23 offset:32
	ds_load_b128 v[9:12], v23 offset:48
	;; [unrolled: 1-line block ×4, first 2 shown]
	ds_load_b64 v[21:22], v23 offset:80
	s_waitcnt lgkmcnt(4)
	v_add_nc_u32_e32 v1, v1, v8
	s_waitcnt lgkmcnt(3)
	v_add_nc_u32_e32 v2, v2, v9
	v_add_nc_u32_e32 v3, v3, v10
	;; [unrolled: 1-line block ×3, first 2 shown]
	s_waitcnt lgkmcnt(2)
	v_add_nc_u32_e32 v8, v13, v12
	s_waitcnt lgkmcnt(1)
	v_add_nc_u32_e32 v9, v14, v17
	v_add_nc_u32_e32 v10, v15, v18
	;; [unrolled: 1-line block ×4, first 2 shown]
	s_waitcnt lgkmcnt(0)
	v_add_nc_u32_e32 v6, v6, v21
	v_add_nc_u32_e32 v7, v7, v22
	ds_store_b128 v23, v[1:4]
	ds_store_b128 v23, v[8:11] offset:16
	ds_store_b96 v23, v[5:7] offset:32
.LBB217_59:
	s_or_b32 exec_lo, exec_lo, s0
	s_waitcnt lgkmcnt(0)
	s_barrier
	buffer_gl0_inv
	s_mov_b32 s0, exec_lo
	v_cmpx_gt_u32_e32 11, v0
	s_cbranch_execz .LBB217_61
; %bb.60:
	v_lshlrev_b32_e32 v3, 2, v0
	v_mad_u64_u32 v[1:2], null, s15, 11, v[0:1]
	v_mov_b32_e32 v2, 0
	ds_load_b32 v3, v3
	v_lshlrev_b64 v[0:1], 2, v[1:2]
	s_delay_alu instid0(VALU_DEP_1) | instskip(NEXT) | instid1(VALU_DEP_2)
	v_add_co_u32 v0, vcc_lo, s2, v0
	v_add_co_ci_u32_e32 v1, vcc_lo, s3, v1, vcc_lo
	s_waitcnt lgkmcnt(0)
	global_store_b32 v[0:1], v3, off
.LBB217_61:
	s_nop 0
	s_sendmsg sendmsg(MSG_DEALLOC_VGPRS)
	s_endpgm
	.section	.rodata,"a",@progbits
	.p2align	6, 0x0
	.amdhsa_kernel _ZN9rocsparseL26csrgemm_group_reduce_part2ILj256ELj11E21rocsparse_complex_numIfEliEEvT3_PKT2_PS3_Pij
		.amdhsa_group_segment_fixed_size 11264
		.amdhsa_private_segment_fixed_size 0
		.amdhsa_kernarg_size 296
		.amdhsa_user_sgpr_count 15
		.amdhsa_user_sgpr_dispatch_ptr 0
		.amdhsa_user_sgpr_queue_ptr 0
		.amdhsa_user_sgpr_kernarg_segment_ptr 1
		.amdhsa_user_sgpr_dispatch_id 0
		.amdhsa_user_sgpr_private_segment_size 0
		.amdhsa_wavefront_size32 1
		.amdhsa_uses_dynamic_stack 0
		.amdhsa_enable_private_segment 0
		.amdhsa_system_sgpr_workgroup_id_x 1
		.amdhsa_system_sgpr_workgroup_id_y 0
		.amdhsa_system_sgpr_workgroup_id_z 0
		.amdhsa_system_sgpr_workgroup_info 0
		.amdhsa_system_vgpr_workitem_id 0
		.amdhsa_next_free_vgpr 24
		.amdhsa_next_free_sgpr 26
		.amdhsa_reserve_vcc 1
		.amdhsa_float_round_mode_32 0
		.amdhsa_float_round_mode_16_64 0
		.amdhsa_float_denorm_mode_32 3
		.amdhsa_float_denorm_mode_16_64 3
		.amdhsa_dx10_clamp 1
		.amdhsa_ieee_mode 1
		.amdhsa_fp16_overflow 0
		.amdhsa_workgroup_processor_mode 1
		.amdhsa_memory_ordered 1
		.amdhsa_forward_progress 0
		.amdhsa_shared_vgpr_count 0
		.amdhsa_exception_fp_ieee_invalid_op 0
		.amdhsa_exception_fp_denorm_src 0
		.amdhsa_exception_fp_ieee_div_zero 0
		.amdhsa_exception_fp_ieee_overflow 0
		.amdhsa_exception_fp_ieee_underflow 0
		.amdhsa_exception_fp_ieee_inexact 0
		.amdhsa_exception_int_div_zero 0
	.end_amdhsa_kernel
	.section	.text._ZN9rocsparseL26csrgemm_group_reduce_part2ILj256ELj11E21rocsparse_complex_numIfEliEEvT3_PKT2_PS3_Pij,"axG",@progbits,_ZN9rocsparseL26csrgemm_group_reduce_part2ILj256ELj11E21rocsparse_complex_numIfEliEEvT3_PKT2_PS3_Pij,comdat
.Lfunc_end217:
	.size	_ZN9rocsparseL26csrgemm_group_reduce_part2ILj256ELj11E21rocsparse_complex_numIfEliEEvT3_PKT2_PS3_Pij, .Lfunc_end217-_ZN9rocsparseL26csrgemm_group_reduce_part2ILj256ELj11E21rocsparse_complex_numIfEliEEvT3_PKT2_PS3_Pij
                                        ; -- End function
	.section	.AMDGPU.csdata,"",@progbits
; Kernel info:
; codeLenInByte = 3416
; NumSgprs: 28
; NumVgprs: 24
; ScratchSize: 0
; MemoryBound: 0
; FloatMode: 240
; IeeeMode: 1
; LDSByteSize: 11264 bytes/workgroup (compile time only)
; SGPRBlocks: 3
; VGPRBlocks: 2
; NumSGPRsForWavesPerEU: 28
; NumVGPRsForWavesPerEU: 24
; Occupancy: 16
; WaveLimiterHint : 0
; COMPUTE_PGM_RSRC2:SCRATCH_EN: 0
; COMPUTE_PGM_RSRC2:USER_SGPR: 15
; COMPUTE_PGM_RSRC2:TRAP_HANDLER: 0
; COMPUTE_PGM_RSRC2:TGID_X_EN: 1
; COMPUTE_PGM_RSRC2:TGID_Y_EN: 0
; COMPUTE_PGM_RSRC2:TGID_Z_EN: 0
; COMPUTE_PGM_RSRC2:TIDIG_COMP_CNT: 0
	.section	.text._ZN9rocsparseL23csrgemm_fill_wf_per_rowILj256ELj8ELj16ELj137Eli21rocsparse_complex_numIfEEEvT4_S3_PKS3_S5_NS_24const_host_device_scalarIT5_EEPKT3_S5_PKS7_SB_S5_SD_S8_SB_S5_SD_SB_PS3_PS7_21rocsparse_index_base_SG_SG_SG_bbb,"axG",@progbits,_ZN9rocsparseL23csrgemm_fill_wf_per_rowILj256ELj8ELj16ELj137Eli21rocsparse_complex_numIfEEEvT4_S3_PKS3_S5_NS_24const_host_device_scalarIT5_EEPKT3_S5_PKS7_SB_S5_SD_S8_SB_S5_SD_SB_PS3_PS7_21rocsparse_index_base_SG_SG_SG_bbb,comdat
	.globl	_ZN9rocsparseL23csrgemm_fill_wf_per_rowILj256ELj8ELj16ELj137Eli21rocsparse_complex_numIfEEEvT4_S3_PKS3_S5_NS_24const_host_device_scalarIT5_EEPKT3_S5_PKS7_SB_S5_SD_S8_SB_S5_SD_SB_PS3_PS7_21rocsparse_index_base_SG_SG_SG_bbb ; -- Begin function _ZN9rocsparseL23csrgemm_fill_wf_per_rowILj256ELj8ELj16ELj137Eli21rocsparse_complex_numIfEEEvT4_S3_PKS3_S5_NS_24const_host_device_scalarIT5_EEPKT3_S5_PKS7_SB_S5_SD_S8_SB_S5_SD_SB_PS3_PS7_21rocsparse_index_base_SG_SG_SG_bbb
	.p2align	8
	.type	_ZN9rocsparseL23csrgemm_fill_wf_per_rowILj256ELj8ELj16ELj137Eli21rocsparse_complex_numIfEEEvT4_S3_PKS3_S5_NS_24const_host_device_scalarIT5_EEPKT3_S5_PKS7_SB_S5_SD_S8_SB_S5_SD_SB_PS3_PS7_21rocsparse_index_base_SG_SG_SG_bbb,@function
_ZN9rocsparseL23csrgemm_fill_wf_per_rowILj256ELj8ELj16ELj137Eli21rocsparse_complex_numIfEEEvT4_S3_PKS3_S5_NS_24const_host_device_scalarIT5_EEPKT3_S5_PKS7_SB_S5_SD_S8_SB_S5_SD_SB_PS3_PS7_21rocsparse_index_base_SG_SG_SG_bbb: ; @_ZN9rocsparseL23csrgemm_fill_wf_per_rowILj256ELj8ELj16ELj137Eli21rocsparse_complex_numIfEEEvT4_S3_PKS3_S5_NS_24const_host_device_scalarIT5_EEPKT3_S5_PKS7_SB_S5_SD_S8_SB_S5_SD_SB_PS3_PS7_21rocsparse_index_base_SG_SG_SG_bbb
; %bb.0:
	s_clause 0x6
	s_load_b32 s14, s[0:1], 0x98
	s_load_b256 s[4:11], s[0:1], 0x60
	s_load_b256 s[16:23], s[0:1], 0x40
	s_load_b128 s[40:43], s[0:1], 0x8
	s_load_b256 s[24:31], s[0:1], 0x20
	s_load_b64 s[2:3], s[0:1], 0x80
	s_load_b128 s[36:39], s[0:1], 0x88
	s_mov_b32 s13, 0
	s_mov_b32 s33, 0
	s_waitcnt lgkmcnt(0)
	s_bitcmp1_b32 s14, 0
	s_cselect_b32 s35, -1, 0
	s_bitcmp1_b32 s14, 16
	s_cselect_b32 s12, -1, 0
	s_delay_alu instid0(SALU_CYCLE_1) | instskip(SKIP_2) | instid1(VALU_DEP_1)
	s_xor_b32 s34, s12, -1
	s_bitcmp0_b32 s14, 0
	v_cndmask_b32_e64 v1, 0, 1, s34
	v_cmp_ne_u32_e32 vcc_lo, 1, v1
	s_cbranch_scc1 .LBB218_5
; %bb.1:
	s_load_b64 s[12:13], s[0:1], 0x18
	s_and_b32 vcc_lo, exec_lo, vcc_lo
	s_waitcnt lgkmcnt(0)
	s_mov_b32 s33, s12
	s_cbranch_vccnz .LBB218_3
; %bb.2:
	s_load_b32 s33, s[12:13], 0x0
.LBB218_3:
	s_and_not1_b32 vcc_lo, exec_lo, s34
	s_cbranch_vccnz .LBB218_5
; %bb.4:
	s_load_b32 s13, s[12:13], 0x4
.LBB218_5:
	s_bitcmp1_b32 s14, 8
	s_cselect_b32 s34, -1, 0
	s_bfe_u32 s12, s14, 0x10008
	s_mov_b32 s14, 0
	s_cmp_eq_u32 s12, 0
	s_mov_b32 s12, 0
	s_cbranch_scc1 .LBB218_11
; %bb.6:
	v_cmp_ne_u32_e32 vcc_lo, 1, v1
	s_mov_b32 s12, s20
	s_cbranch_vccnz .LBB218_8
; %bb.7:
	s_load_b32 s12, s[20:21], 0x0
.LBB218_8:
	v_cmp_ne_u32_e32 vcc_lo, 1, v1
	s_cbranch_vccnz .LBB218_10
; %bb.9:
	s_load_b32 s21, s[20:21], 0x4
.LBB218_10:
	s_waitcnt lgkmcnt(0)
	s_mov_b32 s14, s21
.LBB218_11:
	s_load_b64 s[0:1], s[0:1], 0x0
	v_and_b32_e32 v15, 7, v0
	v_lshrrev_b32_e32 v2, 3, v0
	v_mov_b32_e32 v0, 0
	s_mov_b32 s20, 0
	s_delay_alu instid0(VALU_DEP_3) | instskip(SKIP_2) | instid1(VALU_DEP_3)
	v_lshlrev_b32_e32 v4, 3, v15
	v_or_b32_e32 v12, -8, v15
	v_lshlrev_b32_e32 v3, 2, v15
	v_lshl_or_b32 v11, v2, 7, v4
	s_delay_alu instid0(VALU_DEP_3) | instskip(NEXT) | instid1(VALU_DEP_2)
	v_dual_mov_b32 v6, v12 :: v_dual_lshlrev_b32 v1, 6, v2
	v_mov_b32_e32 v4, v11
	s_delay_alu instid0(VALU_DEP_2) | instskip(SKIP_3) | instid1(VALU_DEP_3)
	v_or3_b32 v10, v1, v3, 0x1000
	v_mov_b32_e32 v1, v0
	s_waitcnt lgkmcnt(0)
	v_mov_b32_e32 v5, s1
	v_mov_b32_e32 v3, v10
.LBB218_12:                             ; =>This Inner Loop Header: Depth=1
	v_add_co_u32 v6, s21, v6, 8
	s_delay_alu instid0(VALU_DEP_1)
	s_xor_b32 s21, s21, -1
	ds_store_b32 v3, v5
	ds_store_b64 v4, v[0:1]
	v_add_nc_u32_e32 v4, 64, v4
	v_add_nc_u32_e32 v3, 32, v3
	s_and_b32 s21, exec_lo, s21
	s_delay_alu instid0(SALU_CYCLE_1) | instskip(NEXT) | instid1(SALU_CYCLE_1)
	s_or_b32 s20, s21, s20
	s_and_not1_b32 exec_lo, exec_lo, s20
	s_cbranch_execnz .LBB218_12
; %bb.13:
	s_or_b32 exec_lo, exec_lo, s20
	s_lshl_b32 s15, s15, 5
	s_waitcnt lgkmcnt(0)
	buffer_gl0_inv
	v_and_or_b32 v0, 0x1fffffe0, s15, v2
	s_delay_alu instid0(VALU_DEP_1)
	v_cmp_gt_i32_e32 vcc_lo, s0, v0
	s_and_saveexec_b32 s0, vcc_lo
	s_cbranch_execz .LBB218_56
; %bb.14:
	s_cmp_eq_u64 s[42:43], 0
	s_cbranch_scc1 .LBB218_16
; %bb.15:
	s_load_b32 s0, s[40:41], 0x0
	s_waitcnt lgkmcnt(0)
	v_add_nc_u32_e32 v0, s0, v0
	s_delay_alu instid0(VALU_DEP_1) | instskip(NEXT) | instid1(VALU_DEP_1)
	v_ashrrev_i32_e32 v1, 31, v0
	v_lshlrev_b64 v[0:1], 2, v[0:1]
	s_delay_alu instid0(VALU_DEP_1) | instskip(NEXT) | instid1(VALU_DEP_2)
	v_add_co_u32 v0, vcc_lo, s42, v0
	v_add_co_ci_u32_e32 v1, vcc_lo, s43, v1, vcc_lo
	global_load_b32 v0, v[0:1], off
.LBB218_16:
	s_waitcnt vmcnt(0)
	v_ashrrev_i32_e32 v1, 31, v0
	v_lshl_or_b32 v13, v2, 6, 0x1000
	v_lshlrev_b32_e32 v14, 7, v2
	s_and_not1_b32 vcc_lo, exec_lo, s35
	s_delay_alu instid0(VALU_DEP_3)
	v_lshlrev_b64 v[4:5], 3, v[0:1]
	s_cbranch_vccnz .LBB218_36
; %bb.17:
	s_delay_alu instid0(VALU_DEP_1) | instskip(NEXT) | instid1(VALU_DEP_2)
	v_add_co_u32 v0, vcc_lo, s24, v4
	v_add_co_ci_u32_e32 v1, vcc_lo, s25, v5, vcc_lo
	v_sub_co_u32 v8, s0, v15, s36
	s_delay_alu instid0(VALU_DEP_1)
	v_sub_co_ci_u32_e64 v9, null, 0, 0, s0
	global_load_b128 v[0:3], v[0:1], off
	s_mov_b32 s15, 0
	s_mov_b32 s0, exec_lo
	s_waitcnt vmcnt(0)
	v_sub_co_u32 v6, vcc_lo, v2, s36
	v_subrev_co_ci_u32_e32 v7, vcc_lo, 0, v3, vcc_lo
	v_add_co_u32 v8, vcc_lo, v0, v8
	v_add_co_ci_u32_e32 v9, vcc_lo, v1, v9, vcc_lo
	s_delay_alu instid0(VALU_DEP_1)
	v_cmpx_lt_i64_e64 v[8:9], v[6:7]
	s_cbranch_execz .LBB218_35
; %bb.18:
	s_mov_b32 s20, s37
	s_branch .LBB218_20
.LBB218_19:                             ;   in Loop: Header=BB218_20 Depth=1
	s_or_b32 exec_lo, exec_lo, s21
	v_add_co_u32 v8, vcc_lo, v8, 8
	v_add_co_ci_u32_e32 v9, vcc_lo, 0, v9, vcc_lo
	s_delay_alu instid0(VALU_DEP_1) | instskip(SKIP_1) | instid1(SALU_CYCLE_1)
	v_cmp_ge_i64_e32 vcc_lo, v[8:9], v[6:7]
	s_or_b32 s15, vcc_lo, s15
	s_and_not1_b32 exec_lo, exec_lo, s15
	s_cbranch_execz .LBB218_35
.LBB218_20:                             ; =>This Loop Header: Depth=1
                                        ;     Child Loop BB218_23 Depth 2
                                        ;       Child Loop BB218_25 Depth 3
	v_lshlrev_b64 v[0:1], 2, v[8:9]
	s_mov_b32 s21, exec_lo
	s_delay_alu instid0(VALU_DEP_1) | instskip(NEXT) | instid1(VALU_DEP_2)
	v_add_co_u32 v0, vcc_lo, s26, v0
	v_add_co_ci_u32_e32 v1, vcc_lo, s27, v1, vcc_lo
	global_load_b32 v0, v[0:1], off
	s_waitcnt vmcnt(0)
	v_subrev_nc_u32_e32 v0, s36, v0
	s_delay_alu instid0(VALU_DEP_1) | instskip(NEXT) | instid1(VALU_DEP_1)
	v_ashrrev_i32_e32 v1, 31, v0
	v_lshlrev_b64 v[0:1], 3, v[0:1]
	s_delay_alu instid0(VALU_DEP_1) | instskip(NEXT) | instid1(VALU_DEP_2)
	v_add_co_u32 v0, vcc_lo, s30, v0
	v_add_co_ci_u32_e32 v1, vcc_lo, s31, v1, vcc_lo
	global_load_b128 v[0:3], v[0:1], off
	s_waitcnt vmcnt(0)
	v_cmpx_lt_i64_e64 v[0:1], v[2:3]
	s_cbranch_execz .LBB218_19
; %bb.21:                               ;   in Loop: Header=BB218_20 Depth=1
	v_lshlrev_b64 v[16:17], 3, v[8:9]
	s_mov_b32 s24, 0
	s_delay_alu instid0(VALU_DEP_1) | instskip(NEXT) | instid1(VALU_DEP_2)
	v_add_co_u32 v16, vcc_lo, s28, v16
	v_add_co_ci_u32_e32 v17, vcc_lo, s29, v17, vcc_lo
	v_sub_co_u32 v2, vcc_lo, v2, s20
	v_subrev_co_ci_u32_e32 v3, vcc_lo, 0, v3, vcc_lo
	global_load_b64 v[18:19], v[16:17], off
	v_sub_co_u32 v0, vcc_lo, v0, s20
	v_subrev_co_ci_u32_e32 v1, vcc_lo, 0, v1, vcc_lo
	s_waitcnt vmcnt(0)
	v_mul_f32_e64 v16, v19, -s13
	s_delay_alu instid0(VALU_DEP_1) | instskip(NEXT) | instid1(VALU_DEP_1)
	v_dual_mul_f32 v17, s33, v19 :: v_dual_fmac_f32 v16, s33, v18
	v_fmac_f32_e32 v17, s13, v18
	s_branch .LBB218_23
.LBB218_22:                             ;   in Loop: Header=BB218_23 Depth=2
	s_or_b32 exec_lo, exec_lo, s25
	v_add_co_u32 v0, vcc_lo, v0, 1
	v_add_co_ci_u32_e32 v1, vcc_lo, 0, v1, vcc_lo
	s_delay_alu instid0(VALU_DEP_1) | instskip(SKIP_1) | instid1(SALU_CYCLE_1)
	v_cmp_ge_i64_e32 vcc_lo, v[0:1], v[2:3]
	s_or_b32 s24, vcc_lo, s24
	s_and_not1_b32 exec_lo, exec_lo, s24
	s_cbranch_execz .LBB218_19
.LBB218_23:                             ;   Parent Loop BB218_20 Depth=1
                                        ; =>  This Loop Header: Depth=2
                                        ;       Child Loop BB218_25 Depth 3
	v_lshlrev_b64 v[18:19], 2, v[0:1]
	v_lshlrev_b64 v[20:21], 3, v[0:1]
	s_mov_b32 s25, 0
	s_delay_alu instid0(VALU_DEP_2) | instskip(NEXT) | instid1(VALU_DEP_3)
	v_add_co_u32 v18, vcc_lo, s16, v18
	v_add_co_ci_u32_e32 v19, vcc_lo, s17, v19, vcc_lo
	s_delay_alu instid0(VALU_DEP_3) | instskip(NEXT) | instid1(VALU_DEP_4)
	v_add_co_u32 v20, vcc_lo, s18, v20
	v_add_co_ci_u32_e32 v21, vcc_lo, s19, v21, vcc_lo
	global_load_b32 v18, v[18:19], off
	global_load_b64 v[21:22], v[20:21], off
	s_waitcnt vmcnt(1)
	v_subrev_nc_u32_e32 v18, s37, v18
	s_waitcnt vmcnt(0)
	v_mul_f32_e64 v19, v22, -v17
	v_mul_f32_e32 v20, v16, v22
	s_delay_alu instid0(VALU_DEP_3) | instskip(NEXT) | instid1(VALU_DEP_3)
	v_lshl_add_u32 v22, v18, 3, v18
	v_fmac_f32_e32 v19, v16, v21
	s_delay_alu instid0(VALU_DEP_2)
	v_dual_fmac_f32 v20, v17, v21 :: v_dual_and_b32 v21, 15, v22
	s_branch .LBB218_25
.LBB218_24:                             ;   in Loop: Header=BB218_25 Depth=3
	s_or_b32 exec_lo, exec_lo, s35
	s_xor_b32 s35, s40, -1
	s_delay_alu instid0(SALU_CYCLE_1) | instskip(NEXT) | instid1(SALU_CYCLE_1)
	s_and_b32 s35, exec_lo, s35
	s_or_b32 s25, s35, s25
	s_delay_alu instid0(SALU_CYCLE_1)
	s_and_not1_b32 exec_lo, exec_lo, s25
	s_cbranch_execz .LBB218_22
.LBB218_25:                             ;   Parent Loop BB218_20 Depth=1
                                        ;     Parent Loop BB218_23 Depth=2
                                        ; =>    This Inner Loop Header: Depth=3
	s_delay_alu instid0(VALU_DEP_1)
	v_lshl_add_u32 v22, v21, 2, v13
	s_mov_b32 s35, exec_lo
                                        ; implicit-def: $sgpr40
	ds_load_b32 v23, v22
	s_waitcnt lgkmcnt(0)
	v_cmpx_ne_u32_e64 v23, v18
	s_xor_b32 s35, exec_lo, s35
	s_cbranch_execz .LBB218_33
; %bb.26:                               ;   in Loop: Header=BB218_25 Depth=3
	s_mov_b32 s41, exec_lo
                                        ; implicit-def: $sgpr40
	v_cmpx_ne_u32_e64 s1, v23
	s_xor_b32 s41, exec_lo, s41
; %bb.27:                               ;   in Loop: Header=BB218_25 Depth=3
	v_add_nc_u32_e32 v21, 1, v21
	s_mov_b32 s40, -1
                                        ; implicit-def: $vgpr22
	s_delay_alu instid0(VALU_DEP_1)
	v_and_b32_e32 v21, 15, v21
; %bb.28:                               ;   in Loop: Header=BB218_25 Depth=3
	s_and_not1_saveexec_b32 s41, s41
	s_cbranch_execz .LBB218_32
; %bb.29:                               ;   in Loop: Header=BB218_25 Depth=3
	v_mov_b32_e32 v23, s1
	s_mov_b32 s42, -1
	s_mov_b32 s43, exec_lo
	ds_cmpstore_rtn_b32 v22, v22, v18, v23
	s_waitcnt lgkmcnt(0)
	v_cmpx_eq_u32_e64 s1, v22
	s_cbranch_execz .LBB218_31
; %bb.30:                               ;   in Loop: Header=BB218_25 Depth=3
	v_lshl_add_u32 v22, v21, 3, v14
	s_xor_b32 s42, exec_lo, -1
	ds_add_f32 v22, v19
	ds_add_f32 v22, v20 offset:4
.LBB218_31:                             ;   in Loop: Header=BB218_25 Depth=3
	s_or_b32 exec_lo, exec_lo, s43
	s_delay_alu instid0(SALU_CYCLE_1) | instskip(SKIP_1) | instid1(SALU_CYCLE_1)
	s_and_not1_b32 s40, s40, exec_lo
	s_and_b32 s42, s42, exec_lo
	s_or_b32 s40, s40, s42
.LBB218_32:                             ;   in Loop: Header=BB218_25 Depth=3
	s_or_b32 exec_lo, exec_lo, s41
	s_delay_alu instid0(SALU_CYCLE_1)
	s_and_b32 s40, s40, exec_lo
.LBB218_33:                             ;   in Loop: Header=BB218_25 Depth=3
	s_and_not1_saveexec_b32 s35, s35
	s_cbranch_execz .LBB218_24
; %bb.34:                               ;   in Loop: Header=BB218_25 Depth=3
	v_lshl_add_u32 v22, v21, 3, v14
	s_and_not1_b32 s40, s40, exec_lo
	ds_add_f32 v22, v19
	ds_add_f32 v22, v20 offset:4
	s_branch .LBB218_24
.LBB218_35:
	s_or_b32 exec_lo, exec_lo, s0
.LBB218_36:
	s_delay_alu instid0(SALU_CYCLE_1)
	s_and_not1_b32 vcc_lo, exec_lo, s34
	s_cbranch_vccnz .LBB218_39
; %bb.37:
	s_delay_alu instid0(VALU_DEP_1) | instskip(NEXT) | instid1(VALU_DEP_2)
	v_add_co_u32 v0, vcc_lo, s22, v4
	v_add_co_ci_u32_e32 v1, vcc_lo, s23, v5, vcc_lo
	v_sub_co_u32 v2, s0, v15, s39
	s_delay_alu instid0(VALU_DEP_1)
	v_sub_co_ci_u32_e64 v3, null, 0, 0, s0
	global_load_b128 v[6:9], v[0:1], off
	s_mov_b32 s13, 0
	s_mov_b32 s0, exec_lo
	s_waitcnt vmcnt(0)
	v_sub_co_u32 v0, vcc_lo, v8, s39
	v_subrev_co_ci_u32_e32 v1, vcc_lo, 0, v9, vcc_lo
	v_add_co_u32 v2, vcc_lo, v6, v2
	v_add_co_ci_u32_e32 v3, vcc_lo, v7, v3, vcc_lo
	s_delay_alu instid0(VALU_DEP_1)
	v_cmpx_lt_i64_e64 v[2:3], v[0:1]
	s_cbranch_execnz .LBB218_44
.LBB218_38:
	s_or_b32 exec_lo, exec_lo, s0
.LBB218_39:
	s_delay_alu instid0(VALU_DEP_1) | instskip(NEXT) | instid1(VALU_DEP_2)
	v_add_co_u32 v0, vcc_lo, s8, v4
	v_add_co_ci_u32_e32 v1, vcc_lo, s9, v5, vcc_lo
	s_waitcnt lgkmcnt(0)
	buffer_gl0_inv
	s_mov_b32 s0, 0
	global_load_b64 v[0:1], v[0:1], off
	s_waitcnt vmcnt(0)
	v_sub_co_u32 v0, vcc_lo, v0, s38
	v_subrev_co_ci_u32_e32 v1, vcc_lo, 0, v1, vcc_lo
	s_branch .LBB218_41
.LBB218_40:                             ;   in Loop: Header=BB218_41 Depth=1
	s_or_b32 exec_lo, exec_lo, s4
	v_add_co_u32 v12, s4, v12, 8
	s_delay_alu instid0(VALU_DEP_1) | instskip(SKIP_3) | instid1(SALU_CYCLE_1)
	s_xor_b32 s4, s4, -1
	v_add_nc_u32_e32 v11, 64, v11
	v_add_nc_u32_e32 v10, 32, v10
	s_and_b32 s4, exec_lo, s4
	s_or_b32 s0, s4, s0
	s_delay_alu instid0(SALU_CYCLE_1)
	s_and_not1_b32 exec_lo, exec_lo, s0
	s_cbranch_execz .LBB218_56
.LBB218_41:                             ; =>This Inner Loop Header: Depth=1
	ds_load_b32 v2, v10
	s_mov_b32 s4, exec_lo
	s_waitcnt lgkmcnt(0)
	v_cmpx_gt_i32_e64 s1, v2
	s_cbranch_execz .LBB218_40
; %bb.42:                               ;   in Loop: Header=BB218_41 Depth=1
	ds_load_b128 v[3:6], v13
	ds_load_b128 v[14:17], v13 offset:16
	ds_load_b128 v[18:21], v13 offset:32
	;; [unrolled: 1-line block ×3, first 2 shown]
	v_add_nc_u32_e32 v9, s38, v2
	s_waitcnt lgkmcnt(3)
	v_cmp_gt_i32_e32 vcc_lo, v2, v3
	v_cndmask_b32_e64 v3, 0, 1, vcc_lo
	v_cmp_gt_i32_e32 vcc_lo, v2, v4
	v_cndmask_b32_e64 v4, 0, 1, vcc_lo
	s_delay_alu instid0(VALU_DEP_3) | instskip(SKIP_3) | instid1(VALU_DEP_4)
	v_add_co_u32 v3, vcc_lo, v0, v3
	v_add_co_ci_u32_e32 v7, vcc_lo, 0, v1, vcc_lo
	v_cmp_gt_i32_e32 vcc_lo, v2, v5
	v_cndmask_b32_e64 v5, 0, 1, vcc_lo
	v_add_co_u32 v3, vcc_lo, v3, v4
	s_delay_alu instid0(VALU_DEP_4) | instskip(SKIP_2) | instid1(VALU_DEP_4)
	v_add_co_ci_u32_e32 v4, vcc_lo, 0, v7, vcc_lo
	v_cmp_gt_i32_e32 vcc_lo, v2, v6
	v_cndmask_b32_e64 v6, 0, 1, vcc_lo
	v_add_co_u32 v3, vcc_lo, v3, v5
	s_delay_alu instid0(VALU_DEP_4)
	v_add_co_ci_u32_e32 v4, vcc_lo, 0, v4, vcc_lo
	s_waitcnt lgkmcnt(2)
	v_cmp_gt_i32_e32 vcc_lo, v2, v14
	v_cndmask_b32_e64 v5, 0, 1, vcc_lo
	v_add_co_u32 v3, vcc_lo, v3, v6
	v_add_co_ci_u32_e32 v4, vcc_lo, 0, v4, vcc_lo
	v_cmp_gt_i32_e32 vcc_lo, v2, v15
	v_cndmask_b32_e64 v6, 0, 1, vcc_lo
	s_delay_alu instid0(VALU_DEP_4) | instskip(NEXT) | instid1(VALU_DEP_4)
	v_add_co_u32 v3, vcc_lo, v3, v5
	v_add_co_ci_u32_e32 v4, vcc_lo, 0, v4, vcc_lo
	v_cmp_gt_i32_e32 vcc_lo, v2, v16
	v_cndmask_b32_e64 v5, 0, 1, vcc_lo
	s_delay_alu instid0(VALU_DEP_4) | instskip(NEXT) | instid1(VALU_DEP_4)
	v_add_co_u32 v3, vcc_lo, v3, v6
	v_add_co_ci_u32_e32 v4, vcc_lo, 0, v4, vcc_lo
	v_cmp_gt_i32_e32 vcc_lo, v2, v17
	v_cndmask_b32_e64 v6, 0, 1, vcc_lo
	s_delay_alu instid0(VALU_DEP_4) | instskip(NEXT) | instid1(VALU_DEP_4)
	v_add_co_u32 v3, vcc_lo, v3, v5
	v_add_co_ci_u32_e32 v4, vcc_lo, 0, v4, vcc_lo
	s_waitcnt lgkmcnt(1)
	v_cmp_gt_i32_e32 vcc_lo, v2, v18
	v_cndmask_b32_e64 v5, 0, 1, vcc_lo
	v_add_co_u32 v3, vcc_lo, v3, v6
	v_add_co_ci_u32_e32 v4, vcc_lo, 0, v4, vcc_lo
	v_cmp_gt_i32_e32 vcc_lo, v2, v19
	v_cndmask_b32_e64 v6, 0, 1, vcc_lo
	s_delay_alu instid0(VALU_DEP_4) | instskip(NEXT) | instid1(VALU_DEP_4)
	v_add_co_u32 v3, vcc_lo, v3, v5
	v_add_co_ci_u32_e32 v4, vcc_lo, 0, v4, vcc_lo
	v_cmp_gt_i32_e32 vcc_lo, v2, v20
	v_cndmask_b32_e64 v5, 0, 1, vcc_lo
	s_delay_alu instid0(VALU_DEP_4) | instskip(NEXT) | instid1(VALU_DEP_4)
	v_add_co_u32 v3, vcc_lo, v3, v6
	v_add_co_ci_u32_e32 v4, vcc_lo, 0, v4, vcc_lo
	v_cmp_gt_i32_e32 vcc_lo, v2, v21
	v_cndmask_b32_e64 v6, 0, 1, vcc_lo
	s_delay_alu instid0(VALU_DEP_4) | instskip(NEXT) | instid1(VALU_DEP_4)
	v_add_co_u32 v3, vcc_lo, v3, v5
	v_add_co_ci_u32_e32 v4, vcc_lo, 0, v4, vcc_lo
	s_waitcnt lgkmcnt(0)
	v_cmp_gt_i32_e32 vcc_lo, v2, v22
	v_cndmask_b32_e64 v5, 0, 1, vcc_lo
	v_add_co_u32 v3, vcc_lo, v3, v6
	v_add_co_ci_u32_e32 v4, vcc_lo, 0, v4, vcc_lo
	v_cmp_gt_i32_e32 vcc_lo, v2, v23
	v_cndmask_b32_e64 v6, 0, 1, vcc_lo
	s_delay_alu instid0(VALU_DEP_4) | instskip(NEXT) | instid1(VALU_DEP_4)
	v_add_co_u32 v3, vcc_lo, v3, v5
	v_add_co_ci_u32_e32 v4, vcc_lo, 0, v4, vcc_lo
	v_cmp_gt_i32_e32 vcc_lo, v2, v24
	v_cndmask_b32_e64 v5, 0, 1, vcc_lo
	s_delay_alu instid0(VALU_DEP_4) | instskip(NEXT) | instid1(VALU_DEP_4)
	v_add_co_u32 v3, vcc_lo, v3, v6
	v_add_co_ci_u32_e32 v4, vcc_lo, 0, v4, vcc_lo
	v_cmp_gt_i32_e32 vcc_lo, v2, v25
	v_cndmask_b32_e64 v6, 0, 1, vcc_lo
	s_delay_alu instid0(VALU_DEP_4) | instskip(NEXT) | instid1(VALU_DEP_4)
	v_add_co_u32 v3, vcc_lo, v3, v5
	v_add_co_ci_u32_e32 v4, vcc_lo, 0, v4, vcc_lo
	s_delay_alu instid0(VALU_DEP_2) | instskip(NEXT) | instid1(VALU_DEP_2)
	v_add_co_u32 v3, vcc_lo, v3, v6
	v_add_co_ci_u32_e32 v4, vcc_lo, 0, v4, vcc_lo
	ds_load_b64 v[5:6], v11
	v_lshlrev_b64 v[7:8], 2, v[3:4]
	v_lshlrev_b64 v[2:3], 3, v[3:4]
	s_delay_alu instid0(VALU_DEP_2) | instskip(NEXT) | instid1(VALU_DEP_3)
	v_add_co_u32 v7, vcc_lo, s10, v7
	v_add_co_ci_u32_e32 v8, vcc_lo, s11, v8, vcc_lo
	s_delay_alu instid0(VALU_DEP_3) | instskip(NEXT) | instid1(VALU_DEP_4)
	v_add_co_u32 v2, vcc_lo, s2, v2
	v_add_co_ci_u32_e32 v3, vcc_lo, s3, v3, vcc_lo
	global_store_b32 v[7:8], v9, off
	s_waitcnt lgkmcnt(0)
	global_store_b64 v[2:3], v[5:6], off
	s_branch .LBB218_40
.LBB218_43:                             ;   in Loop: Header=BB218_44 Depth=1
	s_or_b32 exec_lo, exec_lo, s15
	v_add_co_u32 v2, vcc_lo, v2, 8
	v_add_co_ci_u32_e32 v3, vcc_lo, 0, v3, vcc_lo
	s_delay_alu instid0(VALU_DEP_1) | instskip(SKIP_1) | instid1(SALU_CYCLE_1)
	v_cmp_ge_i64_e32 vcc_lo, v[2:3], v[0:1]
	s_or_b32 s13, vcc_lo, s13
	s_and_not1_b32 exec_lo, exec_lo, s13
	s_cbranch_execz .LBB218_38
.LBB218_44:                             ; =>This Loop Header: Depth=1
                                        ;     Child Loop BB218_46 Depth 2
	v_lshlrev_b64 v[6:7], 2, v[2:3]
	v_lshlrev_b64 v[8:9], 3, v[2:3]
	s_mov_b32 s15, 0
	s_delay_alu instid0(VALU_DEP_2) | instskip(NEXT) | instid1(VALU_DEP_3)
	v_add_co_u32 v6, vcc_lo, s4, v6
	v_add_co_ci_u32_e32 v7, vcc_lo, s5, v7, vcc_lo
	s_delay_alu instid0(VALU_DEP_3) | instskip(NEXT) | instid1(VALU_DEP_4)
	v_add_co_u32 v8, vcc_lo, s6, v8
	v_add_co_ci_u32_e32 v9, vcc_lo, s7, v9, vcc_lo
	global_load_b32 v6, v[6:7], off
	global_load_b64 v[15:16], v[8:9], off
	s_waitcnt vmcnt(1)
	v_subrev_nc_u32_e32 v6, s39, v6
	s_waitcnt vmcnt(0)
	v_mul_f32_e64 v7, v16, -s14
	v_mul_f32_e32 v8, s12, v16
	s_delay_alu instid0(VALU_DEP_3) | instskip(NEXT) | instid1(VALU_DEP_3)
	v_lshl_add_u32 v9, v6, 3, v6
	v_fmac_f32_e32 v7, s12, v15
	s_delay_alu instid0(VALU_DEP_2)
	v_dual_fmac_f32 v8, s14, v15 :: v_dual_and_b32 v9, 15, v9
	s_branch .LBB218_46
.LBB218_45:                             ;   in Loop: Header=BB218_46 Depth=2
	s_or_b32 exec_lo, exec_lo, s16
	s_xor_b32 s16, s17, -1
	s_delay_alu instid0(SALU_CYCLE_1) | instskip(NEXT) | instid1(SALU_CYCLE_1)
	s_and_b32 s16, exec_lo, s16
	s_or_b32 s15, s16, s15
	s_delay_alu instid0(SALU_CYCLE_1)
	s_and_not1_b32 exec_lo, exec_lo, s15
	s_cbranch_execz .LBB218_43
.LBB218_46:                             ;   Parent Loop BB218_44 Depth=1
                                        ; =>  This Inner Loop Header: Depth=2
	s_delay_alu instid0(VALU_DEP_1)
	v_lshl_add_u32 v15, v9, 2, v13
	s_mov_b32 s16, exec_lo
                                        ; implicit-def: $sgpr17
	ds_load_b32 v16, v15
	s_waitcnt lgkmcnt(0)
	v_cmpx_ne_u32_e64 v16, v6
	s_xor_b32 s16, exec_lo, s16
	s_cbranch_execz .LBB218_54
; %bb.47:                               ;   in Loop: Header=BB218_46 Depth=2
	s_mov_b32 s18, exec_lo
                                        ; implicit-def: $sgpr17
	v_cmpx_ne_u32_e64 s1, v16
	s_xor_b32 s18, exec_lo, s18
; %bb.48:                               ;   in Loop: Header=BB218_46 Depth=2
	v_add_nc_u32_e32 v9, 1, v9
	s_mov_b32 s17, -1
                                        ; implicit-def: $vgpr15
	s_delay_alu instid0(VALU_DEP_1)
	v_and_b32_e32 v9, 15, v9
; %bb.49:                               ;   in Loop: Header=BB218_46 Depth=2
	s_and_not1_saveexec_b32 s18, s18
	s_cbranch_execz .LBB218_53
; %bb.50:                               ;   in Loop: Header=BB218_46 Depth=2
	v_mov_b32_e32 v16, s1
	s_mov_b32 s19, -1
	s_mov_b32 s20, exec_lo
	ds_cmpstore_rtn_b32 v15, v15, v6, v16
	s_waitcnt lgkmcnt(0)
	v_cmpx_eq_u32_e64 s1, v15
	s_cbranch_execz .LBB218_52
; %bb.51:                               ;   in Loop: Header=BB218_46 Depth=2
	v_lshl_add_u32 v15, v9, 3, v14
	s_xor_b32 s19, exec_lo, -1
	ds_add_f32 v15, v7
	ds_add_f32 v15, v8 offset:4
.LBB218_52:                             ;   in Loop: Header=BB218_46 Depth=2
	s_or_b32 exec_lo, exec_lo, s20
	s_delay_alu instid0(SALU_CYCLE_1) | instskip(SKIP_1) | instid1(SALU_CYCLE_1)
	s_and_not1_b32 s17, s17, exec_lo
	s_and_b32 s19, s19, exec_lo
	s_or_b32 s17, s17, s19
.LBB218_53:                             ;   in Loop: Header=BB218_46 Depth=2
	s_or_b32 exec_lo, exec_lo, s18
	s_delay_alu instid0(SALU_CYCLE_1)
	s_and_b32 s17, s17, exec_lo
.LBB218_54:                             ;   in Loop: Header=BB218_46 Depth=2
	s_and_not1_saveexec_b32 s16, s16
	s_cbranch_execz .LBB218_45
; %bb.55:                               ;   in Loop: Header=BB218_46 Depth=2
	v_lshl_add_u32 v15, v9, 3, v14
	s_and_not1_b32 s17, s17, exec_lo
	ds_add_f32 v15, v7
	ds_add_f32 v15, v8 offset:4
	s_branch .LBB218_45
.LBB218_56:
	s_nop 0
	s_sendmsg sendmsg(MSG_DEALLOC_VGPRS)
	s_endpgm
	.section	.rodata,"a",@progbits
	.p2align	6, 0x0
	.amdhsa_kernel _ZN9rocsparseL23csrgemm_fill_wf_per_rowILj256ELj8ELj16ELj137Eli21rocsparse_complex_numIfEEEvT4_S3_PKS3_S5_NS_24const_host_device_scalarIT5_EEPKT3_S5_PKS7_SB_S5_SD_S8_SB_S5_SD_SB_PS3_PS7_21rocsparse_index_base_SG_SG_SG_bbb
		.amdhsa_group_segment_fixed_size 6144
		.amdhsa_private_segment_fixed_size 0
		.amdhsa_kernarg_size 156
		.amdhsa_user_sgpr_count 15
		.amdhsa_user_sgpr_dispatch_ptr 0
		.amdhsa_user_sgpr_queue_ptr 0
		.amdhsa_user_sgpr_kernarg_segment_ptr 1
		.amdhsa_user_sgpr_dispatch_id 0
		.amdhsa_user_sgpr_private_segment_size 0
		.amdhsa_wavefront_size32 1
		.amdhsa_uses_dynamic_stack 0
		.amdhsa_enable_private_segment 0
		.amdhsa_system_sgpr_workgroup_id_x 1
		.amdhsa_system_sgpr_workgroup_id_y 0
		.amdhsa_system_sgpr_workgroup_id_z 0
		.amdhsa_system_sgpr_workgroup_info 0
		.amdhsa_system_vgpr_workitem_id 0
		.amdhsa_next_free_vgpr 26
		.amdhsa_next_free_sgpr 44
		.amdhsa_reserve_vcc 1
		.amdhsa_float_round_mode_32 0
		.amdhsa_float_round_mode_16_64 0
		.amdhsa_float_denorm_mode_32 3
		.amdhsa_float_denorm_mode_16_64 3
		.amdhsa_dx10_clamp 1
		.amdhsa_ieee_mode 1
		.amdhsa_fp16_overflow 0
		.amdhsa_workgroup_processor_mode 1
		.amdhsa_memory_ordered 1
		.amdhsa_forward_progress 0
		.amdhsa_shared_vgpr_count 0
		.amdhsa_exception_fp_ieee_invalid_op 0
		.amdhsa_exception_fp_denorm_src 0
		.amdhsa_exception_fp_ieee_div_zero 0
		.amdhsa_exception_fp_ieee_overflow 0
		.amdhsa_exception_fp_ieee_underflow 0
		.amdhsa_exception_fp_ieee_inexact 0
		.amdhsa_exception_int_div_zero 0
	.end_amdhsa_kernel
	.section	.text._ZN9rocsparseL23csrgemm_fill_wf_per_rowILj256ELj8ELj16ELj137Eli21rocsparse_complex_numIfEEEvT4_S3_PKS3_S5_NS_24const_host_device_scalarIT5_EEPKT3_S5_PKS7_SB_S5_SD_S8_SB_S5_SD_SB_PS3_PS7_21rocsparse_index_base_SG_SG_SG_bbb,"axG",@progbits,_ZN9rocsparseL23csrgemm_fill_wf_per_rowILj256ELj8ELj16ELj137Eli21rocsparse_complex_numIfEEEvT4_S3_PKS3_S5_NS_24const_host_device_scalarIT5_EEPKT3_S5_PKS7_SB_S5_SD_S8_SB_S5_SD_SB_PS3_PS7_21rocsparse_index_base_SG_SG_SG_bbb,comdat
.Lfunc_end218:
	.size	_ZN9rocsparseL23csrgemm_fill_wf_per_rowILj256ELj8ELj16ELj137Eli21rocsparse_complex_numIfEEEvT4_S3_PKS3_S5_NS_24const_host_device_scalarIT5_EEPKT3_S5_PKS7_SB_S5_SD_S8_SB_S5_SD_SB_PS3_PS7_21rocsparse_index_base_SG_SG_SG_bbb, .Lfunc_end218-_ZN9rocsparseL23csrgemm_fill_wf_per_rowILj256ELj8ELj16ELj137Eli21rocsparse_complex_numIfEEEvT4_S3_PKS3_S5_NS_24const_host_device_scalarIT5_EEPKT3_S5_PKS7_SB_S5_SD_S8_SB_S5_SD_SB_PS3_PS7_21rocsparse_index_base_SG_SG_SG_bbb
                                        ; -- End function
	.section	.AMDGPU.csdata,"",@progbits
; Kernel info:
; codeLenInByte = 2540
; NumSgprs: 46
; NumVgprs: 26
; ScratchSize: 0
; MemoryBound: 0
; FloatMode: 240
; IeeeMode: 1
; LDSByteSize: 6144 bytes/workgroup (compile time only)
; SGPRBlocks: 5
; VGPRBlocks: 3
; NumSGPRsForWavesPerEU: 46
; NumVGPRsForWavesPerEU: 26
; Occupancy: 16
; WaveLimiterHint : 1
; COMPUTE_PGM_RSRC2:SCRATCH_EN: 0
; COMPUTE_PGM_RSRC2:USER_SGPR: 15
; COMPUTE_PGM_RSRC2:TRAP_HANDLER: 0
; COMPUTE_PGM_RSRC2:TGID_X_EN: 1
; COMPUTE_PGM_RSRC2:TGID_Y_EN: 0
; COMPUTE_PGM_RSRC2:TGID_Z_EN: 0
; COMPUTE_PGM_RSRC2:TIDIG_COMP_CNT: 0
	.section	.text._ZN9rocsparseL23csrgemm_fill_wf_per_rowILj256ELj16ELj32ELj137Eli21rocsparse_complex_numIfEEEvT4_S3_PKS3_S5_NS_24const_host_device_scalarIT5_EEPKT3_S5_PKS7_SB_S5_SD_S8_SB_S5_SD_SB_PS3_PS7_21rocsparse_index_base_SG_SG_SG_bbb,"axG",@progbits,_ZN9rocsparseL23csrgemm_fill_wf_per_rowILj256ELj16ELj32ELj137Eli21rocsparse_complex_numIfEEEvT4_S3_PKS3_S5_NS_24const_host_device_scalarIT5_EEPKT3_S5_PKS7_SB_S5_SD_S8_SB_S5_SD_SB_PS3_PS7_21rocsparse_index_base_SG_SG_SG_bbb,comdat
	.globl	_ZN9rocsparseL23csrgemm_fill_wf_per_rowILj256ELj16ELj32ELj137Eli21rocsparse_complex_numIfEEEvT4_S3_PKS3_S5_NS_24const_host_device_scalarIT5_EEPKT3_S5_PKS7_SB_S5_SD_S8_SB_S5_SD_SB_PS3_PS7_21rocsparse_index_base_SG_SG_SG_bbb ; -- Begin function _ZN9rocsparseL23csrgemm_fill_wf_per_rowILj256ELj16ELj32ELj137Eli21rocsparse_complex_numIfEEEvT4_S3_PKS3_S5_NS_24const_host_device_scalarIT5_EEPKT3_S5_PKS7_SB_S5_SD_S8_SB_S5_SD_SB_PS3_PS7_21rocsparse_index_base_SG_SG_SG_bbb
	.p2align	8
	.type	_ZN9rocsparseL23csrgemm_fill_wf_per_rowILj256ELj16ELj32ELj137Eli21rocsparse_complex_numIfEEEvT4_S3_PKS3_S5_NS_24const_host_device_scalarIT5_EEPKT3_S5_PKS7_SB_S5_SD_S8_SB_S5_SD_SB_PS3_PS7_21rocsparse_index_base_SG_SG_SG_bbb,@function
_ZN9rocsparseL23csrgemm_fill_wf_per_rowILj256ELj16ELj32ELj137Eli21rocsparse_complex_numIfEEEvT4_S3_PKS3_S5_NS_24const_host_device_scalarIT5_EEPKT3_S5_PKS7_SB_S5_SD_S8_SB_S5_SD_SB_PS3_PS7_21rocsparse_index_base_SG_SG_SG_bbb: ; @_ZN9rocsparseL23csrgemm_fill_wf_per_rowILj256ELj16ELj32ELj137Eli21rocsparse_complex_numIfEEEvT4_S3_PKS3_S5_NS_24const_host_device_scalarIT5_EEPKT3_S5_PKS7_SB_S5_SD_S8_SB_S5_SD_SB_PS3_PS7_21rocsparse_index_base_SG_SG_SG_bbb
; %bb.0:
	s_clause 0x6
	s_load_b32 s14, s[0:1], 0x98
	s_load_b256 s[4:11], s[0:1], 0x60
	s_load_b256 s[16:23], s[0:1], 0x40
	s_load_b128 s[40:43], s[0:1], 0x8
	s_load_b256 s[24:31], s[0:1], 0x20
	s_load_b64 s[2:3], s[0:1], 0x80
	s_load_b128 s[36:39], s[0:1], 0x88
	s_mov_b32 s13, 0
	s_mov_b32 s33, 0
	s_waitcnt lgkmcnt(0)
	s_bitcmp1_b32 s14, 0
	s_cselect_b32 s35, -1, 0
	s_bitcmp1_b32 s14, 16
	s_cselect_b32 s12, -1, 0
	s_delay_alu instid0(SALU_CYCLE_1) | instskip(SKIP_2) | instid1(VALU_DEP_1)
	s_xor_b32 s34, s12, -1
	s_bitcmp0_b32 s14, 0
	v_cndmask_b32_e64 v1, 0, 1, s34
	v_cmp_ne_u32_e32 vcc_lo, 1, v1
	s_cbranch_scc1 .LBB219_5
; %bb.1:
	s_load_b64 s[12:13], s[0:1], 0x18
	s_and_b32 vcc_lo, exec_lo, vcc_lo
	s_waitcnt lgkmcnt(0)
	s_mov_b32 s33, s12
	s_cbranch_vccnz .LBB219_3
; %bb.2:
	s_load_b32 s33, s[12:13], 0x0
.LBB219_3:
	s_and_not1_b32 vcc_lo, exec_lo, s34
	s_cbranch_vccnz .LBB219_5
; %bb.4:
	s_load_b32 s13, s[12:13], 0x4
.LBB219_5:
	s_bitcmp1_b32 s14, 8
	s_cselect_b32 s34, -1, 0
	s_bfe_u32 s12, s14, 0x10008
	s_mov_b32 s14, 0
	s_cmp_eq_u32 s12, 0
	s_mov_b32 s12, 0
	s_cbranch_scc1 .LBB219_11
; %bb.6:
	v_cmp_ne_u32_e32 vcc_lo, 1, v1
	s_mov_b32 s12, s20
	s_cbranch_vccnz .LBB219_8
; %bb.7:
	s_load_b32 s12, s[20:21], 0x0
.LBB219_8:
	v_cmp_ne_u32_e32 vcc_lo, 1, v1
	s_cbranch_vccnz .LBB219_10
; %bb.9:
	s_load_b32 s21, s[20:21], 0x4
.LBB219_10:
	s_waitcnt lgkmcnt(0)
	s_mov_b32 s14, s21
.LBB219_11:
	s_load_b64 s[0:1], s[0:1], 0x0
	v_and_b32_e32 v15, 15, v0
	v_lshrrev_b32_e32 v2, 4, v0
	v_mov_b32_e32 v0, 0
	s_mov_b32 s20, 0
	s_delay_alu instid0(VALU_DEP_3) | instskip(SKIP_2) | instid1(VALU_DEP_3)
	v_lshlrev_b32_e32 v4, 3, v15
	v_or_b32_e32 v12, -16, v15
	v_lshlrev_b32_e32 v3, 2, v15
	v_lshl_or_b32 v11, v2, 8, v4
	s_delay_alu instid0(VALU_DEP_3) | instskip(NEXT) | instid1(VALU_DEP_2)
	v_dual_mov_b32 v6, v12 :: v_dual_lshlrev_b32 v1, 7, v2
	v_mov_b32_e32 v4, v11
	s_delay_alu instid0(VALU_DEP_2) | instskip(SKIP_3) | instid1(VALU_DEP_3)
	v_or3_b32 v10, v1, v3, 0x1000
	v_mov_b32_e32 v1, v0
	s_waitcnt lgkmcnt(0)
	v_mov_b32_e32 v5, s1
	v_mov_b32_e32 v3, v10
.LBB219_12:                             ; =>This Inner Loop Header: Depth=1
	v_add_co_u32 v6, s21, v6, 16
	s_delay_alu instid0(VALU_DEP_1)
	s_xor_b32 s21, s21, -1
	ds_store_b32 v3, v5
	ds_store_b64 v4, v[0:1]
	v_add_nc_u32_e32 v4, 0x80, v4
	v_add_nc_u32_e32 v3, 64, v3
	s_and_b32 s21, exec_lo, s21
	s_delay_alu instid0(SALU_CYCLE_1) | instskip(NEXT) | instid1(SALU_CYCLE_1)
	s_or_b32 s20, s21, s20
	s_and_not1_b32 exec_lo, exec_lo, s20
	s_cbranch_execnz .LBB219_12
; %bb.13:
	s_or_b32 exec_lo, exec_lo, s20
	s_lshl_b32 s15, s15, 4
	s_waitcnt lgkmcnt(0)
	buffer_gl0_inv
	v_and_or_b32 v0, 0xffffff0, s15, v2
	s_delay_alu instid0(VALU_DEP_1)
	v_cmp_gt_i32_e32 vcc_lo, s0, v0
	s_and_saveexec_b32 s0, vcc_lo
	s_cbranch_execz .LBB219_56
; %bb.14:
	s_cmp_eq_u64 s[42:43], 0
	s_cbranch_scc1 .LBB219_16
; %bb.15:
	s_load_b32 s0, s[40:41], 0x0
	s_waitcnt lgkmcnt(0)
	v_add_nc_u32_e32 v0, s0, v0
	s_delay_alu instid0(VALU_DEP_1) | instskip(NEXT) | instid1(VALU_DEP_1)
	v_ashrrev_i32_e32 v1, 31, v0
	v_lshlrev_b64 v[0:1], 2, v[0:1]
	s_delay_alu instid0(VALU_DEP_1) | instskip(NEXT) | instid1(VALU_DEP_2)
	v_add_co_u32 v0, vcc_lo, s42, v0
	v_add_co_ci_u32_e32 v1, vcc_lo, s43, v1, vcc_lo
	global_load_b32 v0, v[0:1], off
.LBB219_16:
	s_waitcnt vmcnt(0)
	v_ashrrev_i32_e32 v1, 31, v0
	v_lshl_or_b32 v13, v2, 7, 0x1000
	v_lshlrev_b32_e32 v14, 8, v2
	s_and_not1_b32 vcc_lo, exec_lo, s35
	s_delay_alu instid0(VALU_DEP_3)
	v_lshlrev_b64 v[4:5], 3, v[0:1]
	s_cbranch_vccnz .LBB219_36
; %bb.17:
	s_delay_alu instid0(VALU_DEP_1) | instskip(NEXT) | instid1(VALU_DEP_2)
	v_add_co_u32 v0, vcc_lo, s24, v4
	v_add_co_ci_u32_e32 v1, vcc_lo, s25, v5, vcc_lo
	v_sub_co_u32 v8, s0, v15, s36
	s_delay_alu instid0(VALU_DEP_1)
	v_sub_co_ci_u32_e64 v9, null, 0, 0, s0
	global_load_b128 v[0:3], v[0:1], off
	s_mov_b32 s15, 0
	s_mov_b32 s0, exec_lo
	s_waitcnt vmcnt(0)
	v_sub_co_u32 v6, vcc_lo, v2, s36
	v_subrev_co_ci_u32_e32 v7, vcc_lo, 0, v3, vcc_lo
	v_add_co_u32 v8, vcc_lo, v0, v8
	v_add_co_ci_u32_e32 v9, vcc_lo, v1, v9, vcc_lo
	s_delay_alu instid0(VALU_DEP_1)
	v_cmpx_lt_i64_e64 v[8:9], v[6:7]
	s_cbranch_execz .LBB219_35
; %bb.18:
	s_mov_b32 s20, s37
	s_branch .LBB219_20
.LBB219_19:                             ;   in Loop: Header=BB219_20 Depth=1
	s_or_b32 exec_lo, exec_lo, s21
	v_add_co_u32 v8, vcc_lo, v8, 16
	v_add_co_ci_u32_e32 v9, vcc_lo, 0, v9, vcc_lo
	s_delay_alu instid0(VALU_DEP_1) | instskip(SKIP_1) | instid1(SALU_CYCLE_1)
	v_cmp_ge_i64_e32 vcc_lo, v[8:9], v[6:7]
	s_or_b32 s15, vcc_lo, s15
	s_and_not1_b32 exec_lo, exec_lo, s15
	s_cbranch_execz .LBB219_35
.LBB219_20:                             ; =>This Loop Header: Depth=1
                                        ;     Child Loop BB219_23 Depth 2
                                        ;       Child Loop BB219_25 Depth 3
	v_lshlrev_b64 v[0:1], 2, v[8:9]
	s_mov_b32 s21, exec_lo
	s_delay_alu instid0(VALU_DEP_1) | instskip(NEXT) | instid1(VALU_DEP_2)
	v_add_co_u32 v0, vcc_lo, s26, v0
	v_add_co_ci_u32_e32 v1, vcc_lo, s27, v1, vcc_lo
	global_load_b32 v0, v[0:1], off
	s_waitcnt vmcnt(0)
	v_subrev_nc_u32_e32 v0, s36, v0
	s_delay_alu instid0(VALU_DEP_1) | instskip(NEXT) | instid1(VALU_DEP_1)
	v_ashrrev_i32_e32 v1, 31, v0
	v_lshlrev_b64 v[0:1], 3, v[0:1]
	s_delay_alu instid0(VALU_DEP_1) | instskip(NEXT) | instid1(VALU_DEP_2)
	v_add_co_u32 v0, vcc_lo, s30, v0
	v_add_co_ci_u32_e32 v1, vcc_lo, s31, v1, vcc_lo
	global_load_b128 v[0:3], v[0:1], off
	s_waitcnt vmcnt(0)
	v_cmpx_lt_i64_e64 v[0:1], v[2:3]
	s_cbranch_execz .LBB219_19
; %bb.21:                               ;   in Loop: Header=BB219_20 Depth=1
	v_lshlrev_b64 v[16:17], 3, v[8:9]
	s_mov_b32 s24, 0
	s_delay_alu instid0(VALU_DEP_1) | instskip(NEXT) | instid1(VALU_DEP_2)
	v_add_co_u32 v16, vcc_lo, s28, v16
	v_add_co_ci_u32_e32 v17, vcc_lo, s29, v17, vcc_lo
	v_sub_co_u32 v2, vcc_lo, v2, s20
	v_subrev_co_ci_u32_e32 v3, vcc_lo, 0, v3, vcc_lo
	global_load_b64 v[18:19], v[16:17], off
	v_sub_co_u32 v0, vcc_lo, v0, s20
	v_subrev_co_ci_u32_e32 v1, vcc_lo, 0, v1, vcc_lo
	s_waitcnt vmcnt(0)
	v_mul_f32_e64 v16, v19, -s13
	s_delay_alu instid0(VALU_DEP_1) | instskip(NEXT) | instid1(VALU_DEP_1)
	v_dual_mul_f32 v17, s33, v19 :: v_dual_fmac_f32 v16, s33, v18
	v_fmac_f32_e32 v17, s13, v18
	s_branch .LBB219_23
.LBB219_22:                             ;   in Loop: Header=BB219_23 Depth=2
	s_or_b32 exec_lo, exec_lo, s25
	v_add_co_u32 v0, vcc_lo, v0, 1
	v_add_co_ci_u32_e32 v1, vcc_lo, 0, v1, vcc_lo
	s_delay_alu instid0(VALU_DEP_1) | instskip(SKIP_1) | instid1(SALU_CYCLE_1)
	v_cmp_ge_i64_e32 vcc_lo, v[0:1], v[2:3]
	s_or_b32 s24, vcc_lo, s24
	s_and_not1_b32 exec_lo, exec_lo, s24
	s_cbranch_execz .LBB219_19
.LBB219_23:                             ;   Parent Loop BB219_20 Depth=1
                                        ; =>  This Loop Header: Depth=2
                                        ;       Child Loop BB219_25 Depth 3
	v_lshlrev_b64 v[18:19], 2, v[0:1]
	v_lshlrev_b64 v[20:21], 3, v[0:1]
	s_mov_b32 s25, 0
	s_delay_alu instid0(VALU_DEP_2) | instskip(NEXT) | instid1(VALU_DEP_3)
	v_add_co_u32 v18, vcc_lo, s16, v18
	v_add_co_ci_u32_e32 v19, vcc_lo, s17, v19, vcc_lo
	s_delay_alu instid0(VALU_DEP_3) | instskip(NEXT) | instid1(VALU_DEP_4)
	v_add_co_u32 v20, vcc_lo, s18, v20
	v_add_co_ci_u32_e32 v21, vcc_lo, s19, v21, vcc_lo
	global_load_b32 v18, v[18:19], off
	global_load_b64 v[21:22], v[20:21], off
	s_waitcnt vmcnt(1)
	v_subrev_nc_u32_e32 v18, s37, v18
	s_waitcnt vmcnt(0)
	v_mul_f32_e64 v19, v22, -v17
	v_mul_f32_e32 v20, v16, v22
	s_delay_alu instid0(VALU_DEP_3) | instskip(NEXT) | instid1(VALU_DEP_3)
	v_lshl_add_u32 v22, v18, 3, v18
	v_fmac_f32_e32 v19, v16, v21
	s_delay_alu instid0(VALU_DEP_2)
	v_dual_fmac_f32 v20, v17, v21 :: v_dual_and_b32 v21, 31, v22
	s_branch .LBB219_25
.LBB219_24:                             ;   in Loop: Header=BB219_25 Depth=3
	s_or_b32 exec_lo, exec_lo, s35
	s_xor_b32 s35, s40, -1
	s_delay_alu instid0(SALU_CYCLE_1) | instskip(NEXT) | instid1(SALU_CYCLE_1)
	s_and_b32 s35, exec_lo, s35
	s_or_b32 s25, s35, s25
	s_delay_alu instid0(SALU_CYCLE_1)
	s_and_not1_b32 exec_lo, exec_lo, s25
	s_cbranch_execz .LBB219_22
.LBB219_25:                             ;   Parent Loop BB219_20 Depth=1
                                        ;     Parent Loop BB219_23 Depth=2
                                        ; =>    This Inner Loop Header: Depth=3
	s_delay_alu instid0(VALU_DEP_1)
	v_lshl_add_u32 v22, v21, 2, v13
	s_mov_b32 s35, exec_lo
                                        ; implicit-def: $sgpr40
	ds_load_b32 v23, v22
	s_waitcnt lgkmcnt(0)
	v_cmpx_ne_u32_e64 v23, v18
	s_xor_b32 s35, exec_lo, s35
	s_cbranch_execz .LBB219_33
; %bb.26:                               ;   in Loop: Header=BB219_25 Depth=3
	s_mov_b32 s41, exec_lo
                                        ; implicit-def: $sgpr40
	v_cmpx_ne_u32_e64 s1, v23
	s_xor_b32 s41, exec_lo, s41
; %bb.27:                               ;   in Loop: Header=BB219_25 Depth=3
	v_add_nc_u32_e32 v21, 1, v21
	s_mov_b32 s40, -1
                                        ; implicit-def: $vgpr22
	s_delay_alu instid0(VALU_DEP_1)
	v_and_b32_e32 v21, 31, v21
; %bb.28:                               ;   in Loop: Header=BB219_25 Depth=3
	s_and_not1_saveexec_b32 s41, s41
	s_cbranch_execz .LBB219_32
; %bb.29:                               ;   in Loop: Header=BB219_25 Depth=3
	v_mov_b32_e32 v23, s1
	s_mov_b32 s42, -1
	s_mov_b32 s43, exec_lo
	ds_cmpstore_rtn_b32 v22, v22, v18, v23
	s_waitcnt lgkmcnt(0)
	v_cmpx_eq_u32_e64 s1, v22
	s_cbranch_execz .LBB219_31
; %bb.30:                               ;   in Loop: Header=BB219_25 Depth=3
	v_lshl_add_u32 v22, v21, 3, v14
	s_xor_b32 s42, exec_lo, -1
	ds_add_f32 v22, v19
	ds_add_f32 v22, v20 offset:4
.LBB219_31:                             ;   in Loop: Header=BB219_25 Depth=3
	s_or_b32 exec_lo, exec_lo, s43
	s_delay_alu instid0(SALU_CYCLE_1) | instskip(SKIP_1) | instid1(SALU_CYCLE_1)
	s_and_not1_b32 s40, s40, exec_lo
	s_and_b32 s42, s42, exec_lo
	s_or_b32 s40, s40, s42
.LBB219_32:                             ;   in Loop: Header=BB219_25 Depth=3
	s_or_b32 exec_lo, exec_lo, s41
	s_delay_alu instid0(SALU_CYCLE_1)
	s_and_b32 s40, s40, exec_lo
.LBB219_33:                             ;   in Loop: Header=BB219_25 Depth=3
	s_and_not1_saveexec_b32 s35, s35
	s_cbranch_execz .LBB219_24
; %bb.34:                               ;   in Loop: Header=BB219_25 Depth=3
	v_lshl_add_u32 v22, v21, 3, v14
	s_and_not1_b32 s40, s40, exec_lo
	ds_add_f32 v22, v19
	ds_add_f32 v22, v20 offset:4
	s_branch .LBB219_24
.LBB219_35:
	s_or_b32 exec_lo, exec_lo, s0
.LBB219_36:
	s_delay_alu instid0(SALU_CYCLE_1)
	s_and_not1_b32 vcc_lo, exec_lo, s34
	s_cbranch_vccnz .LBB219_39
; %bb.37:
	s_delay_alu instid0(VALU_DEP_1) | instskip(NEXT) | instid1(VALU_DEP_2)
	v_add_co_u32 v0, vcc_lo, s22, v4
	v_add_co_ci_u32_e32 v1, vcc_lo, s23, v5, vcc_lo
	v_sub_co_u32 v2, s0, v15, s39
	s_delay_alu instid0(VALU_DEP_1)
	v_sub_co_ci_u32_e64 v3, null, 0, 0, s0
	global_load_b128 v[6:9], v[0:1], off
	s_mov_b32 s13, 0
	s_mov_b32 s0, exec_lo
	s_waitcnt vmcnt(0)
	v_sub_co_u32 v0, vcc_lo, v8, s39
	v_subrev_co_ci_u32_e32 v1, vcc_lo, 0, v9, vcc_lo
	v_add_co_u32 v2, vcc_lo, v6, v2
	v_add_co_ci_u32_e32 v3, vcc_lo, v7, v3, vcc_lo
	s_delay_alu instid0(VALU_DEP_1)
	v_cmpx_lt_i64_e64 v[2:3], v[0:1]
	s_cbranch_execnz .LBB219_44
.LBB219_38:
	s_or_b32 exec_lo, exec_lo, s0
.LBB219_39:
	s_delay_alu instid0(VALU_DEP_1) | instskip(NEXT) | instid1(VALU_DEP_2)
	v_add_co_u32 v0, vcc_lo, s8, v4
	v_add_co_ci_u32_e32 v1, vcc_lo, s9, v5, vcc_lo
	s_waitcnt lgkmcnt(0)
	buffer_gl0_inv
	s_mov_b32 s0, 0
	global_load_b64 v[0:1], v[0:1], off
	s_waitcnt vmcnt(0)
	v_sub_co_u32 v0, vcc_lo, v0, s38
	v_subrev_co_ci_u32_e32 v1, vcc_lo, 0, v1, vcc_lo
	s_branch .LBB219_41
.LBB219_40:                             ;   in Loop: Header=BB219_41 Depth=1
	s_or_b32 exec_lo, exec_lo, s4
	v_add_co_u32 v12, s4, v12, 16
	s_delay_alu instid0(VALU_DEP_1) | instskip(SKIP_3) | instid1(SALU_CYCLE_1)
	s_xor_b32 s4, s4, -1
	v_add_nc_u32_e32 v11, 0x80, v11
	v_add_nc_u32_e32 v10, 64, v10
	s_and_b32 s4, exec_lo, s4
	s_or_b32 s0, s4, s0
	s_delay_alu instid0(SALU_CYCLE_1)
	s_and_not1_b32 exec_lo, exec_lo, s0
	s_cbranch_execz .LBB219_56
.LBB219_41:                             ; =>This Inner Loop Header: Depth=1
	ds_load_b32 v2, v10
	s_mov_b32 s4, exec_lo
	s_waitcnt lgkmcnt(0)
	v_cmpx_gt_i32_e64 s1, v2
	s_cbranch_execz .LBB219_40
; %bb.42:                               ;   in Loop: Header=BB219_41 Depth=1
	ds_load_b128 v[3:6], v13
	ds_load_b128 v[14:17], v13 offset:16
	ds_load_b128 v[18:21], v13 offset:32
	;; [unrolled: 1-line block ×4, first 2 shown]
	s_waitcnt lgkmcnt(4)
	v_cmp_gt_i32_e32 vcc_lo, v2, v3
	v_cndmask_b32_e64 v3, 0, 1, vcc_lo
	v_cmp_gt_i32_e32 vcc_lo, v2, v4
	v_cndmask_b32_e64 v4, 0, 1, vcc_lo
	s_delay_alu instid0(VALU_DEP_3) | instskip(SKIP_3) | instid1(VALU_DEP_4)
	v_add_co_u32 v3, vcc_lo, v0, v3
	v_add_co_ci_u32_e32 v7, vcc_lo, 0, v1, vcc_lo
	v_cmp_gt_i32_e32 vcc_lo, v2, v5
	v_cndmask_b32_e64 v5, 0, 1, vcc_lo
	v_add_co_u32 v3, vcc_lo, v3, v4
	s_delay_alu instid0(VALU_DEP_4) | instskip(SKIP_2) | instid1(VALU_DEP_4)
	v_add_co_ci_u32_e32 v4, vcc_lo, 0, v7, vcc_lo
	v_cmp_gt_i32_e32 vcc_lo, v2, v6
	v_cndmask_b32_e64 v6, 0, 1, vcc_lo
	v_add_co_u32 v3, vcc_lo, v3, v5
	s_delay_alu instid0(VALU_DEP_4)
	v_add_co_ci_u32_e32 v4, vcc_lo, 0, v4, vcc_lo
	s_waitcnt lgkmcnt(3)
	v_cmp_gt_i32_e32 vcc_lo, v2, v14
	v_cndmask_b32_e64 v5, 0, 1, vcc_lo
	v_add_co_u32 v3, vcc_lo, v3, v6
	v_add_co_ci_u32_e32 v4, vcc_lo, 0, v4, vcc_lo
	v_cmp_gt_i32_e32 vcc_lo, v2, v15
	v_cndmask_b32_e64 v6, 0, 1, vcc_lo
	s_delay_alu instid0(VALU_DEP_4) | instskip(NEXT) | instid1(VALU_DEP_4)
	v_add_co_u32 v3, vcc_lo, v3, v5
	v_add_co_ci_u32_e32 v4, vcc_lo, 0, v4, vcc_lo
	v_cmp_gt_i32_e32 vcc_lo, v2, v16
	v_cndmask_b32_e64 v5, 0, 1, vcc_lo
	s_delay_alu instid0(VALU_DEP_4) | instskip(NEXT) | instid1(VALU_DEP_4)
	;; [unrolled: 5-line block ×3, first 2 shown]
	v_add_co_u32 v3, vcc_lo, v3, v5
	v_add_co_ci_u32_e32 v4, vcc_lo, 0, v4, vcc_lo
	s_waitcnt lgkmcnt(2)
	v_cmp_gt_i32_e32 vcc_lo, v2, v18
	v_cndmask_b32_e64 v5, 0, 1, vcc_lo
	v_add_co_u32 v3, vcc_lo, v3, v6
	v_add_co_ci_u32_e32 v4, vcc_lo, 0, v4, vcc_lo
	v_cmp_gt_i32_e32 vcc_lo, v2, v19
	v_cndmask_b32_e64 v6, 0, 1, vcc_lo
	s_delay_alu instid0(VALU_DEP_4) | instskip(NEXT) | instid1(VALU_DEP_4)
	v_add_co_u32 v3, vcc_lo, v3, v5
	v_add_co_ci_u32_e32 v4, vcc_lo, 0, v4, vcc_lo
	v_cmp_gt_i32_e32 vcc_lo, v2, v20
	v_cndmask_b32_e64 v5, 0, 1, vcc_lo
	s_delay_alu instid0(VALU_DEP_4) | instskip(NEXT) | instid1(VALU_DEP_4)
	v_add_co_u32 v3, vcc_lo, v3, v6
	v_add_co_ci_u32_e32 v4, vcc_lo, 0, v4, vcc_lo
	v_cmp_gt_i32_e32 vcc_lo, v2, v21
	v_cndmask_b32_e64 v6, 0, 1, vcc_lo
	s_delay_alu instid0(VALU_DEP_4) | instskip(NEXT) | instid1(VALU_DEP_4)
	v_add_co_u32 v3, vcc_lo, v3, v5
	v_add_co_ci_u32_e32 v4, vcc_lo, 0, v4, vcc_lo
	s_waitcnt lgkmcnt(1)
	v_cmp_gt_i32_e32 vcc_lo, v2, v22
	v_cndmask_b32_e64 v5, 0, 1, vcc_lo
	v_add_co_u32 v3, vcc_lo, v3, v6
	v_add_co_ci_u32_e32 v4, vcc_lo, 0, v4, vcc_lo
	v_cmp_gt_i32_e32 vcc_lo, v2, v23
	v_cndmask_b32_e64 v6, 0, 1, vcc_lo
	s_delay_alu instid0(VALU_DEP_4) | instskip(NEXT) | instid1(VALU_DEP_4)
	v_add_co_u32 v3, vcc_lo, v3, v5
	v_add_co_ci_u32_e32 v4, vcc_lo, 0, v4, vcc_lo
	v_cmp_gt_i32_e32 vcc_lo, v2, v24
	v_cndmask_b32_e64 v5, 0, 1, vcc_lo
	s_delay_alu instid0(VALU_DEP_4) | instskip(NEXT) | instid1(VALU_DEP_4)
	v_add_co_u32 v3, vcc_lo, v3, v6
	v_add_co_ci_u32_e32 v4, vcc_lo, 0, v4, vcc_lo
	s_delay_alu instid0(VALU_DEP_2) | instskip(NEXT) | instid1(VALU_DEP_2)
	v_add_co_u32 v7, vcc_lo, v3, v5
	v_add_co_ci_u32_e32 v8, vcc_lo, 0, v4, vcc_lo
	ds_load_b128 v[3:6], v13 offset:80
	v_cmp_gt_i32_e32 vcc_lo, v2, v25
	v_cndmask_b32_e64 v9, 0, 1, vcc_lo
	s_waitcnt lgkmcnt(1)
	v_cmp_gt_i32_e32 vcc_lo, v2, v26
	v_cndmask_b32_e64 v14, 0, 1, vcc_lo
	s_delay_alu instid0(VALU_DEP_3) | instskip(SKIP_3) | instid1(VALU_DEP_4)
	v_add_co_u32 v7, vcc_lo, v7, v9
	v_add_co_ci_u32_e32 v8, vcc_lo, 0, v8, vcc_lo
	v_cmp_gt_i32_e32 vcc_lo, v2, v27
	v_cndmask_b32_e64 v9, 0, 1, vcc_lo
	v_add_co_u32 v7, vcc_lo, v7, v14
	s_delay_alu instid0(VALU_DEP_4) | instskip(SKIP_2) | instid1(VALU_DEP_4)
	v_add_co_ci_u32_e32 v8, vcc_lo, 0, v8, vcc_lo
	v_cmp_gt_i32_e32 vcc_lo, v2, v28
	v_cndmask_b32_e64 v14, 0, 1, vcc_lo
	v_add_co_u32 v7, vcc_lo, v7, v9
	s_delay_alu instid0(VALU_DEP_4) | instskip(SKIP_2) | instid1(VALU_DEP_4)
	v_add_co_ci_u32_e32 v8, vcc_lo, 0, v8, vcc_lo
	v_cmp_gt_i32_e32 vcc_lo, v2, v29
	v_cndmask_b32_e64 v9, 0, 1, vcc_lo
	v_add_co_u32 v7, vcc_lo, v7, v14
	s_delay_alu instid0(VALU_DEP_4)
	v_add_co_ci_u32_e32 v8, vcc_lo, 0, v8, vcc_lo
	ds_load_b128 v[14:17], v13 offset:96
	v_add_co_u32 v7, vcc_lo, v7, v9
	v_add_co_ci_u32_e32 v8, vcc_lo, 0, v8, vcc_lo
	s_waitcnt lgkmcnt(1)
	v_cmp_gt_i32_e32 vcc_lo, v2, v3
	v_cndmask_b32_e64 v3, 0, 1, vcc_lo
	v_cmp_gt_i32_e32 vcc_lo, v2, v4
	v_cndmask_b32_e64 v4, 0, 1, vcc_lo
	s_delay_alu instid0(VALU_DEP_3) | instskip(SKIP_3) | instid1(VALU_DEP_4)
	v_add_co_u32 v3, vcc_lo, v7, v3
	v_add_co_ci_u32_e32 v7, vcc_lo, 0, v8, vcc_lo
	v_cmp_gt_i32_e32 vcc_lo, v2, v5
	v_cndmask_b32_e64 v5, 0, 1, vcc_lo
	v_add_co_u32 v3, vcc_lo, v3, v4
	s_delay_alu instid0(VALU_DEP_4) | instskip(NEXT) | instid1(VALU_DEP_2)
	v_add_co_ci_u32_e32 v4, vcc_lo, 0, v7, vcc_lo
	v_add_co_u32 v7, vcc_lo, v3, v5
	s_delay_alu instid0(VALU_DEP_2)
	v_add_co_ci_u32_e32 v8, vcc_lo, 0, v4, vcc_lo
	v_cmp_gt_i32_e32 vcc_lo, v2, v6
	ds_load_b128 v[3:6], v13 offset:112
	v_cndmask_b32_e64 v9, 0, 1, vcc_lo
	s_waitcnt lgkmcnt(1)
	v_cmp_gt_i32_e32 vcc_lo, v2, v14
	v_cndmask_b32_e64 v14, 0, 1, vcc_lo
	s_delay_alu instid0(VALU_DEP_3) | instskip(SKIP_3) | instid1(VALU_DEP_4)
	v_add_co_u32 v7, vcc_lo, v7, v9
	v_add_co_ci_u32_e32 v8, vcc_lo, 0, v8, vcc_lo
	v_cmp_gt_i32_e32 vcc_lo, v2, v15
	v_cndmask_b32_e64 v9, 0, 1, vcc_lo
	v_add_co_u32 v7, vcc_lo, v7, v14
	s_delay_alu instid0(VALU_DEP_4) | instskip(SKIP_2) | instid1(VALU_DEP_4)
	v_add_co_ci_u32_e32 v8, vcc_lo, 0, v8, vcc_lo
	v_cmp_gt_i32_e32 vcc_lo, v2, v16
	v_cndmask_b32_e64 v14, 0, 1, vcc_lo
	v_add_co_u32 v7, vcc_lo, v7, v9
	s_delay_alu instid0(VALU_DEP_4) | instskip(SKIP_2) | instid1(VALU_DEP_4)
	v_add_co_ci_u32_e32 v8, vcc_lo, 0, v8, vcc_lo
	v_cmp_gt_i32_e32 vcc_lo, v2, v17
	v_cndmask_b32_e64 v9, 0, 1, vcc_lo
	v_add_co_u32 v7, vcc_lo, v7, v14
	s_delay_alu instid0(VALU_DEP_4)
	v_add_co_ci_u32_e32 v8, vcc_lo, 0, v8, vcc_lo
	s_waitcnt lgkmcnt(0)
	v_cmp_gt_i32_e32 vcc_lo, v2, v3
	v_cndmask_b32_e64 v3, 0, 1, vcc_lo
	v_add_co_u32 v7, vcc_lo, v7, v9
	v_add_co_ci_u32_e32 v8, vcc_lo, 0, v8, vcc_lo
	v_cmp_gt_i32_e32 vcc_lo, v2, v4
	v_add_nc_u32_e32 v9, s38, v2
	v_cndmask_b32_e64 v4, 0, 1, vcc_lo
	v_add_co_u32 v3, vcc_lo, v7, v3
	v_add_co_ci_u32_e32 v7, vcc_lo, 0, v8, vcc_lo
	v_cmp_gt_i32_e32 vcc_lo, v2, v5
	v_cndmask_b32_e64 v5, 0, 1, vcc_lo
	s_delay_alu instid0(VALU_DEP_4) | instskip(NEXT) | instid1(VALU_DEP_4)
	v_add_co_u32 v3, vcc_lo, v3, v4
	v_add_co_ci_u32_e32 v4, vcc_lo, 0, v7, vcc_lo
	v_cmp_gt_i32_e32 vcc_lo, v2, v6
	v_cndmask_b32_e64 v6, 0, 1, vcc_lo
	s_delay_alu instid0(VALU_DEP_4) | instskip(NEXT) | instid1(VALU_DEP_4)
	v_add_co_u32 v3, vcc_lo, v3, v5
	v_add_co_ci_u32_e32 v4, vcc_lo, 0, v4, vcc_lo
	s_delay_alu instid0(VALU_DEP_2) | instskip(NEXT) | instid1(VALU_DEP_2)
	v_add_co_u32 v3, vcc_lo, v3, v6
	v_add_co_ci_u32_e32 v4, vcc_lo, 0, v4, vcc_lo
	ds_load_b64 v[5:6], v11
	v_lshlrev_b64 v[7:8], 2, v[3:4]
	v_lshlrev_b64 v[2:3], 3, v[3:4]
	s_delay_alu instid0(VALU_DEP_2) | instskip(NEXT) | instid1(VALU_DEP_3)
	v_add_co_u32 v7, vcc_lo, s10, v7
	v_add_co_ci_u32_e32 v8, vcc_lo, s11, v8, vcc_lo
	s_delay_alu instid0(VALU_DEP_3) | instskip(NEXT) | instid1(VALU_DEP_4)
	v_add_co_u32 v2, vcc_lo, s2, v2
	v_add_co_ci_u32_e32 v3, vcc_lo, s3, v3, vcc_lo
	global_store_b32 v[7:8], v9, off
	s_waitcnt lgkmcnt(0)
	global_store_b64 v[2:3], v[5:6], off
	s_branch .LBB219_40
.LBB219_43:                             ;   in Loop: Header=BB219_44 Depth=1
	s_or_b32 exec_lo, exec_lo, s15
	v_add_co_u32 v2, vcc_lo, v2, 16
	v_add_co_ci_u32_e32 v3, vcc_lo, 0, v3, vcc_lo
	s_delay_alu instid0(VALU_DEP_1) | instskip(SKIP_1) | instid1(SALU_CYCLE_1)
	v_cmp_ge_i64_e32 vcc_lo, v[2:3], v[0:1]
	s_or_b32 s13, vcc_lo, s13
	s_and_not1_b32 exec_lo, exec_lo, s13
	s_cbranch_execz .LBB219_38
.LBB219_44:                             ; =>This Loop Header: Depth=1
                                        ;     Child Loop BB219_46 Depth 2
	v_lshlrev_b64 v[6:7], 2, v[2:3]
	v_lshlrev_b64 v[8:9], 3, v[2:3]
	s_mov_b32 s15, 0
	s_delay_alu instid0(VALU_DEP_2) | instskip(NEXT) | instid1(VALU_DEP_3)
	v_add_co_u32 v6, vcc_lo, s4, v6
	v_add_co_ci_u32_e32 v7, vcc_lo, s5, v7, vcc_lo
	s_delay_alu instid0(VALU_DEP_3) | instskip(NEXT) | instid1(VALU_DEP_4)
	v_add_co_u32 v8, vcc_lo, s6, v8
	v_add_co_ci_u32_e32 v9, vcc_lo, s7, v9, vcc_lo
	global_load_b32 v6, v[6:7], off
	global_load_b64 v[15:16], v[8:9], off
	s_waitcnt vmcnt(1)
	v_subrev_nc_u32_e32 v6, s39, v6
	s_waitcnt vmcnt(0)
	v_mul_f32_e64 v7, v16, -s14
	v_mul_f32_e32 v8, s12, v16
	s_delay_alu instid0(VALU_DEP_3) | instskip(NEXT) | instid1(VALU_DEP_3)
	v_lshl_add_u32 v9, v6, 3, v6
	v_fmac_f32_e32 v7, s12, v15
	s_delay_alu instid0(VALU_DEP_2)
	v_dual_fmac_f32 v8, s14, v15 :: v_dual_and_b32 v9, 31, v9
	s_branch .LBB219_46
.LBB219_45:                             ;   in Loop: Header=BB219_46 Depth=2
	s_or_b32 exec_lo, exec_lo, s16
	s_xor_b32 s16, s17, -1
	s_delay_alu instid0(SALU_CYCLE_1) | instskip(NEXT) | instid1(SALU_CYCLE_1)
	s_and_b32 s16, exec_lo, s16
	s_or_b32 s15, s16, s15
	s_delay_alu instid0(SALU_CYCLE_1)
	s_and_not1_b32 exec_lo, exec_lo, s15
	s_cbranch_execz .LBB219_43
.LBB219_46:                             ;   Parent Loop BB219_44 Depth=1
                                        ; =>  This Inner Loop Header: Depth=2
	s_delay_alu instid0(VALU_DEP_1)
	v_lshl_add_u32 v15, v9, 2, v13
	s_mov_b32 s16, exec_lo
                                        ; implicit-def: $sgpr17
	ds_load_b32 v16, v15
	s_waitcnt lgkmcnt(0)
	v_cmpx_ne_u32_e64 v16, v6
	s_xor_b32 s16, exec_lo, s16
	s_cbranch_execz .LBB219_54
; %bb.47:                               ;   in Loop: Header=BB219_46 Depth=2
	s_mov_b32 s18, exec_lo
                                        ; implicit-def: $sgpr17
	v_cmpx_ne_u32_e64 s1, v16
	s_xor_b32 s18, exec_lo, s18
; %bb.48:                               ;   in Loop: Header=BB219_46 Depth=2
	v_add_nc_u32_e32 v9, 1, v9
	s_mov_b32 s17, -1
                                        ; implicit-def: $vgpr15
	s_delay_alu instid0(VALU_DEP_1)
	v_and_b32_e32 v9, 31, v9
; %bb.49:                               ;   in Loop: Header=BB219_46 Depth=2
	s_and_not1_saveexec_b32 s18, s18
	s_cbranch_execz .LBB219_53
; %bb.50:                               ;   in Loop: Header=BB219_46 Depth=2
	v_mov_b32_e32 v16, s1
	s_mov_b32 s19, -1
	s_mov_b32 s20, exec_lo
	ds_cmpstore_rtn_b32 v15, v15, v6, v16
	s_waitcnt lgkmcnt(0)
	v_cmpx_eq_u32_e64 s1, v15
	s_cbranch_execz .LBB219_52
; %bb.51:                               ;   in Loop: Header=BB219_46 Depth=2
	v_lshl_add_u32 v15, v9, 3, v14
	s_xor_b32 s19, exec_lo, -1
	ds_add_f32 v15, v7
	ds_add_f32 v15, v8 offset:4
.LBB219_52:                             ;   in Loop: Header=BB219_46 Depth=2
	s_or_b32 exec_lo, exec_lo, s20
	s_delay_alu instid0(SALU_CYCLE_1) | instskip(SKIP_1) | instid1(SALU_CYCLE_1)
	s_and_not1_b32 s17, s17, exec_lo
	s_and_b32 s19, s19, exec_lo
	s_or_b32 s17, s17, s19
.LBB219_53:                             ;   in Loop: Header=BB219_46 Depth=2
	s_or_b32 exec_lo, exec_lo, s18
	s_delay_alu instid0(SALU_CYCLE_1)
	s_and_b32 s17, s17, exec_lo
.LBB219_54:                             ;   in Loop: Header=BB219_46 Depth=2
	s_and_not1_saveexec_b32 s16, s16
	s_cbranch_execz .LBB219_45
; %bb.55:                               ;   in Loop: Header=BB219_46 Depth=2
	v_lshl_add_u32 v15, v9, 3, v14
	s_and_not1_b32 s17, s17, exec_lo
	ds_add_f32 v15, v7
	ds_add_f32 v15, v8 offset:4
	s_branch .LBB219_45
.LBB219_56:
	s_nop 0
	s_sendmsg sendmsg(MSG_DEALLOC_VGPRS)
	s_endpgm
	.section	.rodata,"a",@progbits
	.p2align	6, 0x0
	.amdhsa_kernel _ZN9rocsparseL23csrgemm_fill_wf_per_rowILj256ELj16ELj32ELj137Eli21rocsparse_complex_numIfEEEvT4_S3_PKS3_S5_NS_24const_host_device_scalarIT5_EEPKT3_S5_PKS7_SB_S5_SD_S8_SB_S5_SD_SB_PS3_PS7_21rocsparse_index_base_SG_SG_SG_bbb
		.amdhsa_group_segment_fixed_size 6144
		.amdhsa_private_segment_fixed_size 0
		.amdhsa_kernarg_size 156
		.amdhsa_user_sgpr_count 15
		.amdhsa_user_sgpr_dispatch_ptr 0
		.amdhsa_user_sgpr_queue_ptr 0
		.amdhsa_user_sgpr_kernarg_segment_ptr 1
		.amdhsa_user_sgpr_dispatch_id 0
		.amdhsa_user_sgpr_private_segment_size 0
		.amdhsa_wavefront_size32 1
		.amdhsa_uses_dynamic_stack 0
		.amdhsa_enable_private_segment 0
		.amdhsa_system_sgpr_workgroup_id_x 1
		.amdhsa_system_sgpr_workgroup_id_y 0
		.amdhsa_system_sgpr_workgroup_id_z 0
		.amdhsa_system_sgpr_workgroup_info 0
		.amdhsa_system_vgpr_workitem_id 0
		.amdhsa_next_free_vgpr 30
		.amdhsa_next_free_sgpr 44
		.amdhsa_reserve_vcc 1
		.amdhsa_float_round_mode_32 0
		.amdhsa_float_round_mode_16_64 0
		.amdhsa_float_denorm_mode_32 3
		.amdhsa_float_denorm_mode_16_64 3
		.amdhsa_dx10_clamp 1
		.amdhsa_ieee_mode 1
		.amdhsa_fp16_overflow 0
		.amdhsa_workgroup_processor_mode 1
		.amdhsa_memory_ordered 1
		.amdhsa_forward_progress 0
		.amdhsa_shared_vgpr_count 0
		.amdhsa_exception_fp_ieee_invalid_op 0
		.amdhsa_exception_fp_denorm_src 0
		.amdhsa_exception_fp_ieee_div_zero 0
		.amdhsa_exception_fp_ieee_overflow 0
		.amdhsa_exception_fp_ieee_underflow 0
		.amdhsa_exception_fp_ieee_inexact 0
		.amdhsa_exception_int_div_zero 0
	.end_amdhsa_kernel
	.section	.text._ZN9rocsparseL23csrgemm_fill_wf_per_rowILj256ELj16ELj32ELj137Eli21rocsparse_complex_numIfEEEvT4_S3_PKS3_S5_NS_24const_host_device_scalarIT5_EEPKT3_S5_PKS7_SB_S5_SD_S8_SB_S5_SD_SB_PS3_PS7_21rocsparse_index_base_SG_SG_SG_bbb,"axG",@progbits,_ZN9rocsparseL23csrgemm_fill_wf_per_rowILj256ELj16ELj32ELj137Eli21rocsparse_complex_numIfEEEvT4_S3_PKS3_S5_NS_24const_host_device_scalarIT5_EEPKT3_S5_PKS7_SB_S5_SD_S8_SB_S5_SD_SB_PS3_PS7_21rocsparse_index_base_SG_SG_SG_bbb,comdat
.Lfunc_end219:
	.size	_ZN9rocsparseL23csrgemm_fill_wf_per_rowILj256ELj16ELj32ELj137Eli21rocsparse_complex_numIfEEEvT4_S3_PKS3_S5_NS_24const_host_device_scalarIT5_EEPKT3_S5_PKS7_SB_S5_SD_S8_SB_S5_SD_SB_PS3_PS7_21rocsparse_index_base_SG_SG_SG_bbb, .Lfunc_end219-_ZN9rocsparseL23csrgemm_fill_wf_per_rowILj256ELj16ELj32ELj137Eli21rocsparse_complex_numIfEEEvT4_S3_PKS3_S5_NS_24const_host_device_scalarIT5_EEPKT3_S5_PKS7_SB_S5_SD_S8_SB_S5_SD_SB_PS3_PS7_21rocsparse_index_base_SG_SG_SG_bbb
                                        ; -- End function
	.section	.AMDGPU.csdata,"",@progbits
; Kernel info:
; codeLenInByte = 3032
; NumSgprs: 46
; NumVgprs: 30
; ScratchSize: 0
; MemoryBound: 0
; FloatMode: 240
; IeeeMode: 1
; LDSByteSize: 6144 bytes/workgroup (compile time only)
; SGPRBlocks: 5
; VGPRBlocks: 3
; NumSGPRsForWavesPerEU: 46
; NumVGPRsForWavesPerEU: 30
; Occupancy: 16
; WaveLimiterHint : 1
; COMPUTE_PGM_RSRC2:SCRATCH_EN: 0
; COMPUTE_PGM_RSRC2:USER_SGPR: 15
; COMPUTE_PGM_RSRC2:TRAP_HANDLER: 0
; COMPUTE_PGM_RSRC2:TGID_X_EN: 1
; COMPUTE_PGM_RSRC2:TGID_Y_EN: 0
; COMPUTE_PGM_RSRC2:TGID_Z_EN: 0
; COMPUTE_PGM_RSRC2:TIDIG_COMP_CNT: 0
	.section	.text._ZN9rocsparseL26csrgemm_fill_block_per_rowILj128ELj16ELj256ELj137ELj32Eli21rocsparse_complex_numIfEEEvT5_PKS3_S5_NS_24const_host_device_scalarIT6_EEPKT4_S5_PKS7_SB_S5_SD_S8_SB_S5_SD_SB_PS3_PS7_21rocsparse_index_base_SG_SG_SG_bbb,"axG",@progbits,_ZN9rocsparseL26csrgemm_fill_block_per_rowILj128ELj16ELj256ELj137ELj32Eli21rocsparse_complex_numIfEEEvT5_PKS3_S5_NS_24const_host_device_scalarIT6_EEPKT4_S5_PKS7_SB_S5_SD_S8_SB_S5_SD_SB_PS3_PS7_21rocsparse_index_base_SG_SG_SG_bbb,comdat
	.globl	_ZN9rocsparseL26csrgemm_fill_block_per_rowILj128ELj16ELj256ELj137ELj32Eli21rocsparse_complex_numIfEEEvT5_PKS3_S5_NS_24const_host_device_scalarIT6_EEPKT4_S5_PKS7_SB_S5_SD_S8_SB_S5_SD_SB_PS3_PS7_21rocsparse_index_base_SG_SG_SG_bbb ; -- Begin function _ZN9rocsparseL26csrgemm_fill_block_per_rowILj128ELj16ELj256ELj137ELj32Eli21rocsparse_complex_numIfEEEvT5_PKS3_S5_NS_24const_host_device_scalarIT6_EEPKT4_S5_PKS7_SB_S5_SD_S8_SB_S5_SD_SB_PS3_PS7_21rocsparse_index_base_SG_SG_SG_bbb
	.p2align	8
	.type	_ZN9rocsparseL26csrgemm_fill_block_per_rowILj128ELj16ELj256ELj137ELj32Eli21rocsparse_complex_numIfEEEvT5_PKS3_S5_NS_24const_host_device_scalarIT6_EEPKT4_S5_PKS7_SB_S5_SD_S8_SB_S5_SD_SB_PS3_PS7_21rocsparse_index_base_SG_SG_SG_bbb,@function
_ZN9rocsparseL26csrgemm_fill_block_per_rowILj128ELj16ELj256ELj137ELj32Eli21rocsparse_complex_numIfEEEvT5_PKS3_S5_NS_24const_host_device_scalarIT6_EEPKT4_S5_PKS7_SB_S5_SD_S8_SB_S5_SD_SB_PS3_PS7_21rocsparse_index_base_SG_SG_SG_bbb: ; @_ZN9rocsparseL26csrgemm_fill_block_per_rowILj128ELj16ELj256ELj137ELj32Eli21rocsparse_complex_numIfEEEvT5_PKS3_S5_NS_24const_host_device_scalarIT6_EEPKT4_S5_PKS7_SB_S5_SD_S8_SB_S5_SD_SB_PS3_PS7_21rocsparse_index_base_SG_SG_SG_bbb
; %bb.0:
	s_clause 0x6
	s_load_b32 s14, s[0:1], 0x98
	s_load_b256 s[4:11], s[0:1], 0x60
	s_load_b256 s[16:23], s[0:1], 0x40
	s_load_b128 s[40:43], s[0:1], 0x8
	s_load_b256 s[24:31], s[0:1], 0x20
	s_load_b64 s[12:13], s[0:1], 0x80
	s_load_b128 s[36:39], s[0:1], 0x88
	s_mov_b32 s3, 0
	s_mov_b32 s44, 0
	s_waitcnt lgkmcnt(0)
	s_bitcmp1_b32 s14, 0
	s_cselect_b32 s45, -1, 0
	s_bitcmp1_b32 s14, 16
	s_cselect_b32 s2, -1, 0
	s_delay_alu instid0(SALU_CYCLE_1) | instskip(SKIP_2) | instid1(VALU_DEP_1)
	s_xor_b32 s33, s2, -1
	s_bitcmp0_b32 s14, 0
	v_cndmask_b32_e64 v1, 0, 1, s33
	v_cmp_ne_u32_e32 vcc_lo, 1, v1
	s_cbranch_scc1 .LBB220_5
; %bb.1:
	s_load_b64 s[2:3], s[0:1], 0x18
	s_and_b32 vcc_lo, exec_lo, vcc_lo
	s_waitcnt lgkmcnt(0)
	s_mov_b32 s44, s2
	s_cbranch_vccnz .LBB220_3
; %bb.2:
	s_load_b32 s44, s[2:3], 0x0
.LBB220_3:
	s_and_not1_b32 vcc_lo, exec_lo, s33
	s_cbranch_vccnz .LBB220_5
; %bb.4:
	s_load_b32 s3, s[2:3], 0x4
.LBB220_5:
	s_bitcmp1_b32 s14, 8
	s_mov_b32 s35, 0
	s_cselect_b32 s2, -1, 0
	s_bfe_u32 s14, s14, 0x10008
	s_mov_b32 s34, 0
	s_cmp_eq_u32 s14, 0
	s_cbranch_scc1 .LBB220_11
; %bb.6:
	v_cmp_ne_u32_e32 vcc_lo, 1, v1
	s_mov_b32 s34, s20
	s_cbranch_vccnz .LBB220_8
; %bb.7:
	s_load_b32 s34, s[20:21], 0x0
.LBB220_8:
	v_cmp_ne_u32_e32 vcc_lo, 1, v1
	s_cbranch_vccnz .LBB220_10
; %bb.9:
	s_load_b32 s21, s[20:21], 0x4
.LBB220_10:
	s_waitcnt lgkmcnt(0)
	s_mov_b32 s35, s21
.LBB220_11:
	s_load_b32 s33, s[0:1], 0x0
	v_cmp_gt_u32_e64 s0, 0x100, v0
	v_lshlrev_b32_e32 v9, 3, v0
	v_or_b32_e32 v7, 0xffffff80, v0
	v_lshl_add_u32 v8, v0, 2, 0
	s_delay_alu instid0(VALU_DEP_4)
	s_and_saveexec_b32 s1, s0
	s_cbranch_execz .LBB220_14
; %bb.12:
	v_add3_u32 v1, v9, 0, 0x400
	v_or_b32_e32 v2, 0xffffff80, v0
	v_lshl_add_u32 v3, v0, 2, 0
	s_waitcnt lgkmcnt(0)
	v_dual_mov_b32 v4, s33 :: v_dual_mov_b32 v5, 0
	s_mov_b32 s14, 0
.LBB220_13:                             ; =>This Inner Loop Header: Depth=1
	v_add_co_u32 v2, s20, 0x80, v2
	s_delay_alu instid0(VALU_DEP_1)
	s_xor_b32 s20, s20, -1
	ds_store_b32 v3, v4
	ds_store_2addr_b32 v1, v5, v5 offset1:1
	v_add_nc_u32_e32 v1, 0x400, v1
	v_add_nc_u32_e32 v3, 0x200, v3
	s_and_b32 s20, exec_lo, s20
	s_delay_alu instid0(SALU_CYCLE_1) | instskip(NEXT) | instid1(SALU_CYCLE_1)
	s_or_b32 s14, s20, s14
	s_and_not1_b32 exec_lo, exec_lo, s14
	s_cbranch_execnz .LBB220_13
.LBB220_14:
	s_or_b32 exec_lo, exec_lo, s1
	s_waitcnt lgkmcnt(0)
	s_barrier
	buffer_gl0_inv
	s_load_b32 s1, s[40:41], 0x0
	s_waitcnt lgkmcnt(0)
	s_add_i32 s14, s1, s15
	s_mov_b32 s15, 0
	s_delay_alu instid0(SALU_CYCLE_1) | instskip(NEXT) | instid1(SALU_CYCLE_1)
	s_lshl_b64 s[14:15], s[14:15], 2
	s_add_u32 s14, s42, s14
	s_addc_u32 s15, s43, s15
	s_and_b32 vcc_lo, exec_lo, s45
	s_load_b32 s14, s[14:15], 0x0
	s_cbranch_vccz .LBB220_34
; %bb.15:
	s_waitcnt lgkmcnt(0)
	s_ashr_i32 s15, s14, 31
	v_lshrrev_b32_e32 v1, 4, v0
	s_lshl_b64 s[20:21], s[14:15], 3
	s_delay_alu instid0(SALU_CYCLE_1) | instskip(SKIP_1) | instid1(VALU_DEP_1)
	s_add_u32 s20, s24, s20
	s_addc_u32 s21, s25, s21
	v_sub_co_u32 v1, s1, v1, s36
	s_load_b128 s[40:43], s[20:21], 0x0
	v_sub_co_ci_u32_e64 v2, null, 0, 0, s1
	s_mov_b32 s1, exec_lo
	s_waitcnt lgkmcnt(0)
	v_add_co_u32 v1, vcc_lo, s40, v1
	s_delay_alu instid0(VALU_DEP_2)
	v_add_co_ci_u32_e32 v2, vcc_lo, s41, v2, vcc_lo
	s_sub_u32 s20, s42, s36
	s_subb_u32 s21, s43, 0
	s_delay_alu instid0(VALU_DEP_1) | instid1(SALU_CYCLE_1)
	v_cmpx_gt_i64_e64 s[20:21], v[1:2]
	s_cbranch_execz .LBB220_33
; %bb.16:
	v_and_b32_e32 v3, 15, v0
	s_mov_b32 s24, s37
	s_delay_alu instid0(VALU_DEP_1) | instskip(NEXT) | instid1(VALU_DEP_1)
	v_sub_co_u32 v10, s15, v3, s37
	v_sub_co_ci_u32_e64 v11, null, 0, 0, s15
	s_mov_b32 s15, 0
	s_branch .LBB220_18
.LBB220_17:                             ;   in Loop: Header=BB220_18 Depth=1
	s_or_b32 exec_lo, exec_lo, s25
	v_add_co_u32 v1, vcc_lo, v1, 8
	v_add_co_ci_u32_e32 v2, vcc_lo, 0, v2, vcc_lo
	s_delay_alu instid0(VALU_DEP_1) | instskip(SKIP_1) | instid1(SALU_CYCLE_1)
	v_cmp_le_i64_e32 vcc_lo, s[20:21], v[1:2]
	s_or_b32 s15, vcc_lo, s15
	s_and_not1_b32 exec_lo, exec_lo, s15
	s_cbranch_execz .LBB220_33
.LBB220_18:                             ; =>This Loop Header: Depth=1
                                        ;     Child Loop BB220_21 Depth 2
                                        ;       Child Loop BB220_23 Depth 3
	v_lshlrev_b64 v[3:4], 2, v[1:2]
	s_mov_b32 s25, exec_lo
	s_delay_alu instid0(VALU_DEP_1) | instskip(NEXT) | instid1(VALU_DEP_2)
	v_add_co_u32 v3, vcc_lo, s26, v3
	v_add_co_ci_u32_e32 v4, vcc_lo, s27, v4, vcc_lo
	global_load_b32 v3, v[3:4], off
	s_waitcnt vmcnt(0)
	v_subrev_nc_u32_e32 v3, s36, v3
	s_delay_alu instid0(VALU_DEP_1) | instskip(NEXT) | instid1(VALU_DEP_1)
	v_ashrrev_i32_e32 v4, 31, v3
	v_lshlrev_b64 v[3:4], 3, v[3:4]
	s_delay_alu instid0(VALU_DEP_1) | instskip(NEXT) | instid1(VALU_DEP_2)
	v_add_co_u32 v3, vcc_lo, s30, v3
	v_add_co_ci_u32_e32 v4, vcc_lo, s31, v4, vcc_lo
	global_load_b128 v[12:15], v[3:4], off
	s_waitcnt vmcnt(0)
	v_sub_co_u32 v3, vcc_lo, v14, s24
	v_subrev_co_ci_u32_e32 v4, vcc_lo, 0, v15, vcc_lo
	v_add_co_u32 v5, vcc_lo, v12, v10
	v_add_co_ci_u32_e32 v6, vcc_lo, v13, v11, vcc_lo
	s_delay_alu instid0(VALU_DEP_1)
	v_cmpx_lt_i64_e64 v[5:6], v[3:4]
	s_cbranch_execz .LBB220_17
; %bb.19:                               ;   in Loop: Header=BB220_18 Depth=1
	v_lshlrev_b64 v[12:13], 3, v[1:2]
	s_mov_b32 s40, 0
	s_delay_alu instid0(VALU_DEP_1) | instskip(NEXT) | instid1(VALU_DEP_2)
	v_add_co_u32 v12, vcc_lo, s28, v12
	v_add_co_ci_u32_e32 v13, vcc_lo, s29, v13, vcc_lo
	global_load_b64 v[14:15], v[12:13], off
	s_waitcnt vmcnt(0)
	v_mul_f32_e64 v12, v15, -s3
	s_delay_alu instid0(VALU_DEP_1) | instskip(NEXT) | instid1(VALU_DEP_1)
	v_dual_mul_f32 v13, s44, v15 :: v_dual_fmac_f32 v12, s44, v14
	v_fmac_f32_e32 v13, s3, v14
	s_branch .LBB220_21
.LBB220_20:                             ;   in Loop: Header=BB220_21 Depth=2
	s_or_b32 exec_lo, exec_lo, s41
	v_add_co_u32 v5, vcc_lo, v5, 16
	v_add_co_ci_u32_e32 v6, vcc_lo, 0, v6, vcc_lo
	s_delay_alu instid0(VALU_DEP_1) | instskip(SKIP_1) | instid1(SALU_CYCLE_1)
	v_cmp_ge_i64_e32 vcc_lo, v[5:6], v[3:4]
	s_or_b32 s40, vcc_lo, s40
	s_and_not1_b32 exec_lo, exec_lo, s40
	s_cbranch_execz .LBB220_17
.LBB220_21:                             ;   Parent Loop BB220_18 Depth=1
                                        ; =>  This Loop Header: Depth=2
                                        ;       Child Loop BB220_23 Depth 3
	v_lshlrev_b64 v[14:15], 2, v[5:6]
	v_lshlrev_b64 v[16:17], 3, v[5:6]
	s_mov_b32 s41, 0
	s_delay_alu instid0(VALU_DEP_2) | instskip(NEXT) | instid1(VALU_DEP_3)
	v_add_co_u32 v14, vcc_lo, s16, v14
	v_add_co_ci_u32_e32 v15, vcc_lo, s17, v15, vcc_lo
	global_load_b32 v19, v[14:15], off
	v_add_co_u32 v14, vcc_lo, s18, v16
	v_add_co_ci_u32_e32 v15, vcc_lo, s19, v17, vcc_lo
	global_load_b64 v[17:18], v[14:15], off
	s_waitcnt vmcnt(1)
	v_subrev_nc_u32_e32 v14, s37, v19
	s_delay_alu instid0(VALU_DEP_1) | instskip(SKIP_3) | instid1(VALU_DEP_2)
	v_mul_lo_u32 v19, 0x89, v14
	s_waitcnt vmcnt(0)
	v_mul_f32_e64 v15, v18, -v13
	v_mul_f32_e32 v16, v12, v18
	v_fmac_f32_e32 v15, v12, v17
	s_delay_alu instid0(VALU_DEP_2)
	v_dual_fmac_f32 v16, v13, v17 :: v_dual_and_b32 v17, 0xff, v19
	s_branch .LBB220_23
.LBB220_22:                             ;   in Loop: Header=BB220_23 Depth=3
	s_or_b32 exec_lo, exec_lo, s42
	s_xor_b32 s42, s43, -1
	s_delay_alu instid0(SALU_CYCLE_1) | instskip(NEXT) | instid1(SALU_CYCLE_1)
	s_and_b32 s42, exec_lo, s42
	s_or_b32 s41, s42, s41
	s_delay_alu instid0(SALU_CYCLE_1)
	s_and_not1_b32 exec_lo, exec_lo, s41
	s_cbranch_execz .LBB220_20
.LBB220_23:                             ;   Parent Loop BB220_18 Depth=1
                                        ;     Parent Loop BB220_21 Depth=2
                                        ; =>    This Inner Loop Header: Depth=3
	s_delay_alu instid0(VALU_DEP_1)
	v_lshl_add_u32 v18, v17, 2, 0
	s_mov_b32 s42, exec_lo
                                        ; implicit-def: $sgpr43
	ds_load_b32 v19, v18
	s_waitcnt lgkmcnt(0)
	v_cmpx_ne_u32_e64 v19, v14
	s_xor_b32 s42, exec_lo, s42
	s_cbranch_execz .LBB220_31
; %bb.24:                               ;   in Loop: Header=BB220_23 Depth=3
	s_mov_b32 s45, exec_lo
                                        ; implicit-def: $sgpr43
	v_cmpx_ne_u32_e64 s33, v19
	s_xor_b32 s45, exec_lo, s45
; %bb.25:                               ;   in Loop: Header=BB220_23 Depth=3
	v_add_nc_u32_e32 v17, 1, v17
	s_mov_b32 s43, -1
                                        ; implicit-def: $vgpr18
	s_delay_alu instid0(VALU_DEP_1)
	v_and_b32_e32 v17, 0xff, v17
; %bb.26:                               ;   in Loop: Header=BB220_23 Depth=3
	s_and_not1_saveexec_b32 s45, s45
	s_cbranch_execz .LBB220_30
; %bb.27:                               ;   in Loop: Header=BB220_23 Depth=3
	v_mov_b32_e32 v19, s33
	s_mov_b32 s46, -1
	s_mov_b32 s47, exec_lo
	ds_cmpstore_rtn_b32 v19, v18, v14, v19
	s_waitcnt lgkmcnt(0)
	v_cmpx_eq_u32_e64 s33, v19
	s_cbranch_execz .LBB220_29
; %bb.28:                               ;   in Loop: Header=BB220_23 Depth=3
	v_lshl_add_u32 v18, v17, 2, v18
	s_xor_b32 s46, exec_lo, -1
	ds_add_f32 v18, v15 offset:1024
	ds_add_f32 v18, v16 offset:1028
.LBB220_29:                             ;   in Loop: Header=BB220_23 Depth=3
	s_or_b32 exec_lo, exec_lo, s47
	s_delay_alu instid0(SALU_CYCLE_1) | instskip(SKIP_1) | instid1(SALU_CYCLE_1)
	s_and_not1_b32 s43, s43, exec_lo
	s_and_b32 s46, s46, exec_lo
	s_or_b32 s43, s43, s46
.LBB220_30:                             ;   in Loop: Header=BB220_23 Depth=3
	s_or_b32 exec_lo, exec_lo, s45
	s_delay_alu instid0(SALU_CYCLE_1)
	s_and_b32 s43, s43, exec_lo
                                        ; implicit-def: $vgpr18
.LBB220_31:                             ;   in Loop: Header=BB220_23 Depth=3
	s_and_not1_saveexec_b32 s42, s42
	s_cbranch_execz .LBB220_22
; %bb.32:                               ;   in Loop: Header=BB220_23 Depth=3
	v_lshl_add_u32 v18, v17, 2, v18
	s_and_not1_b32 s43, s43, exec_lo
	ds_add_f32 v18, v15 offset:1024
	ds_add_f32 v18, v16 offset:1028
	s_branch .LBB220_22
.LBB220_33:
	s_or_b32 exec_lo, exec_lo, s1
.LBB220_34:
	s_delay_alu instid0(SALU_CYCLE_1)
	s_and_not1_b32 vcc_lo, exec_lo, s2
	s_cbranch_vccnz .LBB220_37
; %bb.35:
	s_waitcnt lgkmcnt(0)
	s_ashr_i32 s15, s14, 31
	v_sub_co_u32 v1, s1, v0, s39
	s_lshl_b64 s[2:3], s[14:15], 3
	v_sub_co_ci_u32_e64 v2, null, 0, 0, s1
	s_add_u32 s2, s22, s2
	s_addc_u32 s3, s23, s3
	s_mov_b32 s15, 0
	s_load_b128 s[16:19], s[2:3], 0x0
	s_mov_b32 s1, exec_lo
	s_waitcnt lgkmcnt(0)
	v_add_co_u32 v1, vcc_lo, s16, v1
	v_add_co_ci_u32_e32 v2, vcc_lo, s17, v2, vcc_lo
	s_sub_u32 s2, s18, s39
	s_subb_u32 s3, s19, 0
	s_delay_alu instid0(VALU_DEP_1) | instid1(SALU_CYCLE_1)
	v_cmpx_gt_i64_e64 s[2:3], v[1:2]
	s_cbranch_execnz .LBB220_51
.LBB220_36:
	s_or_b32 exec_lo, exec_lo, s1
.LBB220_37:
	s_waitcnt lgkmcnt(0)
	s_barrier
	buffer_gl0_inv
	s_and_saveexec_b32 s4, s0
	s_cbranch_execz .LBB220_63
; %bb.38:
	v_mbcnt_lo_u32_b32 v1, -1, 0
	v_lshrrev_b32_e32 v2, 3, v0
	v_cmp_eq_u32_e32 vcc_lo, 0x7f, v0
	v_cmp_lt_u32_e64 s0, 31, v0
	v_cmp_lt_u32_e64 s1, 63, v0
	v_xor_b32_e32 v1, 63, v1
	v_dual_mov_b32 v6, 0 :: v_dual_and_b32 v3, 12, v2
	v_cmp_lt_u32_e64 s2, 0x5f, v0
	v_add3_u32 v4, v9, 0, 0x400
	s_delay_alu instid0(VALU_DEP_4) | instskip(NEXT) | instid1(VALU_DEP_4)
	v_lshrrev_b64 v[1:2], v1, -1
	v_add_nc_u32_e32 v5, 0, v3
	v_mov_b32_e32 v9, 0
	s_mov_b32 s5, 0
	s_branch .LBB220_40
.LBB220_39:                             ;   in Loop: Header=BB220_40 Depth=1
	s_or_b32 exec_lo, exec_lo, s3
	s_waitcnt lgkmcnt(0)
	s_barrier
	buffer_gl0_inv
	ds_load_b32 v2, v6 offset:3084
	v_add_co_u32 v7, s3, 0x80, v7
	s_delay_alu instid0(VALU_DEP_1) | instskip(SKIP_3) | instid1(SALU_CYCLE_1)
	s_xor_b32 s3, s3, -1
	v_add_nc_u32_e32 v4, 0x400, v4
	v_add_nc_u32_e32 v8, 0x200, v8
	s_and_b32 s3, exec_lo, s3
	s_or_b32 s5, s3, s5
	s_waitcnt lgkmcnt(0)
	v_add_nc_u32_e32 v9, v2, v9
	s_and_not1_b32 exec_lo, exec_lo, s5
	s_cbranch_execz .LBB220_63
.LBB220_40:                             ; =>This Inner Loop Header: Depth=1
	ds_load_b32 v10, v8
	ds_load_2addr_b32 v[2:3], v4 offset1:1
	s_waitcnt lgkmcnt(0)
	s_barrier
	buffer_gl0_inv
	v_cmp_gt_i32_e64 s3, s33, v10
	s_delay_alu instid0(VALU_DEP_1) | instskip(NEXT) | instid1(SALU_CYCLE_1)
	s_bcnt1_i32_b32 s6, s3
	v_dual_mov_b32 v12, s6 :: v_dual_and_b32 v11, s3, v1
	s_delay_alu instid0(VALU_DEP_1)
	v_bcnt_u32_b32 v11, v11, 0
	ds_store_b32 v5, v12 offset:3072
	s_waitcnt lgkmcnt(0)
	s_barrier
	buffer_gl0_inv
	s_and_saveexec_b32 s6, s0
	s_cbranch_execnz .LBB220_45
; %bb.41:                               ;   in Loop: Header=BB220_40 Depth=1
	s_or_b32 exec_lo, exec_lo, s6
	s_and_saveexec_b32 s6, s1
	s_cbranch_execnz .LBB220_46
.LBB220_42:                             ;   in Loop: Header=BB220_40 Depth=1
	s_or_b32 exec_lo, exec_lo, s6
	s_and_saveexec_b32 s6, s2
	s_cbranch_execnz .LBB220_47
.LBB220_43:                             ;   in Loop: Header=BB220_40 Depth=1
	s_or_b32 exec_lo, exec_lo, s6
	s_and_saveexec_b32 s6, s3
	s_cbranch_execnz .LBB220_48
.LBB220_44:                             ;   in Loop: Header=BB220_40 Depth=1
	s_or_b32 exec_lo, exec_lo, s6
	s_and_saveexec_b32 s3, vcc_lo
	s_cbranch_execz .LBB220_39
	s_branch .LBB220_49
.LBB220_45:                             ;   in Loop: Header=BB220_40 Depth=1
	ds_load_b32 v12, v6 offset:3072
	s_waitcnt lgkmcnt(0)
	v_add_nc_u32_e32 v11, v12, v11
	s_or_b32 exec_lo, exec_lo, s6
	s_and_saveexec_b32 s6, s1
	s_cbranch_execz .LBB220_42
.LBB220_46:                             ;   in Loop: Header=BB220_40 Depth=1
	ds_load_b32 v12, v6 offset:3076
	s_waitcnt lgkmcnt(0)
	v_add_nc_u32_e32 v11, v12, v11
	s_or_b32 exec_lo, exec_lo, s6
	s_and_saveexec_b32 s6, s2
	s_cbranch_execz .LBB220_43
.LBB220_47:                             ;   in Loop: Header=BB220_40 Depth=1
	ds_load_b32 v12, v6 offset:3080
	s_waitcnt lgkmcnt(0)
	v_add_nc_u32_e32 v11, v12, v11
	s_or_b32 exec_lo, exec_lo, s6
	s_and_saveexec_b32 s6, s3
	s_cbranch_execz .LBB220_44
.LBB220_48:                             ;   in Loop: Header=BB220_40 Depth=1
	s_delay_alu instid0(VALU_DEP_1) | instskip(NEXT) | instid1(VALU_DEP_1)
	v_add3_u32 v12, v9, -1, v11
	v_lshlrev_b32_e32 v13, 3, v12
	v_lshl_add_u32 v12, v12, 2, 0
	s_delay_alu instid0(VALU_DEP_2)
	v_add3_u32 v13, 0, v13, 0x400
	ds_store_b32 v12, v10
	ds_store_2addr_b32 v13, v2, v3 offset1:1
	s_or_b32 exec_lo, exec_lo, s6
	s_and_saveexec_b32 s3, vcc_lo
	s_cbranch_execz .LBB220_39
.LBB220_49:                             ;   in Loop: Header=BB220_40 Depth=1
	ds_store_b32 v6, v11 offset:3084
	s_branch .LBB220_39
.LBB220_50:                             ;   in Loop: Header=BB220_51 Depth=1
	s_or_b32 exec_lo, exec_lo, s16
	v_add_co_u32 v1, vcc_lo, 0x80, v1
	v_add_co_ci_u32_e32 v2, vcc_lo, 0, v2, vcc_lo
	s_delay_alu instid0(VALU_DEP_1) | instskip(SKIP_1) | instid1(SALU_CYCLE_1)
	v_cmp_le_i64_e32 vcc_lo, s[2:3], v[1:2]
	s_or_b32 s15, vcc_lo, s15
	s_and_not1_b32 exec_lo, exec_lo, s15
	s_cbranch_execz .LBB220_36
.LBB220_51:                             ; =>This Loop Header: Depth=1
                                        ;     Child Loop BB220_53 Depth 2
	v_lshlrev_b64 v[3:4], 2, v[1:2]
	v_lshlrev_b64 v[5:6], 3, v[1:2]
	s_mov_b32 s16, 0
	s_delay_alu instid0(VALU_DEP_2) | instskip(NEXT) | instid1(VALU_DEP_3)
	v_add_co_u32 v3, vcc_lo, s4, v3
	v_add_co_ci_u32_e32 v4, vcc_lo, s5, v4, vcc_lo
	global_load_b32 v12, v[3:4], off
	v_add_co_u32 v3, vcc_lo, s6, v5
	v_add_co_ci_u32_e32 v4, vcc_lo, s7, v6, vcc_lo
	global_load_b64 v[10:11], v[3:4], off
	s_waitcnt vmcnt(1)
	v_subrev_nc_u32_e32 v3, s39, v12
	s_delay_alu instid0(VALU_DEP_1) | instskip(SKIP_2) | instid1(VALU_DEP_1)
	v_mul_lo_u32 v6, 0x89, v3
	s_waitcnt vmcnt(0)
	v_mul_f32_e64 v4, v11, -s35
	v_dual_mul_f32 v5, s34, v11 :: v_dual_fmac_f32 v4, s34, v10
	s_delay_alu instid0(VALU_DEP_1) | instskip(NEXT) | instid1(VALU_DEP_4)
	v_fmac_f32_e32 v5, s35, v10
	v_and_b32_e32 v6, 0xff, v6
	s_branch .LBB220_53
.LBB220_52:                             ;   in Loop: Header=BB220_53 Depth=2
	s_or_b32 exec_lo, exec_lo, s17
	s_xor_b32 s17, s18, -1
	s_delay_alu instid0(SALU_CYCLE_1) | instskip(NEXT) | instid1(SALU_CYCLE_1)
	s_and_b32 s17, exec_lo, s17
	s_or_b32 s16, s17, s16
	s_delay_alu instid0(SALU_CYCLE_1)
	s_and_not1_b32 exec_lo, exec_lo, s16
	s_cbranch_execz .LBB220_50
.LBB220_53:                             ;   Parent Loop BB220_51 Depth=1
                                        ; =>  This Inner Loop Header: Depth=2
	s_delay_alu instid0(VALU_DEP_1)
	v_lshl_add_u32 v10, v6, 2, 0
	s_mov_b32 s17, exec_lo
                                        ; implicit-def: $sgpr18
	ds_load_b32 v11, v10
	s_waitcnt lgkmcnt(0)
	v_cmpx_ne_u32_e64 v11, v3
	s_xor_b32 s17, exec_lo, s17
	s_cbranch_execz .LBB220_61
; %bb.54:                               ;   in Loop: Header=BB220_53 Depth=2
	s_mov_b32 s19, exec_lo
                                        ; implicit-def: $sgpr18
	v_cmpx_ne_u32_e64 s33, v11
	s_xor_b32 s19, exec_lo, s19
; %bb.55:                               ;   in Loop: Header=BB220_53 Depth=2
	v_add_nc_u32_e32 v6, 1, v6
	s_mov_b32 s18, -1
                                        ; implicit-def: $vgpr10
	s_delay_alu instid0(VALU_DEP_1)
	v_and_b32_e32 v6, 0xff, v6
; %bb.56:                               ;   in Loop: Header=BB220_53 Depth=2
	s_and_not1_saveexec_b32 s19, s19
	s_cbranch_execz .LBB220_60
; %bb.57:                               ;   in Loop: Header=BB220_53 Depth=2
	v_mov_b32_e32 v11, s33
	s_mov_b32 s20, -1
	s_mov_b32 s21, exec_lo
	ds_cmpstore_rtn_b32 v11, v10, v3, v11
	s_waitcnt lgkmcnt(0)
	v_cmpx_eq_u32_e64 s33, v11
	s_cbranch_execz .LBB220_59
; %bb.58:                               ;   in Loop: Header=BB220_53 Depth=2
	v_lshl_add_u32 v10, v6, 2, v10
	s_xor_b32 s20, exec_lo, -1
	ds_add_f32 v10, v4 offset:1024
	ds_add_f32 v10, v5 offset:1028
.LBB220_59:                             ;   in Loop: Header=BB220_53 Depth=2
	s_or_b32 exec_lo, exec_lo, s21
	s_delay_alu instid0(SALU_CYCLE_1) | instskip(SKIP_1) | instid1(SALU_CYCLE_1)
	s_and_not1_b32 s18, s18, exec_lo
	s_and_b32 s20, s20, exec_lo
	s_or_b32 s18, s18, s20
.LBB220_60:                             ;   in Loop: Header=BB220_53 Depth=2
	s_or_b32 exec_lo, exec_lo, s19
	s_delay_alu instid0(SALU_CYCLE_1)
	s_and_b32 s18, s18, exec_lo
                                        ; implicit-def: $vgpr10
.LBB220_61:                             ;   in Loop: Header=BB220_53 Depth=2
	s_and_not1_saveexec_b32 s17, s17
	s_cbranch_execz .LBB220_52
; %bb.62:                               ;   in Loop: Header=BB220_53 Depth=2
	v_lshl_add_u32 v10, v6, 2, v10
	s_and_not1_b32 s18, s18, exec_lo
	ds_add_f32 v10, v4 offset:1024
	ds_add_f32 v10, v5 offset:1028
	s_branch .LBB220_52
.LBB220_63:
	s_or_b32 exec_lo, exec_lo, s4
	s_ashr_i32 s15, s14, 31
	s_mov_b32 s4, exec_lo
	s_lshl_b64 s[0:1], s[14:15], 3
	s_delay_alu instid0(SALU_CYCLE_1) | instskip(SKIP_4) | instid1(SALU_CYCLE_1)
	s_add_u32 s0, s8, s0
	s_addc_u32 s1, s9, s1
	s_load_b128 s[0:3], s[0:1], 0x0
	s_waitcnt lgkmcnt(0)
	s_sub_i32 s3, s2, s0
	v_cmpx_gt_i32_e64 s3, v0
	s_cbranch_execz .LBB220_73
; %bb.64:
	s_sub_u32 s4, s0, s38
	s_subb_u32 s5, s1, 0
	s_sub_i32 s0, s0, s2
	s_and_b32 s1, s3, 7
	s_cmp_lt_u32 s0, -7
	s_mov_b32 s8, 0
	s_cselect_b32 s2, -1, 0
	s_and_b32 s6, s3, -8
	s_cmp_lg_u32 s1, 0
	s_cselect_b32 s7, -1, 0
	s_branch .LBB220_66
.LBB220_65:                             ;   in Loop: Header=BB220_66 Depth=1
	s_delay_alu instid0(VALU_DEP_1) | instskip(SKIP_4) | instid1(VALU_DEP_4)
	v_lshlrev_b64 v[6:7], 2, v[3:4]
	v_lshlrev_b64 v[3:4], 3, v[3:4]
	v_add_nc_u32_e32 v0, 0x80, v0
	s_waitcnt lgkmcnt(1)
	v_add_nc_u32_e32 v8, s38, v5
	v_add_co_u32 v5, vcc_lo, s10, v6
	v_add_co_ci_u32_e32 v6, vcc_lo, s11, v7, vcc_lo
	v_cmp_le_i32_e32 vcc_lo, s3, v0
	v_add_co_u32 v3, s0, s12, v3
	s_delay_alu instid0(VALU_DEP_1)
	v_add_co_ci_u32_e64 v4, s0, s13, v4, s0
	s_or_b32 s8, vcc_lo, s8
	global_store_b32 v[5:6], v8, off
	s_waitcnt lgkmcnt(0)
	global_store_b64 v[3:4], v[1:2], off
	s_and_not1_b32 exec_lo, exec_lo, s8
	s_cbranch_execz .LBB220_73
.LBB220_66:                             ; =>This Loop Header: Depth=1
                                        ;     Child Loop BB220_68 Depth 2
                                        ;     Child Loop BB220_72 Depth 2
	v_lshlrev_b32_e32 v1, 2, v0
	v_dual_mov_b32 v3, s4 :: v_dual_mov_b32 v4, s5
	s_and_not1_b32 vcc_lo, exec_lo, s2
	s_mov_b32 s0, 0
	s_delay_alu instid0(VALU_DEP_2) | instskip(NEXT) | instid1(VALU_DEP_1)
	v_add_nc_u32_e32 v2, 0, v1
	v_add3_u32 v1, v2, v1, 0x400
	ds_load_b32 v5, v2
	ds_load_2addr_b32 v[1:2], v1 offset1:1
	s_cbranch_vccnz .LBB220_70
; %bb.67:                               ;   in Loop: Header=BB220_66 Depth=1
	v_dual_mov_b32 v3, s4 :: v_dual_mov_b32 v4, s5
	s_mov_b32 s9, 0
	s_mov_b32 s14, 0
.LBB220_68:                             ;   Parent Loop BB220_66 Depth=1
                                        ; =>  This Inner Loop Header: Depth=2
	s_delay_alu instid0(SALU_CYCLE_1)
	v_mov_b32_e32 v12, s14
	s_add_i32 s9, s9, 8
	s_add_i32 s14, s14, 32
	s_cmp_eq_u32 s6, s9
	ds_load_2addr_b32 v[6:7], v12 offset1:1
	ds_load_2addr_b32 v[8:9], v12 offset0:2 offset1:3
	ds_load_2addr_b32 v[10:11], v12 offset0:4 offset1:5
	;; [unrolled: 1-line block ×3, first 2 shown]
	s_waitcnt lgkmcnt(3)
	v_cmp_gt_i32_e32 vcc_lo, v5, v6
	v_cndmask_b32_e64 v6, 0, 1, vcc_lo
	v_cmp_gt_i32_e32 vcc_lo, v5, v7
	v_cndmask_b32_e64 v7, 0, 1, vcc_lo
	s_waitcnt lgkmcnt(2)
	v_cmp_gt_i32_e32 vcc_lo, v5, v8
	v_cndmask_b32_e64 v8, 0, 1, vcc_lo
	v_cmp_gt_i32_e32 vcc_lo, v5, v9
	v_cndmask_b32_e64 v9, 0, 1, vcc_lo
	s_waitcnt lgkmcnt(1)
	v_cmp_gt_i32_e32 vcc_lo, v5, v10
	v_cndmask_b32_e64 v10, 0, 1, vcc_lo
	v_add_co_u32 v3, vcc_lo, v3, v6
	v_add_co_ci_u32_e32 v4, vcc_lo, 0, v4, vcc_lo
	v_cmp_gt_i32_e32 vcc_lo, v5, v11
	s_delay_alu instid0(VALU_DEP_3) | instskip(NEXT) | instid1(VALU_DEP_1)
	v_add_co_u32 v3, s0, v3, v7
	v_add_co_ci_u32_e64 v4, s0, 0, v4, s0
	v_cndmask_b32_e64 v6, 0, 1, vcc_lo
	s_delay_alu instid0(VALU_DEP_3) | instskip(NEXT) | instid1(VALU_DEP_3)
	v_add_co_u32 v3, vcc_lo, v3, v8
	v_add_co_ci_u32_e32 v4, vcc_lo, 0, v4, vcc_lo
	s_waitcnt lgkmcnt(0)
	v_cmp_gt_i32_e32 vcc_lo, v5, v12
	s_delay_alu instid0(VALU_DEP_3) | instskip(NEXT) | instid1(VALU_DEP_1)
	v_add_co_u32 v3, s0, v3, v9
	v_add_co_ci_u32_e64 v4, s0, 0, v4, s0
	v_cndmask_b32_e64 v7, 0, 1, vcc_lo
	s_delay_alu instid0(VALU_DEP_3) | instskip(NEXT) | instid1(VALU_DEP_3)
	v_add_co_u32 v3, vcc_lo, v3, v10
	v_add_co_ci_u32_e32 v4, vcc_lo, 0, v4, vcc_lo
	v_cmp_gt_i32_e32 vcc_lo, v5, v13
	s_delay_alu instid0(VALU_DEP_3) | instskip(NEXT) | instid1(VALU_DEP_1)
	v_add_co_u32 v3, s0, v3, v6
	v_add_co_ci_u32_e64 v4, s0, 0, v4, s0
	v_cndmask_b32_e64 v6, 0, 1, vcc_lo
	s_delay_alu instid0(VALU_DEP_3) | instskip(NEXT) | instid1(VALU_DEP_3)
	v_add_co_u32 v3, vcc_lo, v3, v7
	v_add_co_ci_u32_e32 v4, vcc_lo, 0, v4, vcc_lo
	s_delay_alu instid0(VALU_DEP_2) | instskip(NEXT) | instid1(VALU_DEP_2)
	v_add_co_u32 v3, vcc_lo, v3, v6
	v_add_co_ci_u32_e32 v4, vcc_lo, 0, v4, vcc_lo
	s_cbranch_scc0 .LBB220_68
; %bb.69:                               ;   in Loop: Header=BB220_66 Depth=1
	s_mov_b32 s0, s6
.LBB220_70:                             ;   in Loop: Header=BB220_66 Depth=1
	s_and_not1_b32 vcc_lo, exec_lo, s7
	s_cbranch_vccnz .LBB220_65
; %bb.71:                               ;   in Loop: Header=BB220_66 Depth=1
	s_lshl_b32 s0, s0, 2
	s_mov_b32 s9, s1
	s_add_i32 s0, s0, 0
.LBB220_72:                             ;   Parent Loop BB220_66 Depth=1
                                        ; =>  This Inner Loop Header: Depth=2
	s_delay_alu instid0(SALU_CYCLE_1)
	v_mov_b32_e32 v6, s0
	s_add_i32 s9, s9, -1
	s_add_i32 s0, s0, 4
	s_cmp_lg_u32 s9, 0
	ds_load_b32 v6, v6
	s_waitcnt lgkmcnt(0)
	v_cmp_gt_i32_e32 vcc_lo, v5, v6
	v_cndmask_b32_e64 v6, 0, 1, vcc_lo
	s_delay_alu instid0(VALU_DEP_1)
	v_add_co_u32 v3, vcc_lo, v3, v6
	v_add_co_ci_u32_e32 v4, vcc_lo, 0, v4, vcc_lo
	s_cbranch_scc1 .LBB220_72
	s_branch .LBB220_65
.LBB220_73:
	s_nop 0
	s_sendmsg sendmsg(MSG_DEALLOC_VGPRS)
	s_endpgm
	.section	.rodata,"a",@progbits
	.p2align	6, 0x0
	.amdhsa_kernel _ZN9rocsparseL26csrgemm_fill_block_per_rowILj128ELj16ELj256ELj137ELj32Eli21rocsparse_complex_numIfEEEvT5_PKS3_S5_NS_24const_host_device_scalarIT6_EEPKT4_S5_PKS7_SB_S5_SD_S8_SB_S5_SD_SB_PS3_PS7_21rocsparse_index_base_SG_SG_SG_bbb
		.amdhsa_group_segment_fixed_size 0
		.amdhsa_private_segment_fixed_size 0
		.amdhsa_kernarg_size 156
		.amdhsa_user_sgpr_count 15
		.amdhsa_user_sgpr_dispatch_ptr 0
		.amdhsa_user_sgpr_queue_ptr 0
		.amdhsa_user_sgpr_kernarg_segment_ptr 1
		.amdhsa_user_sgpr_dispatch_id 0
		.amdhsa_user_sgpr_private_segment_size 0
		.amdhsa_wavefront_size32 1
		.amdhsa_uses_dynamic_stack 0
		.amdhsa_enable_private_segment 0
		.amdhsa_system_sgpr_workgroup_id_x 1
		.amdhsa_system_sgpr_workgroup_id_y 0
		.amdhsa_system_sgpr_workgroup_id_z 0
		.amdhsa_system_sgpr_workgroup_info 0
		.amdhsa_system_vgpr_workitem_id 0
		.amdhsa_next_free_vgpr 20
		.amdhsa_next_free_sgpr 48
		.amdhsa_reserve_vcc 1
		.amdhsa_float_round_mode_32 0
		.amdhsa_float_round_mode_16_64 0
		.amdhsa_float_denorm_mode_32 3
		.amdhsa_float_denorm_mode_16_64 3
		.amdhsa_dx10_clamp 1
		.amdhsa_ieee_mode 1
		.amdhsa_fp16_overflow 0
		.amdhsa_workgroup_processor_mode 1
		.amdhsa_memory_ordered 1
		.amdhsa_forward_progress 0
		.amdhsa_shared_vgpr_count 0
		.amdhsa_exception_fp_ieee_invalid_op 0
		.amdhsa_exception_fp_denorm_src 0
		.amdhsa_exception_fp_ieee_div_zero 0
		.amdhsa_exception_fp_ieee_overflow 0
		.amdhsa_exception_fp_ieee_underflow 0
		.amdhsa_exception_fp_ieee_inexact 0
		.amdhsa_exception_int_div_zero 0
	.end_amdhsa_kernel
	.section	.text._ZN9rocsparseL26csrgemm_fill_block_per_rowILj128ELj16ELj256ELj137ELj32Eli21rocsparse_complex_numIfEEEvT5_PKS3_S5_NS_24const_host_device_scalarIT6_EEPKT4_S5_PKS7_SB_S5_SD_S8_SB_S5_SD_SB_PS3_PS7_21rocsparse_index_base_SG_SG_SG_bbb,"axG",@progbits,_ZN9rocsparseL26csrgemm_fill_block_per_rowILj128ELj16ELj256ELj137ELj32Eli21rocsparse_complex_numIfEEEvT5_PKS3_S5_NS_24const_host_device_scalarIT6_EEPKT4_S5_PKS7_SB_S5_SD_S8_SB_S5_SD_SB_PS3_PS7_21rocsparse_index_base_SG_SG_SG_bbb,comdat
.Lfunc_end220:
	.size	_ZN9rocsparseL26csrgemm_fill_block_per_rowILj128ELj16ELj256ELj137ELj32Eli21rocsparse_complex_numIfEEEvT5_PKS3_S5_NS_24const_host_device_scalarIT6_EEPKT4_S5_PKS7_SB_S5_SD_S8_SB_S5_SD_SB_PS3_PS7_21rocsparse_index_base_SG_SG_SG_bbb, .Lfunc_end220-_ZN9rocsparseL26csrgemm_fill_block_per_rowILj128ELj16ELj256ELj137ELj32Eli21rocsparse_complex_numIfEEEvT5_PKS3_S5_NS_24const_host_device_scalarIT6_EEPKT4_S5_PKS7_SB_S5_SD_S8_SB_S5_SD_SB_PS3_PS7_21rocsparse_index_base_SG_SG_SG_bbb
                                        ; -- End function
	.section	.AMDGPU.csdata,"",@progbits
; Kernel info:
; codeLenInByte = 3020
; NumSgprs: 50
; NumVgprs: 20
; ScratchSize: 0
; MemoryBound: 0
; FloatMode: 240
; IeeeMode: 1
; LDSByteSize: 0 bytes/workgroup (compile time only)
; SGPRBlocks: 6
; VGPRBlocks: 2
; NumSGPRsForWavesPerEU: 50
; NumVGPRsForWavesPerEU: 20
; Occupancy: 16
; WaveLimiterHint : 1
; COMPUTE_PGM_RSRC2:SCRATCH_EN: 0
; COMPUTE_PGM_RSRC2:USER_SGPR: 15
; COMPUTE_PGM_RSRC2:TRAP_HANDLER: 0
; COMPUTE_PGM_RSRC2:TGID_X_EN: 1
; COMPUTE_PGM_RSRC2:TGID_Y_EN: 0
; COMPUTE_PGM_RSRC2:TGID_Z_EN: 0
; COMPUTE_PGM_RSRC2:TIDIG_COMP_CNT: 0
	.section	.text._ZN9rocsparseL26csrgemm_fill_block_per_rowILj128ELj16ELj256ELj137ELj64Eli21rocsparse_complex_numIfEEEvT5_PKS3_S5_NS_24const_host_device_scalarIT6_EEPKT4_S5_PKS7_SB_S5_SD_S8_SB_S5_SD_SB_PS3_PS7_21rocsparse_index_base_SG_SG_SG_bbb,"axG",@progbits,_ZN9rocsparseL26csrgemm_fill_block_per_rowILj128ELj16ELj256ELj137ELj64Eli21rocsparse_complex_numIfEEEvT5_PKS3_S5_NS_24const_host_device_scalarIT6_EEPKT4_S5_PKS7_SB_S5_SD_S8_SB_S5_SD_SB_PS3_PS7_21rocsparse_index_base_SG_SG_SG_bbb,comdat
	.globl	_ZN9rocsparseL26csrgemm_fill_block_per_rowILj128ELj16ELj256ELj137ELj64Eli21rocsparse_complex_numIfEEEvT5_PKS3_S5_NS_24const_host_device_scalarIT6_EEPKT4_S5_PKS7_SB_S5_SD_S8_SB_S5_SD_SB_PS3_PS7_21rocsparse_index_base_SG_SG_SG_bbb ; -- Begin function _ZN9rocsparseL26csrgemm_fill_block_per_rowILj128ELj16ELj256ELj137ELj64Eli21rocsparse_complex_numIfEEEvT5_PKS3_S5_NS_24const_host_device_scalarIT6_EEPKT4_S5_PKS7_SB_S5_SD_S8_SB_S5_SD_SB_PS3_PS7_21rocsparse_index_base_SG_SG_SG_bbb
	.p2align	8
	.type	_ZN9rocsparseL26csrgemm_fill_block_per_rowILj128ELj16ELj256ELj137ELj64Eli21rocsparse_complex_numIfEEEvT5_PKS3_S5_NS_24const_host_device_scalarIT6_EEPKT4_S5_PKS7_SB_S5_SD_S8_SB_S5_SD_SB_PS3_PS7_21rocsparse_index_base_SG_SG_SG_bbb,@function
_ZN9rocsparseL26csrgemm_fill_block_per_rowILj128ELj16ELj256ELj137ELj64Eli21rocsparse_complex_numIfEEEvT5_PKS3_S5_NS_24const_host_device_scalarIT6_EEPKT4_S5_PKS7_SB_S5_SD_S8_SB_S5_SD_SB_PS3_PS7_21rocsparse_index_base_SG_SG_SG_bbb: ; @_ZN9rocsparseL26csrgemm_fill_block_per_rowILj128ELj16ELj256ELj137ELj64Eli21rocsparse_complex_numIfEEEvT5_PKS3_S5_NS_24const_host_device_scalarIT6_EEPKT4_S5_PKS7_SB_S5_SD_S8_SB_S5_SD_SB_PS3_PS7_21rocsparse_index_base_SG_SG_SG_bbb
; %bb.0:
	s_clause 0x6
	s_load_b32 s2, s[0:1], 0x98
	s_load_b256 s[4:11], s[0:1], 0x60
	s_load_b256 s[16:23], s[0:1], 0x40
	s_load_b128 s[40:43], s[0:1], 0x8
	s_load_b256 s[24:31], s[0:1], 0x20
	s_load_b64 s[12:13], s[0:1], 0x80
	s_load_b128 s[36:39], s[0:1], 0x88
	s_mov_b32 s35, 0
	s_mov_b32 s44, 0
	s_waitcnt lgkmcnt(0)
	s_bitcmp1_b32 s2, 0
	s_cselect_b32 s3, -1, 0
	s_bitcmp1_b32 s2, 16
	s_cselect_b32 s14, -1, 0
	s_delay_alu instid0(SALU_CYCLE_1) | instskip(SKIP_2) | instid1(VALU_DEP_1)
	s_xor_b32 s14, s14, -1
	s_bitcmp0_b32 s2, 0
	v_cndmask_b32_e64 v1, 0, 1, s14
	v_cmp_ne_u32_e32 vcc_lo, 1, v1
	s_cbranch_scc1 .LBB221_5
; %bb.1:
	s_load_b64 s[34:35], s[0:1], 0x18
	s_and_b32 vcc_lo, exec_lo, vcc_lo
	s_waitcnt lgkmcnt(0)
	s_mov_b32 s44, s34
	s_cbranch_vccnz .LBB221_3
; %bb.2:
	s_load_b32 s44, s[34:35], 0x0
.LBB221_3:
	s_and_not1_b32 vcc_lo, exec_lo, s14
	s_cbranch_vccnz .LBB221_5
; %bb.4:
	s_load_b32 s35, s[34:35], 0x4
.LBB221_5:
	s_bitcmp1_b32 s2, 8
	s_mov_b32 s34, 0
	s_cselect_b32 s45, -1, 0
	s_bfe_u32 s2, s2, 0x10008
	s_mov_b32 s33, 0
	s_cmp_eq_u32 s2, 0
	s_cbranch_scc1 .LBB221_11
; %bb.6:
	v_cmp_ne_u32_e32 vcc_lo, 1, v1
	s_mov_b32 s33, s20
	s_cbranch_vccnz .LBB221_8
; %bb.7:
	s_load_b32 s33, s[20:21], 0x0
.LBB221_8:
	v_cmp_ne_u32_e32 vcc_lo, 1, v1
	s_cbranch_vccnz .LBB221_10
; %bb.9:
	s_load_b32 s21, s[20:21], 0x4
.LBB221_10:
	s_waitcnt lgkmcnt(0)
	s_mov_b32 s34, s21
.LBB221_11:
	s_load_b32 s20, s[0:1], 0x0
	v_cmp_gt_u32_e64 s0, 0x100, v0
	v_lshlrev_b32_e32 v9, 3, v0
	v_or_b32_e32 v7, 0xffffff80, v0
	v_lshl_add_u32 v8, v0, 2, 0
	s_delay_alu instid0(VALU_DEP_4)
	s_and_saveexec_b32 s1, s0
	s_cbranch_execz .LBB221_14
; %bb.12:
	v_add3_u32 v1, v9, 0, 0x400
	v_or_b32_e32 v2, 0xffffff80, v0
	v_lshl_add_u32 v3, v0, 2, 0
	s_waitcnt lgkmcnt(0)
	v_dual_mov_b32 v4, s20 :: v_dual_mov_b32 v5, 0
	s_mov_b32 s2, 0
.LBB221_13:                             ; =>This Inner Loop Header: Depth=1
	v_add_co_u32 v2, s14, 0x80, v2
	s_delay_alu instid0(VALU_DEP_1)
	s_xor_b32 s14, s14, -1
	ds_store_b32 v3, v4
	ds_store_2addr_b32 v1, v5, v5 offset1:1
	v_add_nc_u32_e32 v1, 0x400, v1
	v_add_nc_u32_e32 v3, 0x200, v3
	s_and_b32 s14, exec_lo, s14
	s_delay_alu instid0(SALU_CYCLE_1) | instskip(NEXT) | instid1(SALU_CYCLE_1)
	s_or_b32 s2, s14, s2
	s_and_not1_b32 exec_lo, exec_lo, s2
	s_cbranch_execnz .LBB221_13
.LBB221_14:
	s_or_b32 exec_lo, exec_lo, s1
	s_waitcnt lgkmcnt(0)
	s_barrier
	buffer_gl0_inv
	s_load_b32 s1, s[40:41], 0x0
	v_lshrrev_b32_e32 v10, 4, v0
	s_waitcnt lgkmcnt(0)
	s_add_i32 s14, s1, s15
	s_mov_b32 s15, 0
	s_delay_alu instid0(SALU_CYCLE_1) | instskip(NEXT) | instid1(SALU_CYCLE_1)
	s_lshl_b64 s[14:15], s[14:15], 2
	s_add_u32 s14, s42, s14
	s_addc_u32 s15, s43, s15
	s_and_b32 vcc_lo, exec_lo, s3
	s_load_b32 s2, s[14:15], 0x0
	s_cbranch_vccz .LBB221_34
; %bb.15:
	s_waitcnt lgkmcnt(0)
	s_ashr_i32 s3, s2, 31
	v_sub_co_u32 v1, s1, v10, s36
	s_lshl_b64 s[14:15], s[2:3], 3
	v_sub_co_ci_u32_e64 v2, null, 0, 0, s1
	s_add_u32 s14, s24, s14
	s_addc_u32 s15, s25, s15
	s_mov_b32 s1, exec_lo
	s_load_b128 s[40:43], s[14:15], 0x0
	s_waitcnt lgkmcnt(0)
	v_add_co_u32 v1, vcc_lo, s40, v1
	v_add_co_ci_u32_e32 v2, vcc_lo, s41, v2, vcc_lo
	s_sub_u32 s14, s42, s36
	s_subb_u32 s15, s43, 0
	s_delay_alu instid0(VALU_DEP_1) | instid1(SALU_CYCLE_1)
	v_cmpx_gt_i64_e64 s[14:15], v[1:2]
	s_cbranch_execz .LBB221_33
; %bb.16:
	v_and_b32_e32 v3, 15, v0
	s_mov_b32 s21, s37
	s_delay_alu instid0(VALU_DEP_1) | instskip(NEXT) | instid1(VALU_DEP_1)
	v_sub_co_u32 v11, s3, v3, s37
	v_sub_co_ci_u32_e64 v12, null, 0, 0, s3
	s_mov_b32 s3, 0
	s_branch .LBB221_18
.LBB221_17:                             ;   in Loop: Header=BB221_18 Depth=1
	s_or_b32 exec_lo, exec_lo, s24
	v_add_co_u32 v1, vcc_lo, v1, 8
	v_add_co_ci_u32_e32 v2, vcc_lo, 0, v2, vcc_lo
	s_delay_alu instid0(VALU_DEP_1) | instskip(SKIP_1) | instid1(SALU_CYCLE_1)
	v_cmp_le_i64_e32 vcc_lo, s[14:15], v[1:2]
	s_or_b32 s3, vcc_lo, s3
	s_and_not1_b32 exec_lo, exec_lo, s3
	s_cbranch_execz .LBB221_33
.LBB221_18:                             ; =>This Loop Header: Depth=1
                                        ;     Child Loop BB221_21 Depth 2
                                        ;       Child Loop BB221_23 Depth 3
	v_lshlrev_b64 v[3:4], 2, v[1:2]
	s_mov_b32 s24, exec_lo
	s_delay_alu instid0(VALU_DEP_1) | instskip(NEXT) | instid1(VALU_DEP_2)
	v_add_co_u32 v3, vcc_lo, s26, v3
	v_add_co_ci_u32_e32 v4, vcc_lo, s27, v4, vcc_lo
	global_load_b32 v3, v[3:4], off
	s_waitcnt vmcnt(0)
	v_subrev_nc_u32_e32 v3, s36, v3
	s_delay_alu instid0(VALU_DEP_1) | instskip(NEXT) | instid1(VALU_DEP_1)
	v_ashrrev_i32_e32 v4, 31, v3
	v_lshlrev_b64 v[3:4], 3, v[3:4]
	s_delay_alu instid0(VALU_DEP_1) | instskip(NEXT) | instid1(VALU_DEP_2)
	v_add_co_u32 v3, vcc_lo, s30, v3
	v_add_co_ci_u32_e32 v4, vcc_lo, s31, v4, vcc_lo
	global_load_b128 v[13:16], v[3:4], off
	s_waitcnt vmcnt(0)
	v_sub_co_u32 v3, vcc_lo, v15, s21
	v_subrev_co_ci_u32_e32 v4, vcc_lo, 0, v16, vcc_lo
	v_add_co_u32 v5, vcc_lo, v13, v11
	v_add_co_ci_u32_e32 v6, vcc_lo, v14, v12, vcc_lo
	s_delay_alu instid0(VALU_DEP_1)
	v_cmpx_lt_i64_e64 v[5:6], v[3:4]
	s_cbranch_execz .LBB221_17
; %bb.19:                               ;   in Loop: Header=BB221_18 Depth=1
	v_lshlrev_b64 v[13:14], 3, v[1:2]
	s_mov_b32 s25, 0
	s_delay_alu instid0(VALU_DEP_1) | instskip(NEXT) | instid1(VALU_DEP_2)
	v_add_co_u32 v13, vcc_lo, s28, v13
	v_add_co_ci_u32_e32 v14, vcc_lo, s29, v14, vcc_lo
	global_load_b64 v[15:16], v[13:14], off
	s_waitcnt vmcnt(0)
	v_mul_f32_e64 v13, v16, -s35
	s_delay_alu instid0(VALU_DEP_1) | instskip(NEXT) | instid1(VALU_DEP_1)
	v_dual_mul_f32 v14, s44, v16 :: v_dual_fmac_f32 v13, s44, v15
	v_fmac_f32_e32 v14, s35, v15
	s_branch .LBB221_21
.LBB221_20:                             ;   in Loop: Header=BB221_21 Depth=2
	s_or_b32 exec_lo, exec_lo, s40
	v_add_co_u32 v5, vcc_lo, v5, 16
	v_add_co_ci_u32_e32 v6, vcc_lo, 0, v6, vcc_lo
	s_delay_alu instid0(VALU_DEP_1) | instskip(SKIP_1) | instid1(SALU_CYCLE_1)
	v_cmp_ge_i64_e32 vcc_lo, v[5:6], v[3:4]
	s_or_b32 s25, vcc_lo, s25
	s_and_not1_b32 exec_lo, exec_lo, s25
	s_cbranch_execz .LBB221_17
.LBB221_21:                             ;   Parent Loop BB221_18 Depth=1
                                        ; =>  This Loop Header: Depth=2
                                        ;       Child Loop BB221_23 Depth 3
	v_lshlrev_b64 v[15:16], 2, v[5:6]
	v_lshlrev_b64 v[17:18], 3, v[5:6]
	s_mov_b32 s40, 0
	s_delay_alu instid0(VALU_DEP_2) | instskip(NEXT) | instid1(VALU_DEP_3)
	v_add_co_u32 v15, vcc_lo, s16, v15
	v_add_co_ci_u32_e32 v16, vcc_lo, s17, v16, vcc_lo
	global_load_b32 v20, v[15:16], off
	v_add_co_u32 v15, vcc_lo, s18, v17
	v_add_co_ci_u32_e32 v16, vcc_lo, s19, v18, vcc_lo
	global_load_b64 v[18:19], v[15:16], off
	s_waitcnt vmcnt(1)
	v_subrev_nc_u32_e32 v15, s37, v20
	s_delay_alu instid0(VALU_DEP_1) | instskip(SKIP_3) | instid1(VALU_DEP_2)
	v_mul_lo_u32 v20, 0x89, v15
	s_waitcnt vmcnt(0)
	v_mul_f32_e64 v16, v19, -v14
	v_mul_f32_e32 v17, v13, v19
	v_fmac_f32_e32 v16, v13, v18
	s_delay_alu instid0(VALU_DEP_2)
	v_dual_fmac_f32 v17, v14, v18 :: v_dual_and_b32 v18, 0xff, v20
	s_branch .LBB221_23
.LBB221_22:                             ;   in Loop: Header=BB221_23 Depth=3
	s_or_b32 exec_lo, exec_lo, s41
	s_xor_b32 s41, s42, -1
	s_delay_alu instid0(SALU_CYCLE_1) | instskip(NEXT) | instid1(SALU_CYCLE_1)
	s_and_b32 s41, exec_lo, s41
	s_or_b32 s40, s41, s40
	s_delay_alu instid0(SALU_CYCLE_1)
	s_and_not1_b32 exec_lo, exec_lo, s40
	s_cbranch_execz .LBB221_20
.LBB221_23:                             ;   Parent Loop BB221_18 Depth=1
                                        ;     Parent Loop BB221_21 Depth=2
                                        ; =>    This Inner Loop Header: Depth=3
	s_delay_alu instid0(VALU_DEP_1)
	v_lshl_add_u32 v19, v18, 2, 0
	s_mov_b32 s41, exec_lo
                                        ; implicit-def: $sgpr42
	ds_load_b32 v20, v19
	s_waitcnt lgkmcnt(0)
	v_cmpx_ne_u32_e64 v20, v15
	s_xor_b32 s41, exec_lo, s41
	s_cbranch_execz .LBB221_31
; %bb.24:                               ;   in Loop: Header=BB221_23 Depth=3
	s_mov_b32 s43, exec_lo
                                        ; implicit-def: $sgpr42
	v_cmpx_ne_u32_e64 s20, v20
	s_xor_b32 s43, exec_lo, s43
; %bb.25:                               ;   in Loop: Header=BB221_23 Depth=3
	v_add_nc_u32_e32 v18, 1, v18
	s_mov_b32 s42, -1
                                        ; implicit-def: $vgpr19
	s_delay_alu instid0(VALU_DEP_1)
	v_and_b32_e32 v18, 0xff, v18
; %bb.26:                               ;   in Loop: Header=BB221_23 Depth=3
	s_and_not1_saveexec_b32 s43, s43
	s_cbranch_execz .LBB221_30
; %bb.27:                               ;   in Loop: Header=BB221_23 Depth=3
	v_mov_b32_e32 v20, s20
	s_mov_b32 s46, -1
	s_mov_b32 s47, exec_lo
	ds_cmpstore_rtn_b32 v20, v19, v15, v20
	s_waitcnt lgkmcnt(0)
	v_cmpx_eq_u32_e64 s20, v20
	s_cbranch_execz .LBB221_29
; %bb.28:                               ;   in Loop: Header=BB221_23 Depth=3
	v_lshl_add_u32 v19, v18, 2, v19
	s_xor_b32 s46, exec_lo, -1
	ds_add_f32 v19, v16 offset:1024
	ds_add_f32 v19, v17 offset:1028
.LBB221_29:                             ;   in Loop: Header=BB221_23 Depth=3
	s_or_b32 exec_lo, exec_lo, s47
	s_delay_alu instid0(SALU_CYCLE_1) | instskip(SKIP_1) | instid1(SALU_CYCLE_1)
	s_and_not1_b32 s42, s42, exec_lo
	s_and_b32 s46, s46, exec_lo
	s_or_b32 s42, s42, s46
.LBB221_30:                             ;   in Loop: Header=BB221_23 Depth=3
	s_or_b32 exec_lo, exec_lo, s43
	s_delay_alu instid0(SALU_CYCLE_1)
	s_and_b32 s42, s42, exec_lo
                                        ; implicit-def: $vgpr19
.LBB221_31:                             ;   in Loop: Header=BB221_23 Depth=3
	s_and_not1_saveexec_b32 s41, s41
	s_cbranch_execz .LBB221_22
; %bb.32:                               ;   in Loop: Header=BB221_23 Depth=3
	v_lshl_add_u32 v19, v18, 2, v19
	s_and_not1_b32 s42, s42, exec_lo
	ds_add_f32 v19, v16 offset:1024
	ds_add_f32 v19, v17 offset:1028
	s_branch .LBB221_22
.LBB221_33:
	s_or_b32 exec_lo, exec_lo, s1
.LBB221_34:
	s_delay_alu instid0(SALU_CYCLE_1)
	s_and_not1_b32 vcc_lo, exec_lo, s45
	s_cbranch_vccnz .LBB221_37
; %bb.35:
	s_waitcnt lgkmcnt(0)
	s_ashr_i32 s3, s2, 31
	v_sub_co_u32 v1, s1, v0, s39
	s_lshl_b64 s[14:15], s[2:3], 3
	v_sub_co_ci_u32_e64 v2, null, 0, 0, s1
	s_add_u32 s14, s22, s14
	s_addc_u32 s15, s23, s15
	s_mov_b32 s3, 0
	s_load_b128 s[16:19], s[14:15], 0x0
	s_mov_b32 s1, exec_lo
	s_waitcnt lgkmcnt(0)
	v_add_co_u32 v1, vcc_lo, s16, v1
	v_add_co_ci_u32_e32 v2, vcc_lo, s17, v2, vcc_lo
	s_sub_u32 s14, s18, s39
	s_subb_u32 s15, s19, 0
	s_delay_alu instid0(VALU_DEP_1) | instid1(SALU_CYCLE_1)
	v_cmpx_gt_i64_e64 s[14:15], v[1:2]
	s_cbranch_execnz .LBB221_47
.LBB221_36:
	s_or_b32 exec_lo, exec_lo, s1
.LBB221_37:
	s_waitcnt lgkmcnt(0)
	s_barrier
	buffer_gl0_inv
	s_and_saveexec_b32 s3, s0
	s_cbranch_execz .LBB221_59
; %bb.38:
	v_mbcnt_lo_u32_b32 v1, -1, 0
	v_and_b32_e32 v2, 4, v10
	v_add3_u32 v4, v9, 0, 0x400
	v_mov_b32_e32 v9, 0
	v_cmp_lt_u32_e32 vcc_lo, 63, v0
	v_xor_b32_e32 v1, 63, v1
	v_dual_mov_b32 v6, 0 :: v_dual_add_nc_u32 v5, 0, v2
	v_cmp_eq_u32_e64 s0, 0x7f, v0
	s_mov_b32 s4, 0
	s_delay_alu instid0(VALU_DEP_3)
	v_lshrrev_b64 v[1:2], v1, -1
	s_branch .LBB221_40
.LBB221_39:                             ;   in Loop: Header=BB221_40 Depth=1
	s_or_b32 exec_lo, exec_lo, s1
	s_waitcnt lgkmcnt(0)
	s_barrier
	buffer_gl0_inv
	ds_load_b32 v2, v6 offset:3076
	v_add_co_u32 v7, s1, 0x80, v7
	s_delay_alu instid0(VALU_DEP_1) | instskip(SKIP_3) | instid1(SALU_CYCLE_1)
	s_xor_b32 s1, s1, -1
	v_add_nc_u32_e32 v4, 0x400, v4
	v_add_nc_u32_e32 v8, 0x200, v8
	s_and_b32 s1, exec_lo, s1
	s_or_b32 s4, s1, s4
	s_waitcnt lgkmcnt(0)
	v_add_nc_u32_e32 v9, v2, v9
	s_and_not1_b32 exec_lo, exec_lo, s4
	s_cbranch_execz .LBB221_59
.LBB221_40:                             ; =>This Inner Loop Header: Depth=1
	ds_load_b32 v10, v8
	ds_load_2addr_b32 v[2:3], v4 offset1:1
	s_waitcnt lgkmcnt(0)
	s_barrier
	buffer_gl0_inv
	v_cmp_gt_i32_e64 s1, s20, v10
	s_delay_alu instid0(VALU_DEP_1) | instskip(NEXT) | instid1(SALU_CYCLE_1)
	s_bcnt1_i32_b32 s5, s1
	v_dual_mov_b32 v12, s5 :: v_dual_and_b32 v11, s1, v1
	s_delay_alu instid0(VALU_DEP_1)
	v_bcnt_u32_b32 v11, v11, 0
	ds_store_b32 v5, v12 offset:3072
	s_waitcnt lgkmcnt(0)
	s_barrier
	buffer_gl0_inv
	s_and_saveexec_b32 s5, vcc_lo
	s_cbranch_execnz .LBB221_43
; %bb.41:                               ;   in Loop: Header=BB221_40 Depth=1
	s_or_b32 exec_lo, exec_lo, s5
	s_and_saveexec_b32 s5, s1
	s_cbranch_execnz .LBB221_44
.LBB221_42:                             ;   in Loop: Header=BB221_40 Depth=1
	s_or_b32 exec_lo, exec_lo, s5
	s_and_saveexec_b32 s1, s0
	s_cbranch_execz .LBB221_39
	s_branch .LBB221_45
.LBB221_43:                             ;   in Loop: Header=BB221_40 Depth=1
	ds_load_b32 v12, v6 offset:3072
	s_waitcnt lgkmcnt(0)
	v_add_nc_u32_e32 v11, v12, v11
	s_or_b32 exec_lo, exec_lo, s5
	s_and_saveexec_b32 s5, s1
	s_cbranch_execz .LBB221_42
.LBB221_44:                             ;   in Loop: Header=BB221_40 Depth=1
	s_delay_alu instid0(VALU_DEP_1) | instskip(NEXT) | instid1(VALU_DEP_1)
	v_add3_u32 v12, v9, -1, v11
	v_lshlrev_b32_e32 v13, 3, v12
	v_lshl_add_u32 v12, v12, 2, 0
	s_delay_alu instid0(VALU_DEP_2)
	v_add3_u32 v13, 0, v13, 0x400
	ds_store_b32 v12, v10
	ds_store_2addr_b32 v13, v2, v3 offset1:1
	s_or_b32 exec_lo, exec_lo, s5
	s_and_saveexec_b32 s1, s0
	s_cbranch_execz .LBB221_39
.LBB221_45:                             ;   in Loop: Header=BB221_40 Depth=1
	ds_store_b32 v6, v11 offset:3076
	s_branch .LBB221_39
.LBB221_46:                             ;   in Loop: Header=BB221_47 Depth=1
	s_or_b32 exec_lo, exec_lo, s16
	v_add_co_u32 v1, vcc_lo, 0x80, v1
	v_add_co_ci_u32_e32 v2, vcc_lo, 0, v2, vcc_lo
	s_delay_alu instid0(VALU_DEP_1) | instskip(SKIP_1) | instid1(SALU_CYCLE_1)
	v_cmp_le_i64_e32 vcc_lo, s[14:15], v[1:2]
	s_or_b32 s3, vcc_lo, s3
	s_and_not1_b32 exec_lo, exec_lo, s3
	s_cbranch_execz .LBB221_36
.LBB221_47:                             ; =>This Loop Header: Depth=1
                                        ;     Child Loop BB221_49 Depth 2
	v_lshlrev_b64 v[3:4], 2, v[1:2]
	v_lshlrev_b64 v[5:6], 3, v[1:2]
	s_mov_b32 s16, 0
	s_delay_alu instid0(VALU_DEP_2) | instskip(NEXT) | instid1(VALU_DEP_3)
	v_add_co_u32 v3, vcc_lo, s4, v3
	v_add_co_ci_u32_e32 v4, vcc_lo, s5, v4, vcc_lo
	global_load_b32 v13, v[3:4], off
	v_add_co_u32 v3, vcc_lo, s6, v5
	v_add_co_ci_u32_e32 v4, vcc_lo, s7, v6, vcc_lo
	global_load_b64 v[11:12], v[3:4], off
	s_waitcnt vmcnt(1)
	v_subrev_nc_u32_e32 v3, s39, v13
	s_delay_alu instid0(VALU_DEP_1) | instskip(SKIP_2) | instid1(VALU_DEP_1)
	v_mul_lo_u32 v6, 0x89, v3
	s_waitcnt vmcnt(0)
	v_mul_f32_e64 v4, v12, -s34
	v_dual_mul_f32 v5, s33, v12 :: v_dual_fmac_f32 v4, s33, v11
	s_delay_alu instid0(VALU_DEP_1)
	v_dual_fmac_f32 v5, s34, v11 :: v_dual_and_b32 v6, 0xff, v6
	s_branch .LBB221_49
.LBB221_48:                             ;   in Loop: Header=BB221_49 Depth=2
	s_or_b32 exec_lo, exec_lo, s17
	s_xor_b32 s17, s18, -1
	s_delay_alu instid0(SALU_CYCLE_1) | instskip(NEXT) | instid1(SALU_CYCLE_1)
	s_and_b32 s17, exec_lo, s17
	s_or_b32 s16, s17, s16
	s_delay_alu instid0(SALU_CYCLE_1)
	s_and_not1_b32 exec_lo, exec_lo, s16
	s_cbranch_execz .LBB221_46
.LBB221_49:                             ;   Parent Loop BB221_47 Depth=1
                                        ; =>  This Inner Loop Header: Depth=2
	s_delay_alu instid0(VALU_DEP_1)
	v_lshl_add_u32 v11, v6, 2, 0
	s_mov_b32 s17, exec_lo
                                        ; implicit-def: $sgpr18
	ds_load_b32 v12, v11
	s_waitcnt lgkmcnt(0)
	v_cmpx_ne_u32_e64 v12, v3
	s_xor_b32 s17, exec_lo, s17
	s_cbranch_execz .LBB221_57
; %bb.50:                               ;   in Loop: Header=BB221_49 Depth=2
	s_mov_b32 s19, exec_lo
                                        ; implicit-def: $sgpr18
	v_cmpx_ne_u32_e64 s20, v12
	s_xor_b32 s19, exec_lo, s19
; %bb.51:                               ;   in Loop: Header=BB221_49 Depth=2
	v_add_nc_u32_e32 v6, 1, v6
	s_mov_b32 s18, -1
                                        ; implicit-def: $vgpr11
	s_delay_alu instid0(VALU_DEP_1)
	v_and_b32_e32 v6, 0xff, v6
; %bb.52:                               ;   in Loop: Header=BB221_49 Depth=2
	s_and_not1_saveexec_b32 s19, s19
	s_cbranch_execz .LBB221_56
; %bb.53:                               ;   in Loop: Header=BB221_49 Depth=2
	v_mov_b32_e32 v12, s20
	s_mov_b32 s21, -1
	s_mov_b32 s22, exec_lo
	ds_cmpstore_rtn_b32 v12, v11, v3, v12
	s_waitcnt lgkmcnt(0)
	v_cmpx_eq_u32_e64 s20, v12
	s_cbranch_execz .LBB221_55
; %bb.54:                               ;   in Loop: Header=BB221_49 Depth=2
	v_lshl_add_u32 v11, v6, 2, v11
	s_xor_b32 s21, exec_lo, -1
	ds_add_f32 v11, v4 offset:1024
	ds_add_f32 v11, v5 offset:1028
.LBB221_55:                             ;   in Loop: Header=BB221_49 Depth=2
	s_or_b32 exec_lo, exec_lo, s22
	s_delay_alu instid0(SALU_CYCLE_1) | instskip(SKIP_1) | instid1(SALU_CYCLE_1)
	s_and_not1_b32 s18, s18, exec_lo
	s_and_b32 s21, s21, exec_lo
	s_or_b32 s18, s18, s21
.LBB221_56:                             ;   in Loop: Header=BB221_49 Depth=2
	s_or_b32 exec_lo, exec_lo, s19
	s_delay_alu instid0(SALU_CYCLE_1)
	s_and_b32 s18, s18, exec_lo
                                        ; implicit-def: $vgpr11
.LBB221_57:                             ;   in Loop: Header=BB221_49 Depth=2
	s_and_not1_saveexec_b32 s17, s17
	s_cbranch_execz .LBB221_48
; %bb.58:                               ;   in Loop: Header=BB221_49 Depth=2
	v_lshl_add_u32 v11, v6, 2, v11
	s_and_not1_b32 s18, s18, exec_lo
	ds_add_f32 v11, v4 offset:1024
	ds_add_f32 v11, v5 offset:1028
	s_branch .LBB221_48
.LBB221_59:
	s_or_b32 exec_lo, exec_lo, s3
	s_ashr_i32 s3, s2, 31
	s_mov_b32 s4, exec_lo
	s_lshl_b64 s[0:1], s[2:3], 3
	s_delay_alu instid0(SALU_CYCLE_1) | instskip(SKIP_4) | instid1(SALU_CYCLE_1)
	s_add_u32 s0, s8, s0
	s_addc_u32 s1, s9, s1
	s_load_b128 s[0:3], s[0:1], 0x0
	s_waitcnt lgkmcnt(0)
	s_sub_i32 s3, s2, s0
	v_cmpx_gt_i32_e64 s3, v0
	s_cbranch_execz .LBB221_69
; %bb.60:
	s_sub_u32 s4, s0, s38
	s_subb_u32 s5, s1, 0
	s_sub_i32 s0, s0, s2
	s_and_b32 s1, s3, 7
	s_cmp_lt_u32 s0, -7
	s_mov_b32 s8, 0
	s_cselect_b32 s2, -1, 0
	s_and_b32 s6, s3, -8
	s_cmp_lg_u32 s1, 0
	s_cselect_b32 s7, -1, 0
	s_branch .LBB221_62
.LBB221_61:                             ;   in Loop: Header=BB221_62 Depth=1
	s_delay_alu instid0(VALU_DEP_1) | instskip(SKIP_4) | instid1(VALU_DEP_4)
	v_lshlrev_b64 v[6:7], 2, v[3:4]
	v_lshlrev_b64 v[3:4], 3, v[3:4]
	v_add_nc_u32_e32 v0, 0x80, v0
	s_waitcnt lgkmcnt(1)
	v_add_nc_u32_e32 v8, s38, v5
	v_add_co_u32 v5, vcc_lo, s10, v6
	v_add_co_ci_u32_e32 v6, vcc_lo, s11, v7, vcc_lo
	v_cmp_le_i32_e32 vcc_lo, s3, v0
	v_add_co_u32 v3, s0, s12, v3
	s_delay_alu instid0(VALU_DEP_1)
	v_add_co_ci_u32_e64 v4, s0, s13, v4, s0
	s_or_b32 s8, vcc_lo, s8
	global_store_b32 v[5:6], v8, off
	s_waitcnt lgkmcnt(0)
	global_store_b64 v[3:4], v[1:2], off
	s_and_not1_b32 exec_lo, exec_lo, s8
	s_cbranch_execz .LBB221_69
.LBB221_62:                             ; =>This Loop Header: Depth=1
                                        ;     Child Loop BB221_64 Depth 2
                                        ;     Child Loop BB221_68 Depth 2
	v_lshlrev_b32_e32 v1, 2, v0
	v_dual_mov_b32 v3, s4 :: v_dual_mov_b32 v4, s5
	s_and_not1_b32 vcc_lo, exec_lo, s2
	s_mov_b32 s0, 0
	s_delay_alu instid0(VALU_DEP_2) | instskip(NEXT) | instid1(VALU_DEP_1)
	v_add_nc_u32_e32 v2, 0, v1
	v_add3_u32 v1, v2, v1, 0x400
	ds_load_b32 v5, v2
	ds_load_2addr_b32 v[1:2], v1 offset1:1
	s_cbranch_vccnz .LBB221_66
; %bb.63:                               ;   in Loop: Header=BB221_62 Depth=1
	v_dual_mov_b32 v3, s4 :: v_dual_mov_b32 v4, s5
	s_mov_b32 s9, 0
	s_mov_b32 s14, 0
.LBB221_64:                             ;   Parent Loop BB221_62 Depth=1
                                        ; =>  This Inner Loop Header: Depth=2
	s_delay_alu instid0(SALU_CYCLE_1)
	v_mov_b32_e32 v12, s14
	s_add_i32 s9, s9, 8
	s_add_i32 s14, s14, 32
	s_cmp_eq_u32 s6, s9
	ds_load_2addr_b32 v[6:7], v12 offset1:1
	ds_load_2addr_b32 v[8:9], v12 offset0:2 offset1:3
	ds_load_2addr_b32 v[10:11], v12 offset0:4 offset1:5
	;; [unrolled: 1-line block ×3, first 2 shown]
	s_waitcnt lgkmcnt(3)
	v_cmp_gt_i32_e32 vcc_lo, v5, v6
	v_cndmask_b32_e64 v6, 0, 1, vcc_lo
	v_cmp_gt_i32_e32 vcc_lo, v5, v7
	v_cndmask_b32_e64 v7, 0, 1, vcc_lo
	s_waitcnt lgkmcnt(2)
	v_cmp_gt_i32_e32 vcc_lo, v5, v8
	v_cndmask_b32_e64 v8, 0, 1, vcc_lo
	v_cmp_gt_i32_e32 vcc_lo, v5, v9
	v_cndmask_b32_e64 v9, 0, 1, vcc_lo
	s_waitcnt lgkmcnt(1)
	v_cmp_gt_i32_e32 vcc_lo, v5, v10
	v_cndmask_b32_e64 v10, 0, 1, vcc_lo
	v_add_co_u32 v3, vcc_lo, v3, v6
	v_add_co_ci_u32_e32 v4, vcc_lo, 0, v4, vcc_lo
	v_cmp_gt_i32_e32 vcc_lo, v5, v11
	s_delay_alu instid0(VALU_DEP_3) | instskip(NEXT) | instid1(VALU_DEP_1)
	v_add_co_u32 v3, s0, v3, v7
	v_add_co_ci_u32_e64 v4, s0, 0, v4, s0
	v_cndmask_b32_e64 v6, 0, 1, vcc_lo
	s_delay_alu instid0(VALU_DEP_3) | instskip(NEXT) | instid1(VALU_DEP_3)
	v_add_co_u32 v3, vcc_lo, v3, v8
	v_add_co_ci_u32_e32 v4, vcc_lo, 0, v4, vcc_lo
	s_waitcnt lgkmcnt(0)
	v_cmp_gt_i32_e32 vcc_lo, v5, v12
	s_delay_alu instid0(VALU_DEP_3) | instskip(NEXT) | instid1(VALU_DEP_1)
	v_add_co_u32 v3, s0, v3, v9
	v_add_co_ci_u32_e64 v4, s0, 0, v4, s0
	v_cndmask_b32_e64 v7, 0, 1, vcc_lo
	s_delay_alu instid0(VALU_DEP_3) | instskip(NEXT) | instid1(VALU_DEP_3)
	v_add_co_u32 v3, vcc_lo, v3, v10
	v_add_co_ci_u32_e32 v4, vcc_lo, 0, v4, vcc_lo
	v_cmp_gt_i32_e32 vcc_lo, v5, v13
	s_delay_alu instid0(VALU_DEP_3) | instskip(NEXT) | instid1(VALU_DEP_1)
	v_add_co_u32 v3, s0, v3, v6
	v_add_co_ci_u32_e64 v4, s0, 0, v4, s0
	v_cndmask_b32_e64 v6, 0, 1, vcc_lo
	s_delay_alu instid0(VALU_DEP_3) | instskip(NEXT) | instid1(VALU_DEP_3)
	v_add_co_u32 v3, vcc_lo, v3, v7
	v_add_co_ci_u32_e32 v4, vcc_lo, 0, v4, vcc_lo
	s_delay_alu instid0(VALU_DEP_2) | instskip(NEXT) | instid1(VALU_DEP_2)
	v_add_co_u32 v3, vcc_lo, v3, v6
	v_add_co_ci_u32_e32 v4, vcc_lo, 0, v4, vcc_lo
	s_cbranch_scc0 .LBB221_64
; %bb.65:                               ;   in Loop: Header=BB221_62 Depth=1
	s_mov_b32 s0, s6
.LBB221_66:                             ;   in Loop: Header=BB221_62 Depth=1
	s_and_not1_b32 vcc_lo, exec_lo, s7
	s_cbranch_vccnz .LBB221_61
; %bb.67:                               ;   in Loop: Header=BB221_62 Depth=1
	s_lshl_b32 s0, s0, 2
	s_mov_b32 s9, s1
	s_add_i32 s0, s0, 0
.LBB221_68:                             ;   Parent Loop BB221_62 Depth=1
                                        ; =>  This Inner Loop Header: Depth=2
	s_delay_alu instid0(SALU_CYCLE_1)
	v_mov_b32_e32 v6, s0
	s_add_i32 s9, s9, -1
	s_add_i32 s0, s0, 4
	s_cmp_lg_u32 s9, 0
	ds_load_b32 v6, v6
	s_waitcnt lgkmcnt(0)
	v_cmp_gt_i32_e32 vcc_lo, v5, v6
	v_cndmask_b32_e64 v6, 0, 1, vcc_lo
	s_delay_alu instid0(VALU_DEP_1)
	v_add_co_u32 v3, vcc_lo, v3, v6
	v_add_co_ci_u32_e32 v4, vcc_lo, 0, v4, vcc_lo
	s_cbranch_scc1 .LBB221_68
	s_branch .LBB221_61
.LBB221_69:
	s_nop 0
	s_sendmsg sendmsg(MSG_DEALLOC_VGPRS)
	s_endpgm
	.section	.rodata,"a",@progbits
	.p2align	6, 0x0
	.amdhsa_kernel _ZN9rocsparseL26csrgemm_fill_block_per_rowILj128ELj16ELj256ELj137ELj64Eli21rocsparse_complex_numIfEEEvT5_PKS3_S5_NS_24const_host_device_scalarIT6_EEPKT4_S5_PKS7_SB_S5_SD_S8_SB_S5_SD_SB_PS3_PS7_21rocsparse_index_base_SG_SG_SG_bbb
		.amdhsa_group_segment_fixed_size 0
		.amdhsa_private_segment_fixed_size 0
		.amdhsa_kernarg_size 156
		.amdhsa_user_sgpr_count 15
		.amdhsa_user_sgpr_dispatch_ptr 0
		.amdhsa_user_sgpr_queue_ptr 0
		.amdhsa_user_sgpr_kernarg_segment_ptr 1
		.amdhsa_user_sgpr_dispatch_id 0
		.amdhsa_user_sgpr_private_segment_size 0
		.amdhsa_wavefront_size32 1
		.amdhsa_uses_dynamic_stack 0
		.amdhsa_enable_private_segment 0
		.amdhsa_system_sgpr_workgroup_id_x 1
		.amdhsa_system_sgpr_workgroup_id_y 0
		.amdhsa_system_sgpr_workgroup_id_z 0
		.amdhsa_system_sgpr_workgroup_info 0
		.amdhsa_system_vgpr_workitem_id 0
		.amdhsa_next_free_vgpr 21
		.amdhsa_next_free_sgpr 48
		.amdhsa_reserve_vcc 1
		.amdhsa_float_round_mode_32 0
		.amdhsa_float_round_mode_16_64 0
		.amdhsa_float_denorm_mode_32 3
		.amdhsa_float_denorm_mode_16_64 3
		.amdhsa_dx10_clamp 1
		.amdhsa_ieee_mode 1
		.amdhsa_fp16_overflow 0
		.amdhsa_workgroup_processor_mode 1
		.amdhsa_memory_ordered 1
		.amdhsa_forward_progress 0
		.amdhsa_shared_vgpr_count 0
		.amdhsa_exception_fp_ieee_invalid_op 0
		.amdhsa_exception_fp_denorm_src 0
		.amdhsa_exception_fp_ieee_div_zero 0
		.amdhsa_exception_fp_ieee_overflow 0
		.amdhsa_exception_fp_ieee_underflow 0
		.amdhsa_exception_fp_ieee_inexact 0
		.amdhsa_exception_int_div_zero 0
	.end_amdhsa_kernel
	.section	.text._ZN9rocsparseL26csrgemm_fill_block_per_rowILj128ELj16ELj256ELj137ELj64Eli21rocsparse_complex_numIfEEEvT5_PKS3_S5_NS_24const_host_device_scalarIT6_EEPKT4_S5_PKS7_SB_S5_SD_S8_SB_S5_SD_SB_PS3_PS7_21rocsparse_index_base_SG_SG_SG_bbb,"axG",@progbits,_ZN9rocsparseL26csrgemm_fill_block_per_rowILj128ELj16ELj256ELj137ELj64Eli21rocsparse_complex_numIfEEEvT5_PKS3_S5_NS_24const_host_device_scalarIT6_EEPKT4_S5_PKS7_SB_S5_SD_S8_SB_S5_SD_SB_PS3_PS7_21rocsparse_index_base_SG_SG_SG_bbb,comdat
.Lfunc_end221:
	.size	_ZN9rocsparseL26csrgemm_fill_block_per_rowILj128ELj16ELj256ELj137ELj64Eli21rocsparse_complex_numIfEEEvT5_PKS3_S5_NS_24const_host_device_scalarIT6_EEPKT4_S5_PKS7_SB_S5_SD_S8_SB_S5_SD_SB_PS3_PS7_21rocsparse_index_base_SG_SG_SG_bbb, .Lfunc_end221-_ZN9rocsparseL26csrgemm_fill_block_per_rowILj128ELj16ELj256ELj137ELj64Eli21rocsparse_complex_numIfEEEvT5_PKS3_S5_NS_24const_host_device_scalarIT6_EEPKT4_S5_PKS7_SB_S5_SD_S8_SB_S5_SD_SB_PS3_PS7_21rocsparse_index_base_SG_SG_SG_bbb
                                        ; -- End function
	.section	.AMDGPU.csdata,"",@progbits
; Kernel info:
; codeLenInByte = 2908
; NumSgprs: 50
; NumVgprs: 21
; ScratchSize: 0
; MemoryBound: 0
; FloatMode: 240
; IeeeMode: 1
; LDSByteSize: 0 bytes/workgroup (compile time only)
; SGPRBlocks: 6
; VGPRBlocks: 2
; NumSGPRsForWavesPerEU: 50
; NumVGPRsForWavesPerEU: 21
; Occupancy: 16
; WaveLimiterHint : 1
; COMPUTE_PGM_RSRC2:SCRATCH_EN: 0
; COMPUTE_PGM_RSRC2:USER_SGPR: 15
; COMPUTE_PGM_RSRC2:TRAP_HANDLER: 0
; COMPUTE_PGM_RSRC2:TGID_X_EN: 1
; COMPUTE_PGM_RSRC2:TGID_Y_EN: 0
; COMPUTE_PGM_RSRC2:TGID_Z_EN: 0
; COMPUTE_PGM_RSRC2:TIDIG_COMP_CNT: 0
	.section	.text._ZN9rocsparseL26csrgemm_fill_block_per_rowILj256ELj32ELj512ELj137ELj32Eli21rocsparse_complex_numIfEEEvT5_PKS3_S5_NS_24const_host_device_scalarIT6_EEPKT4_S5_PKS7_SB_S5_SD_S8_SB_S5_SD_SB_PS3_PS7_21rocsparse_index_base_SG_SG_SG_bbb,"axG",@progbits,_ZN9rocsparseL26csrgemm_fill_block_per_rowILj256ELj32ELj512ELj137ELj32Eli21rocsparse_complex_numIfEEEvT5_PKS3_S5_NS_24const_host_device_scalarIT6_EEPKT4_S5_PKS7_SB_S5_SD_S8_SB_S5_SD_SB_PS3_PS7_21rocsparse_index_base_SG_SG_SG_bbb,comdat
	.globl	_ZN9rocsparseL26csrgemm_fill_block_per_rowILj256ELj32ELj512ELj137ELj32Eli21rocsparse_complex_numIfEEEvT5_PKS3_S5_NS_24const_host_device_scalarIT6_EEPKT4_S5_PKS7_SB_S5_SD_S8_SB_S5_SD_SB_PS3_PS7_21rocsparse_index_base_SG_SG_SG_bbb ; -- Begin function _ZN9rocsparseL26csrgemm_fill_block_per_rowILj256ELj32ELj512ELj137ELj32Eli21rocsparse_complex_numIfEEEvT5_PKS3_S5_NS_24const_host_device_scalarIT6_EEPKT4_S5_PKS7_SB_S5_SD_S8_SB_S5_SD_SB_PS3_PS7_21rocsparse_index_base_SG_SG_SG_bbb
	.p2align	8
	.type	_ZN9rocsparseL26csrgemm_fill_block_per_rowILj256ELj32ELj512ELj137ELj32Eli21rocsparse_complex_numIfEEEvT5_PKS3_S5_NS_24const_host_device_scalarIT6_EEPKT4_S5_PKS7_SB_S5_SD_S8_SB_S5_SD_SB_PS3_PS7_21rocsparse_index_base_SG_SG_SG_bbb,@function
_ZN9rocsparseL26csrgemm_fill_block_per_rowILj256ELj32ELj512ELj137ELj32Eli21rocsparse_complex_numIfEEEvT5_PKS3_S5_NS_24const_host_device_scalarIT6_EEPKT4_S5_PKS7_SB_S5_SD_S8_SB_S5_SD_SB_PS3_PS7_21rocsparse_index_base_SG_SG_SG_bbb: ; @_ZN9rocsparseL26csrgemm_fill_block_per_rowILj256ELj32ELj512ELj137ELj32Eli21rocsparse_complex_numIfEEEvT5_PKS3_S5_NS_24const_host_device_scalarIT6_EEPKT4_S5_PKS7_SB_S5_SD_S8_SB_S5_SD_SB_PS3_PS7_21rocsparse_index_base_SG_SG_SG_bbb
; %bb.0:
	s_clause 0x6
	s_load_b32 s14, s[0:1], 0x98
	s_load_b256 s[4:11], s[0:1], 0x60
	s_load_b256 s[16:23], s[0:1], 0x40
	s_load_b128 s[40:43], s[0:1], 0x8
	s_load_b256 s[24:31], s[0:1], 0x20
	s_load_b64 s[12:13], s[0:1], 0x80
	s_load_b128 s[36:39], s[0:1], 0x88
	s_mov_b32 s3, 0
	s_mov_b32 s44, 0
	s_waitcnt lgkmcnt(0)
	s_bitcmp1_b32 s14, 0
	s_cselect_b32 s45, -1, 0
	s_bitcmp1_b32 s14, 16
	s_cselect_b32 s2, -1, 0
	s_delay_alu instid0(SALU_CYCLE_1) | instskip(SKIP_2) | instid1(VALU_DEP_1)
	s_xor_b32 s33, s2, -1
	s_bitcmp0_b32 s14, 0
	v_cndmask_b32_e64 v1, 0, 1, s33
	v_cmp_ne_u32_e32 vcc_lo, 1, v1
	s_cbranch_scc1 .LBB222_5
; %bb.1:
	s_load_b64 s[2:3], s[0:1], 0x18
	s_and_b32 vcc_lo, exec_lo, vcc_lo
	s_waitcnt lgkmcnt(0)
	s_mov_b32 s44, s2
	s_cbranch_vccnz .LBB222_3
; %bb.2:
	s_load_b32 s44, s[2:3], 0x0
.LBB222_3:
	s_and_not1_b32 vcc_lo, exec_lo, s33
	s_cbranch_vccnz .LBB222_5
; %bb.4:
	s_load_b32 s3, s[2:3], 0x4
.LBB222_5:
	s_bitcmp1_b32 s14, 8
	s_mov_b32 s35, 0
	s_cselect_b32 s2, -1, 0
	s_bfe_u32 s14, s14, 0x10008
	s_mov_b32 s34, 0
	s_cmp_eq_u32 s14, 0
	s_cbranch_scc1 .LBB222_11
; %bb.6:
	v_cmp_ne_u32_e32 vcc_lo, 1, v1
	s_mov_b32 s34, s20
	s_cbranch_vccnz .LBB222_8
; %bb.7:
	s_load_b32 s34, s[20:21], 0x0
.LBB222_8:
	v_cmp_ne_u32_e32 vcc_lo, 1, v1
	s_cbranch_vccnz .LBB222_10
; %bb.9:
	s_load_b32 s21, s[20:21], 0x4
.LBB222_10:
	s_waitcnt lgkmcnt(0)
	s_mov_b32 s35, s21
.LBB222_11:
	s_load_b32 s33, s[0:1], 0x0
	v_cmp_gt_u32_e64 s0, 0x200, v0
	v_lshlrev_b32_e32 v9, 3, v0
	v_or_b32_e32 v7, 0xffffff00, v0
	v_lshl_add_u32 v8, v0, 2, 0
	s_delay_alu instid0(VALU_DEP_4)
	s_and_saveexec_b32 s1, s0
	s_cbranch_execz .LBB222_14
; %bb.12:
	v_add3_u32 v1, v9, 0, 0x800
	v_or_b32_e32 v2, 0xffffff00, v0
	v_lshl_add_u32 v3, v0, 2, 0
	s_waitcnt lgkmcnt(0)
	v_dual_mov_b32 v4, s33 :: v_dual_mov_b32 v5, 0
	s_mov_b32 s14, 0
.LBB222_13:                             ; =>This Inner Loop Header: Depth=1
	v_add_co_u32 v2, s20, 0x100, v2
	s_delay_alu instid0(VALU_DEP_1)
	s_xor_b32 s20, s20, -1
	ds_store_b32 v3, v4
	ds_store_2addr_b32 v1, v5, v5 offset1:1
	v_add_nc_u32_e32 v1, 0x800, v1
	v_add_nc_u32_e32 v3, 0x400, v3
	s_and_b32 s20, exec_lo, s20
	s_delay_alu instid0(SALU_CYCLE_1) | instskip(NEXT) | instid1(SALU_CYCLE_1)
	s_or_b32 s14, s20, s14
	s_and_not1_b32 exec_lo, exec_lo, s14
	s_cbranch_execnz .LBB222_13
.LBB222_14:
	s_or_b32 exec_lo, exec_lo, s1
	s_waitcnt lgkmcnt(0)
	s_barrier
	buffer_gl0_inv
	s_load_b32 s1, s[40:41], 0x0
	v_lshrrev_b32_e32 v10, 5, v0
	s_waitcnt lgkmcnt(0)
	s_add_i32 s14, s1, s15
	s_mov_b32 s15, 0
	s_delay_alu instid0(SALU_CYCLE_1) | instskip(NEXT) | instid1(SALU_CYCLE_1)
	s_lshl_b64 s[14:15], s[14:15], 2
	s_add_u32 s14, s42, s14
	s_addc_u32 s15, s43, s15
	s_and_b32 vcc_lo, exec_lo, s45
	s_load_b32 s14, s[14:15], 0x0
	s_cbranch_vccz .LBB222_34
; %bb.15:
	s_waitcnt lgkmcnt(0)
	s_ashr_i32 s15, s14, 31
	v_sub_co_u32 v1, s1, v10, s36
	s_lshl_b64 s[20:21], s[14:15], 3
	v_sub_co_ci_u32_e64 v2, null, 0, 0, s1
	s_add_u32 s20, s24, s20
	s_addc_u32 s21, s25, s21
	s_mov_b32 s1, exec_lo
	s_load_b128 s[40:43], s[20:21], 0x0
	s_waitcnt lgkmcnt(0)
	v_add_co_u32 v1, vcc_lo, s40, v1
	v_add_co_ci_u32_e32 v2, vcc_lo, s41, v2, vcc_lo
	s_sub_u32 s20, s42, s36
	s_subb_u32 s21, s43, 0
	s_delay_alu instid0(VALU_DEP_1) | instid1(SALU_CYCLE_1)
	v_cmpx_gt_i64_e64 s[20:21], v[1:2]
	s_cbranch_execz .LBB222_33
; %bb.16:
	v_and_b32_e32 v3, 31, v0
	s_mov_b32 s24, s37
	s_delay_alu instid0(VALU_DEP_1) | instskip(NEXT) | instid1(VALU_DEP_1)
	v_sub_co_u32 v11, s15, v3, s37
	v_sub_co_ci_u32_e64 v12, null, 0, 0, s15
	s_mov_b32 s15, 0
	s_branch .LBB222_18
.LBB222_17:                             ;   in Loop: Header=BB222_18 Depth=1
	s_or_b32 exec_lo, exec_lo, s25
	v_add_co_u32 v1, vcc_lo, v1, 8
	v_add_co_ci_u32_e32 v2, vcc_lo, 0, v2, vcc_lo
	s_delay_alu instid0(VALU_DEP_1) | instskip(SKIP_1) | instid1(SALU_CYCLE_1)
	v_cmp_le_i64_e32 vcc_lo, s[20:21], v[1:2]
	s_or_b32 s15, vcc_lo, s15
	s_and_not1_b32 exec_lo, exec_lo, s15
	s_cbranch_execz .LBB222_33
.LBB222_18:                             ; =>This Loop Header: Depth=1
                                        ;     Child Loop BB222_21 Depth 2
                                        ;       Child Loop BB222_23 Depth 3
	v_lshlrev_b64 v[3:4], 2, v[1:2]
	s_mov_b32 s25, exec_lo
	s_delay_alu instid0(VALU_DEP_1) | instskip(NEXT) | instid1(VALU_DEP_2)
	v_add_co_u32 v3, vcc_lo, s26, v3
	v_add_co_ci_u32_e32 v4, vcc_lo, s27, v4, vcc_lo
	global_load_b32 v3, v[3:4], off
	s_waitcnt vmcnt(0)
	v_subrev_nc_u32_e32 v3, s36, v3
	s_delay_alu instid0(VALU_DEP_1) | instskip(NEXT) | instid1(VALU_DEP_1)
	v_ashrrev_i32_e32 v4, 31, v3
	v_lshlrev_b64 v[3:4], 3, v[3:4]
	s_delay_alu instid0(VALU_DEP_1) | instskip(NEXT) | instid1(VALU_DEP_2)
	v_add_co_u32 v3, vcc_lo, s30, v3
	v_add_co_ci_u32_e32 v4, vcc_lo, s31, v4, vcc_lo
	global_load_b128 v[13:16], v[3:4], off
	s_waitcnt vmcnt(0)
	v_sub_co_u32 v3, vcc_lo, v15, s24
	v_subrev_co_ci_u32_e32 v4, vcc_lo, 0, v16, vcc_lo
	v_add_co_u32 v5, vcc_lo, v13, v11
	v_add_co_ci_u32_e32 v6, vcc_lo, v14, v12, vcc_lo
	s_delay_alu instid0(VALU_DEP_1)
	v_cmpx_lt_i64_e64 v[5:6], v[3:4]
	s_cbranch_execz .LBB222_17
; %bb.19:                               ;   in Loop: Header=BB222_18 Depth=1
	v_lshlrev_b64 v[13:14], 3, v[1:2]
	s_mov_b32 s40, 0
	s_delay_alu instid0(VALU_DEP_1) | instskip(NEXT) | instid1(VALU_DEP_2)
	v_add_co_u32 v13, vcc_lo, s28, v13
	v_add_co_ci_u32_e32 v14, vcc_lo, s29, v14, vcc_lo
	global_load_b64 v[15:16], v[13:14], off
	s_waitcnt vmcnt(0)
	v_mul_f32_e64 v13, v16, -s3
	s_delay_alu instid0(VALU_DEP_1) | instskip(NEXT) | instid1(VALU_DEP_1)
	v_dual_mul_f32 v14, s44, v16 :: v_dual_fmac_f32 v13, s44, v15
	v_fmac_f32_e32 v14, s3, v15
	s_branch .LBB222_21
.LBB222_20:                             ;   in Loop: Header=BB222_21 Depth=2
	s_or_b32 exec_lo, exec_lo, s41
	v_add_co_u32 v5, vcc_lo, v5, 32
	v_add_co_ci_u32_e32 v6, vcc_lo, 0, v6, vcc_lo
	s_delay_alu instid0(VALU_DEP_1) | instskip(SKIP_1) | instid1(SALU_CYCLE_1)
	v_cmp_ge_i64_e32 vcc_lo, v[5:6], v[3:4]
	s_or_b32 s40, vcc_lo, s40
	s_and_not1_b32 exec_lo, exec_lo, s40
	s_cbranch_execz .LBB222_17
.LBB222_21:                             ;   Parent Loop BB222_18 Depth=1
                                        ; =>  This Loop Header: Depth=2
                                        ;       Child Loop BB222_23 Depth 3
	v_lshlrev_b64 v[15:16], 2, v[5:6]
	v_lshlrev_b64 v[17:18], 3, v[5:6]
	s_mov_b32 s41, 0
	s_delay_alu instid0(VALU_DEP_2) | instskip(NEXT) | instid1(VALU_DEP_3)
	v_add_co_u32 v15, vcc_lo, s16, v15
	v_add_co_ci_u32_e32 v16, vcc_lo, s17, v16, vcc_lo
	global_load_b32 v20, v[15:16], off
	v_add_co_u32 v15, vcc_lo, s18, v17
	v_add_co_ci_u32_e32 v16, vcc_lo, s19, v18, vcc_lo
	global_load_b64 v[18:19], v[15:16], off
	s_waitcnt vmcnt(1)
	v_subrev_nc_u32_e32 v15, s37, v20
	s_delay_alu instid0(VALU_DEP_1) | instskip(SKIP_3) | instid1(VALU_DEP_2)
	v_mul_lo_u32 v20, 0x89, v15
	s_waitcnt vmcnt(0)
	v_mul_f32_e64 v16, v19, -v14
	v_mul_f32_e32 v17, v13, v19
	v_fmac_f32_e32 v16, v13, v18
	s_delay_alu instid0(VALU_DEP_2)
	v_dual_fmac_f32 v17, v14, v18 :: v_dual_and_b32 v18, 0x1ff, v20
	s_branch .LBB222_23
.LBB222_22:                             ;   in Loop: Header=BB222_23 Depth=3
	s_or_b32 exec_lo, exec_lo, s42
	s_xor_b32 s42, s43, -1
	s_delay_alu instid0(SALU_CYCLE_1) | instskip(NEXT) | instid1(SALU_CYCLE_1)
	s_and_b32 s42, exec_lo, s42
	s_or_b32 s41, s42, s41
	s_delay_alu instid0(SALU_CYCLE_1)
	s_and_not1_b32 exec_lo, exec_lo, s41
	s_cbranch_execz .LBB222_20
.LBB222_23:                             ;   Parent Loop BB222_18 Depth=1
                                        ;     Parent Loop BB222_21 Depth=2
                                        ; =>    This Inner Loop Header: Depth=3
	s_delay_alu instid0(VALU_DEP_1)
	v_lshl_add_u32 v19, v18, 2, 0
	s_mov_b32 s42, exec_lo
                                        ; implicit-def: $sgpr43
	ds_load_b32 v20, v19
	s_waitcnt lgkmcnt(0)
	v_cmpx_ne_u32_e64 v20, v15
	s_xor_b32 s42, exec_lo, s42
	s_cbranch_execz .LBB222_31
; %bb.24:                               ;   in Loop: Header=BB222_23 Depth=3
	s_mov_b32 s45, exec_lo
                                        ; implicit-def: $sgpr43
	v_cmpx_ne_u32_e64 s33, v20
	s_xor_b32 s45, exec_lo, s45
; %bb.25:                               ;   in Loop: Header=BB222_23 Depth=3
	v_add_nc_u32_e32 v18, 1, v18
	s_mov_b32 s43, -1
                                        ; implicit-def: $vgpr19
	s_delay_alu instid0(VALU_DEP_1)
	v_and_b32_e32 v18, 0x1ff, v18
; %bb.26:                               ;   in Loop: Header=BB222_23 Depth=3
	s_and_not1_saveexec_b32 s45, s45
	s_cbranch_execz .LBB222_30
; %bb.27:                               ;   in Loop: Header=BB222_23 Depth=3
	v_mov_b32_e32 v20, s33
	s_mov_b32 s46, -1
	s_mov_b32 s47, exec_lo
	ds_cmpstore_rtn_b32 v20, v19, v15, v20
	s_waitcnt lgkmcnt(0)
	v_cmpx_eq_u32_e64 s33, v20
	s_cbranch_execz .LBB222_29
; %bb.28:                               ;   in Loop: Header=BB222_23 Depth=3
	v_lshl_add_u32 v19, v18, 2, v19
	s_xor_b32 s46, exec_lo, -1
	ds_add_f32 v19, v16 offset:2048
	ds_add_f32 v19, v17 offset:2052
.LBB222_29:                             ;   in Loop: Header=BB222_23 Depth=3
	s_or_b32 exec_lo, exec_lo, s47
	s_delay_alu instid0(SALU_CYCLE_1) | instskip(SKIP_1) | instid1(SALU_CYCLE_1)
	s_and_not1_b32 s43, s43, exec_lo
	s_and_b32 s46, s46, exec_lo
	s_or_b32 s43, s43, s46
.LBB222_30:                             ;   in Loop: Header=BB222_23 Depth=3
	s_or_b32 exec_lo, exec_lo, s45
	s_delay_alu instid0(SALU_CYCLE_1)
	s_and_b32 s43, s43, exec_lo
                                        ; implicit-def: $vgpr19
.LBB222_31:                             ;   in Loop: Header=BB222_23 Depth=3
	s_and_not1_saveexec_b32 s42, s42
	s_cbranch_execz .LBB222_22
; %bb.32:                               ;   in Loop: Header=BB222_23 Depth=3
	v_lshl_add_u32 v19, v18, 2, v19
	s_and_not1_b32 s43, s43, exec_lo
	ds_add_f32 v19, v16 offset:2048
	ds_add_f32 v19, v17 offset:2052
	s_branch .LBB222_22
.LBB222_33:
	s_or_b32 exec_lo, exec_lo, s1
.LBB222_34:
	s_delay_alu instid0(SALU_CYCLE_1)
	s_and_not1_b32 vcc_lo, exec_lo, s2
	s_cbranch_vccnz .LBB222_37
; %bb.35:
	s_waitcnt lgkmcnt(0)
	s_ashr_i32 s15, s14, 31
	v_sub_co_u32 v1, s1, v0, s39
	s_lshl_b64 s[2:3], s[14:15], 3
	v_sub_co_ci_u32_e64 v2, null, 0, 0, s1
	s_add_u32 s2, s22, s2
	s_addc_u32 s3, s23, s3
	s_mov_b32 s15, 0
	s_load_b128 s[16:19], s[2:3], 0x0
	s_mov_b32 s1, exec_lo
	s_waitcnt lgkmcnt(0)
	v_add_co_u32 v1, vcc_lo, s16, v1
	v_add_co_ci_u32_e32 v2, vcc_lo, s17, v2, vcc_lo
	s_sub_u32 s2, s18, s39
	s_subb_u32 s3, s19, 0
	s_delay_alu instid0(VALU_DEP_1) | instid1(SALU_CYCLE_1)
	v_cmpx_gt_i64_e64 s[2:3], v[1:2]
	s_cbranch_execnz .LBB222_59
.LBB222_36:
	s_or_b32 exec_lo, exec_lo, s1
.LBB222_37:
	s_waitcnt lgkmcnt(0)
	s_barrier
	buffer_gl0_inv
	s_and_saveexec_b32 s15, s0
	s_cbranch_execz .LBB222_71
; %bb.38:
	v_mbcnt_lo_u32_b32 v1, -1, 0
	v_lshl_add_u32 v4, v10, 2, 0
	v_cmp_eq_u32_e32 vcc_lo, 0xff, v0
	v_cmp_lt_u32_e64 s0, 31, v0
	v_cmp_lt_u32_e64 s1, 63, v0
	v_xor_b32_e32 v1, 63, v1
	v_cmp_lt_u32_e64 s2, 0x5f, v0
	v_cmp_lt_u32_e64 s3, 0x7f, v0
	;; [unrolled: 1-line block ×4, first 2 shown]
	v_lshrrev_b64 v[1:2], v1, -1
	v_cmp_lt_u32_e64 s6, 0xdf, v0
	v_add3_u32 v5, v9, 0, 0x800
	v_dual_mov_b32 v6, 0 :: v_dual_mov_b32 v9, 0
	s_mov_b32 s16, 0
	s_branch .LBB222_40
.LBB222_39:                             ;   in Loop: Header=BB222_40 Depth=1
	s_or_b32 exec_lo, exec_lo, s7
	s_waitcnt lgkmcnt(0)
	s_barrier
	buffer_gl0_inv
	ds_load_b32 v2, v6 offset:6172
	v_add_co_u32 v7, s7, 0x100, v7
	s_delay_alu instid0(VALU_DEP_1) | instskip(SKIP_3) | instid1(SALU_CYCLE_1)
	s_xor_b32 s7, s7, -1
	v_add_nc_u32_e32 v5, 0x800, v5
	v_add_nc_u32_e32 v8, 0x400, v8
	s_and_b32 s7, exec_lo, s7
	s_or_b32 s16, s7, s16
	s_waitcnt lgkmcnt(0)
	v_add_nc_u32_e32 v9, v2, v9
	s_and_not1_b32 exec_lo, exec_lo, s16
	s_cbranch_execz .LBB222_71
.LBB222_40:                             ; =>This Inner Loop Header: Depth=1
	ds_load_b32 v10, v8
	ds_load_2addr_b32 v[2:3], v5 offset1:1
	s_waitcnt lgkmcnt(0)
	s_barrier
	buffer_gl0_inv
	v_cmp_gt_i32_e64 s7, s33, v10
	s_delay_alu instid0(VALU_DEP_1) | instskip(NEXT) | instid1(SALU_CYCLE_1)
	s_bcnt1_i32_b32 s17, s7
	v_dual_mov_b32 v12, s17 :: v_dual_and_b32 v11, s7, v1
	s_delay_alu instid0(VALU_DEP_1)
	v_bcnt_u32_b32 v11, v11, 0
	ds_store_b32 v4, v12 offset:6144
	s_waitcnt lgkmcnt(0)
	s_barrier
	buffer_gl0_inv
	s_and_saveexec_b32 s17, s0
	s_cbranch_execnz .LBB222_49
; %bb.41:                               ;   in Loop: Header=BB222_40 Depth=1
	s_or_b32 exec_lo, exec_lo, s17
	s_and_saveexec_b32 s17, s1
	s_cbranch_execnz .LBB222_50
.LBB222_42:                             ;   in Loop: Header=BB222_40 Depth=1
	s_or_b32 exec_lo, exec_lo, s17
	s_and_saveexec_b32 s17, s2
	s_cbranch_execnz .LBB222_51
.LBB222_43:                             ;   in Loop: Header=BB222_40 Depth=1
	s_or_b32 exec_lo, exec_lo, s17
	s_and_saveexec_b32 s17, s3
	s_cbranch_execnz .LBB222_52
.LBB222_44:                             ;   in Loop: Header=BB222_40 Depth=1
	s_or_b32 exec_lo, exec_lo, s17
	s_and_saveexec_b32 s17, s4
	s_cbranch_execnz .LBB222_53
.LBB222_45:                             ;   in Loop: Header=BB222_40 Depth=1
	s_or_b32 exec_lo, exec_lo, s17
	s_and_saveexec_b32 s17, s5
	s_cbranch_execnz .LBB222_54
.LBB222_46:                             ;   in Loop: Header=BB222_40 Depth=1
	s_or_b32 exec_lo, exec_lo, s17
	s_and_saveexec_b32 s17, s6
	s_cbranch_execnz .LBB222_55
.LBB222_47:                             ;   in Loop: Header=BB222_40 Depth=1
	s_or_b32 exec_lo, exec_lo, s17
	s_and_saveexec_b32 s17, s7
	s_cbranch_execnz .LBB222_56
.LBB222_48:                             ;   in Loop: Header=BB222_40 Depth=1
	s_or_b32 exec_lo, exec_lo, s17
	s_and_saveexec_b32 s7, vcc_lo
	s_cbranch_execz .LBB222_39
	s_branch .LBB222_57
.LBB222_49:                             ;   in Loop: Header=BB222_40 Depth=1
	ds_load_b32 v12, v6 offset:6144
	s_waitcnt lgkmcnt(0)
	v_add_nc_u32_e32 v11, v12, v11
	s_or_b32 exec_lo, exec_lo, s17
	s_and_saveexec_b32 s17, s1
	s_cbranch_execz .LBB222_42
.LBB222_50:                             ;   in Loop: Header=BB222_40 Depth=1
	ds_load_b32 v12, v6 offset:6148
	s_waitcnt lgkmcnt(0)
	v_add_nc_u32_e32 v11, v12, v11
	s_or_b32 exec_lo, exec_lo, s17
	s_and_saveexec_b32 s17, s2
	s_cbranch_execz .LBB222_43
.LBB222_51:                             ;   in Loop: Header=BB222_40 Depth=1
	ds_load_b32 v12, v6 offset:6152
	s_waitcnt lgkmcnt(0)
	v_add_nc_u32_e32 v11, v12, v11
	s_or_b32 exec_lo, exec_lo, s17
	s_and_saveexec_b32 s17, s3
	s_cbranch_execz .LBB222_44
.LBB222_52:                             ;   in Loop: Header=BB222_40 Depth=1
	ds_load_b32 v12, v6 offset:6156
	s_waitcnt lgkmcnt(0)
	v_add_nc_u32_e32 v11, v12, v11
	s_or_b32 exec_lo, exec_lo, s17
	s_and_saveexec_b32 s17, s4
	s_cbranch_execz .LBB222_45
.LBB222_53:                             ;   in Loop: Header=BB222_40 Depth=1
	ds_load_b32 v12, v6 offset:6160
	s_waitcnt lgkmcnt(0)
	v_add_nc_u32_e32 v11, v12, v11
	s_or_b32 exec_lo, exec_lo, s17
	s_and_saveexec_b32 s17, s5
	s_cbranch_execz .LBB222_46
.LBB222_54:                             ;   in Loop: Header=BB222_40 Depth=1
	ds_load_b32 v12, v6 offset:6164
	s_waitcnt lgkmcnt(0)
	v_add_nc_u32_e32 v11, v12, v11
	s_or_b32 exec_lo, exec_lo, s17
	s_and_saveexec_b32 s17, s6
	s_cbranch_execz .LBB222_47
.LBB222_55:                             ;   in Loop: Header=BB222_40 Depth=1
	ds_load_b32 v12, v6 offset:6168
	s_waitcnt lgkmcnt(0)
	v_add_nc_u32_e32 v11, v12, v11
	s_or_b32 exec_lo, exec_lo, s17
	s_and_saveexec_b32 s17, s7
	s_cbranch_execz .LBB222_48
.LBB222_56:                             ;   in Loop: Header=BB222_40 Depth=1
	s_delay_alu instid0(VALU_DEP_1) | instskip(NEXT) | instid1(VALU_DEP_1)
	v_add3_u32 v12, v9, -1, v11
	v_lshlrev_b32_e32 v13, 3, v12
	v_lshl_add_u32 v12, v12, 2, 0
	s_delay_alu instid0(VALU_DEP_2)
	v_add3_u32 v13, 0, v13, 0x800
	ds_store_b32 v12, v10
	ds_store_2addr_b32 v13, v2, v3 offset1:1
	s_or_b32 exec_lo, exec_lo, s17
	s_and_saveexec_b32 s7, vcc_lo
	s_cbranch_execz .LBB222_39
.LBB222_57:                             ;   in Loop: Header=BB222_40 Depth=1
	ds_store_b32 v6, v11 offset:6172
	s_branch .LBB222_39
.LBB222_58:                             ;   in Loop: Header=BB222_59 Depth=1
	s_or_b32 exec_lo, exec_lo, s16
	v_add_co_u32 v1, vcc_lo, 0x100, v1
	v_add_co_ci_u32_e32 v2, vcc_lo, 0, v2, vcc_lo
	s_delay_alu instid0(VALU_DEP_1) | instskip(SKIP_1) | instid1(SALU_CYCLE_1)
	v_cmp_le_i64_e32 vcc_lo, s[2:3], v[1:2]
	s_or_b32 s15, vcc_lo, s15
	s_and_not1_b32 exec_lo, exec_lo, s15
	s_cbranch_execz .LBB222_36
.LBB222_59:                             ; =>This Loop Header: Depth=1
                                        ;     Child Loop BB222_61 Depth 2
	v_lshlrev_b64 v[3:4], 2, v[1:2]
	v_lshlrev_b64 v[5:6], 3, v[1:2]
	s_mov_b32 s16, 0
	s_delay_alu instid0(VALU_DEP_2) | instskip(NEXT) | instid1(VALU_DEP_3)
	v_add_co_u32 v3, vcc_lo, s4, v3
	v_add_co_ci_u32_e32 v4, vcc_lo, s5, v4, vcc_lo
	global_load_b32 v13, v[3:4], off
	v_add_co_u32 v3, vcc_lo, s6, v5
	v_add_co_ci_u32_e32 v4, vcc_lo, s7, v6, vcc_lo
	global_load_b64 v[11:12], v[3:4], off
	s_waitcnt vmcnt(1)
	v_subrev_nc_u32_e32 v3, s39, v13
	s_delay_alu instid0(VALU_DEP_1) | instskip(SKIP_2) | instid1(VALU_DEP_1)
	v_mul_lo_u32 v6, 0x89, v3
	s_waitcnt vmcnt(0)
	v_mul_f32_e64 v4, v12, -s35
	v_dual_mul_f32 v5, s34, v12 :: v_dual_fmac_f32 v4, s34, v11
	s_delay_alu instid0(VALU_DEP_1)
	v_dual_fmac_f32 v5, s35, v11 :: v_dual_and_b32 v6, 0x1ff, v6
	s_branch .LBB222_61
.LBB222_60:                             ;   in Loop: Header=BB222_61 Depth=2
	s_or_b32 exec_lo, exec_lo, s17
	s_xor_b32 s17, s18, -1
	s_delay_alu instid0(SALU_CYCLE_1) | instskip(NEXT) | instid1(SALU_CYCLE_1)
	s_and_b32 s17, exec_lo, s17
	s_or_b32 s16, s17, s16
	s_delay_alu instid0(SALU_CYCLE_1)
	s_and_not1_b32 exec_lo, exec_lo, s16
	s_cbranch_execz .LBB222_58
.LBB222_61:                             ;   Parent Loop BB222_59 Depth=1
                                        ; =>  This Inner Loop Header: Depth=2
	s_delay_alu instid0(VALU_DEP_1)
	v_lshl_add_u32 v11, v6, 2, 0
	s_mov_b32 s17, exec_lo
                                        ; implicit-def: $sgpr18
	ds_load_b32 v12, v11
	s_waitcnt lgkmcnt(0)
	v_cmpx_ne_u32_e64 v12, v3
	s_xor_b32 s17, exec_lo, s17
	s_cbranch_execz .LBB222_69
; %bb.62:                               ;   in Loop: Header=BB222_61 Depth=2
	s_mov_b32 s19, exec_lo
                                        ; implicit-def: $sgpr18
	v_cmpx_ne_u32_e64 s33, v12
	s_xor_b32 s19, exec_lo, s19
; %bb.63:                               ;   in Loop: Header=BB222_61 Depth=2
	v_add_nc_u32_e32 v6, 1, v6
	s_mov_b32 s18, -1
                                        ; implicit-def: $vgpr11
	s_delay_alu instid0(VALU_DEP_1)
	v_and_b32_e32 v6, 0x1ff, v6
; %bb.64:                               ;   in Loop: Header=BB222_61 Depth=2
	s_and_not1_saveexec_b32 s19, s19
	s_cbranch_execz .LBB222_68
; %bb.65:                               ;   in Loop: Header=BB222_61 Depth=2
	v_mov_b32_e32 v12, s33
	s_mov_b32 s20, -1
	s_mov_b32 s21, exec_lo
	ds_cmpstore_rtn_b32 v12, v11, v3, v12
	s_waitcnt lgkmcnt(0)
	v_cmpx_eq_u32_e64 s33, v12
	s_cbranch_execz .LBB222_67
; %bb.66:                               ;   in Loop: Header=BB222_61 Depth=2
	v_lshl_add_u32 v11, v6, 2, v11
	s_xor_b32 s20, exec_lo, -1
	ds_add_f32 v11, v4 offset:2048
	ds_add_f32 v11, v5 offset:2052
.LBB222_67:                             ;   in Loop: Header=BB222_61 Depth=2
	s_or_b32 exec_lo, exec_lo, s21
	s_delay_alu instid0(SALU_CYCLE_1) | instskip(SKIP_1) | instid1(SALU_CYCLE_1)
	s_and_not1_b32 s18, s18, exec_lo
	s_and_b32 s20, s20, exec_lo
	s_or_b32 s18, s18, s20
.LBB222_68:                             ;   in Loop: Header=BB222_61 Depth=2
	s_or_b32 exec_lo, exec_lo, s19
	s_delay_alu instid0(SALU_CYCLE_1)
	s_and_b32 s18, s18, exec_lo
                                        ; implicit-def: $vgpr11
.LBB222_69:                             ;   in Loop: Header=BB222_61 Depth=2
	s_and_not1_saveexec_b32 s17, s17
	s_cbranch_execz .LBB222_60
; %bb.70:                               ;   in Loop: Header=BB222_61 Depth=2
	v_lshl_add_u32 v11, v6, 2, v11
	s_and_not1_b32 s18, s18, exec_lo
	ds_add_f32 v11, v4 offset:2048
	ds_add_f32 v11, v5 offset:2052
	s_branch .LBB222_60
.LBB222_71:
	s_or_b32 exec_lo, exec_lo, s15
	s_ashr_i32 s15, s14, 31
	s_mov_b32 s4, exec_lo
	s_lshl_b64 s[0:1], s[14:15], 3
	s_delay_alu instid0(SALU_CYCLE_1) | instskip(SKIP_4) | instid1(SALU_CYCLE_1)
	s_add_u32 s0, s8, s0
	s_addc_u32 s1, s9, s1
	s_load_b128 s[0:3], s[0:1], 0x0
	s_waitcnt lgkmcnt(0)
	s_sub_i32 s3, s2, s0
	v_cmpx_gt_i32_e64 s3, v0
	s_cbranch_execz .LBB222_81
; %bb.72:
	s_sub_u32 s4, s0, s38
	s_subb_u32 s5, s1, 0
	s_sub_i32 s0, s0, s2
	s_and_b32 s1, s3, 7
	s_cmp_lt_u32 s0, -7
	s_mov_b32 s8, 0
	s_cselect_b32 s2, -1, 0
	s_and_b32 s6, s3, -8
	s_cmp_lg_u32 s1, 0
	s_cselect_b32 s7, -1, 0
	s_branch .LBB222_74
.LBB222_73:                             ;   in Loop: Header=BB222_74 Depth=1
	s_delay_alu instid0(VALU_DEP_1) | instskip(SKIP_4) | instid1(VALU_DEP_4)
	v_lshlrev_b64 v[6:7], 2, v[3:4]
	v_lshlrev_b64 v[3:4], 3, v[3:4]
	v_add_nc_u32_e32 v0, 0x100, v0
	s_waitcnt lgkmcnt(1)
	v_add_nc_u32_e32 v8, s38, v5
	v_add_co_u32 v5, vcc_lo, s10, v6
	v_add_co_ci_u32_e32 v6, vcc_lo, s11, v7, vcc_lo
	v_cmp_le_i32_e32 vcc_lo, s3, v0
	v_add_co_u32 v3, s0, s12, v3
	s_delay_alu instid0(VALU_DEP_1)
	v_add_co_ci_u32_e64 v4, s0, s13, v4, s0
	s_or_b32 s8, vcc_lo, s8
	global_store_b32 v[5:6], v8, off
	s_waitcnt lgkmcnt(0)
	global_store_b64 v[3:4], v[1:2], off
	s_and_not1_b32 exec_lo, exec_lo, s8
	s_cbranch_execz .LBB222_81
.LBB222_74:                             ; =>This Loop Header: Depth=1
                                        ;     Child Loop BB222_76 Depth 2
                                        ;     Child Loop BB222_80 Depth 2
	v_lshlrev_b32_e32 v1, 2, v0
	v_dual_mov_b32 v3, s4 :: v_dual_mov_b32 v4, s5
	s_and_not1_b32 vcc_lo, exec_lo, s2
	s_mov_b32 s0, 0
	s_delay_alu instid0(VALU_DEP_2) | instskip(NEXT) | instid1(VALU_DEP_1)
	v_add_nc_u32_e32 v2, 0, v1
	v_add3_u32 v1, v2, v1, 0x800
	ds_load_b32 v5, v2
	ds_load_2addr_b32 v[1:2], v1 offset1:1
	s_cbranch_vccnz .LBB222_78
; %bb.75:                               ;   in Loop: Header=BB222_74 Depth=1
	v_dual_mov_b32 v3, s4 :: v_dual_mov_b32 v4, s5
	s_mov_b32 s9, 0
	s_mov_b32 s14, 0
.LBB222_76:                             ;   Parent Loop BB222_74 Depth=1
                                        ; =>  This Inner Loop Header: Depth=2
	s_delay_alu instid0(SALU_CYCLE_1)
	v_mov_b32_e32 v12, s14
	s_add_i32 s9, s9, 8
	s_add_i32 s14, s14, 32
	s_cmp_eq_u32 s6, s9
	ds_load_2addr_b32 v[6:7], v12 offset1:1
	ds_load_2addr_b32 v[8:9], v12 offset0:2 offset1:3
	ds_load_2addr_b32 v[10:11], v12 offset0:4 offset1:5
	;; [unrolled: 1-line block ×3, first 2 shown]
	s_waitcnt lgkmcnt(3)
	v_cmp_gt_i32_e32 vcc_lo, v5, v6
	v_cndmask_b32_e64 v6, 0, 1, vcc_lo
	v_cmp_gt_i32_e32 vcc_lo, v5, v7
	v_cndmask_b32_e64 v7, 0, 1, vcc_lo
	s_waitcnt lgkmcnt(2)
	v_cmp_gt_i32_e32 vcc_lo, v5, v8
	v_cndmask_b32_e64 v8, 0, 1, vcc_lo
	v_cmp_gt_i32_e32 vcc_lo, v5, v9
	v_cndmask_b32_e64 v9, 0, 1, vcc_lo
	s_waitcnt lgkmcnt(1)
	v_cmp_gt_i32_e32 vcc_lo, v5, v10
	v_cndmask_b32_e64 v10, 0, 1, vcc_lo
	v_add_co_u32 v3, vcc_lo, v3, v6
	v_add_co_ci_u32_e32 v4, vcc_lo, 0, v4, vcc_lo
	v_cmp_gt_i32_e32 vcc_lo, v5, v11
	s_delay_alu instid0(VALU_DEP_3) | instskip(NEXT) | instid1(VALU_DEP_1)
	v_add_co_u32 v3, s0, v3, v7
	v_add_co_ci_u32_e64 v4, s0, 0, v4, s0
	v_cndmask_b32_e64 v6, 0, 1, vcc_lo
	s_delay_alu instid0(VALU_DEP_3) | instskip(NEXT) | instid1(VALU_DEP_3)
	v_add_co_u32 v3, vcc_lo, v3, v8
	v_add_co_ci_u32_e32 v4, vcc_lo, 0, v4, vcc_lo
	s_waitcnt lgkmcnt(0)
	v_cmp_gt_i32_e32 vcc_lo, v5, v12
	s_delay_alu instid0(VALU_DEP_3) | instskip(NEXT) | instid1(VALU_DEP_1)
	v_add_co_u32 v3, s0, v3, v9
	v_add_co_ci_u32_e64 v4, s0, 0, v4, s0
	v_cndmask_b32_e64 v7, 0, 1, vcc_lo
	s_delay_alu instid0(VALU_DEP_3) | instskip(NEXT) | instid1(VALU_DEP_3)
	v_add_co_u32 v3, vcc_lo, v3, v10
	v_add_co_ci_u32_e32 v4, vcc_lo, 0, v4, vcc_lo
	v_cmp_gt_i32_e32 vcc_lo, v5, v13
	s_delay_alu instid0(VALU_DEP_3) | instskip(NEXT) | instid1(VALU_DEP_1)
	v_add_co_u32 v3, s0, v3, v6
	v_add_co_ci_u32_e64 v4, s0, 0, v4, s0
	v_cndmask_b32_e64 v6, 0, 1, vcc_lo
	s_delay_alu instid0(VALU_DEP_3) | instskip(NEXT) | instid1(VALU_DEP_3)
	v_add_co_u32 v3, vcc_lo, v3, v7
	v_add_co_ci_u32_e32 v4, vcc_lo, 0, v4, vcc_lo
	s_delay_alu instid0(VALU_DEP_2) | instskip(NEXT) | instid1(VALU_DEP_2)
	v_add_co_u32 v3, vcc_lo, v3, v6
	v_add_co_ci_u32_e32 v4, vcc_lo, 0, v4, vcc_lo
	s_cbranch_scc0 .LBB222_76
; %bb.77:                               ;   in Loop: Header=BB222_74 Depth=1
	s_mov_b32 s0, s6
.LBB222_78:                             ;   in Loop: Header=BB222_74 Depth=1
	s_and_not1_b32 vcc_lo, exec_lo, s7
	s_cbranch_vccnz .LBB222_73
; %bb.79:                               ;   in Loop: Header=BB222_74 Depth=1
	s_lshl_b32 s0, s0, 2
	s_mov_b32 s9, s1
	s_add_i32 s0, s0, 0
.LBB222_80:                             ;   Parent Loop BB222_74 Depth=1
                                        ; =>  This Inner Loop Header: Depth=2
	s_delay_alu instid0(SALU_CYCLE_1)
	v_mov_b32_e32 v6, s0
	s_add_i32 s9, s9, -1
	s_add_i32 s0, s0, 4
	s_cmp_lg_u32 s9, 0
	ds_load_b32 v6, v6
	s_waitcnt lgkmcnt(0)
	v_cmp_gt_i32_e32 vcc_lo, v5, v6
	v_cndmask_b32_e64 v6, 0, 1, vcc_lo
	s_delay_alu instid0(VALU_DEP_1)
	v_add_co_u32 v3, vcc_lo, v3, v6
	v_add_co_ci_u32_e32 v4, vcc_lo, 0, v4, vcc_lo
	s_cbranch_scc1 .LBB222_80
	s_branch .LBB222_73
.LBB222_81:
	s_nop 0
	s_sendmsg sendmsg(MSG_DEALLOC_VGPRS)
	s_endpgm
	.section	.rodata,"a",@progbits
	.p2align	6, 0x0
	.amdhsa_kernel _ZN9rocsparseL26csrgemm_fill_block_per_rowILj256ELj32ELj512ELj137ELj32Eli21rocsparse_complex_numIfEEEvT5_PKS3_S5_NS_24const_host_device_scalarIT6_EEPKT4_S5_PKS7_SB_S5_SD_S8_SB_S5_SD_SB_PS3_PS7_21rocsparse_index_base_SG_SG_SG_bbb
		.amdhsa_group_segment_fixed_size 0
		.amdhsa_private_segment_fixed_size 0
		.amdhsa_kernarg_size 156
		.amdhsa_user_sgpr_count 15
		.amdhsa_user_sgpr_dispatch_ptr 0
		.amdhsa_user_sgpr_queue_ptr 0
		.amdhsa_user_sgpr_kernarg_segment_ptr 1
		.amdhsa_user_sgpr_dispatch_id 0
		.amdhsa_user_sgpr_private_segment_size 0
		.amdhsa_wavefront_size32 1
		.amdhsa_uses_dynamic_stack 0
		.amdhsa_enable_private_segment 0
		.amdhsa_system_sgpr_workgroup_id_x 1
		.amdhsa_system_sgpr_workgroup_id_y 0
		.amdhsa_system_sgpr_workgroup_id_z 0
		.amdhsa_system_sgpr_workgroup_info 0
		.amdhsa_system_vgpr_workitem_id 0
		.amdhsa_next_free_vgpr 21
		.amdhsa_next_free_sgpr 48
		.amdhsa_reserve_vcc 1
		.amdhsa_float_round_mode_32 0
		.amdhsa_float_round_mode_16_64 0
		.amdhsa_float_denorm_mode_32 3
		.amdhsa_float_denorm_mode_16_64 3
		.amdhsa_dx10_clamp 1
		.amdhsa_ieee_mode 1
		.amdhsa_fp16_overflow 0
		.amdhsa_workgroup_processor_mode 1
		.amdhsa_memory_ordered 1
		.amdhsa_forward_progress 0
		.amdhsa_shared_vgpr_count 0
		.amdhsa_exception_fp_ieee_invalid_op 0
		.amdhsa_exception_fp_denorm_src 0
		.amdhsa_exception_fp_ieee_div_zero 0
		.amdhsa_exception_fp_ieee_overflow 0
		.amdhsa_exception_fp_ieee_underflow 0
		.amdhsa_exception_fp_ieee_inexact 0
		.amdhsa_exception_int_div_zero 0
	.end_amdhsa_kernel
	.section	.text._ZN9rocsparseL26csrgemm_fill_block_per_rowILj256ELj32ELj512ELj137ELj32Eli21rocsparse_complex_numIfEEEvT5_PKS3_S5_NS_24const_host_device_scalarIT6_EEPKT4_S5_PKS7_SB_S5_SD_S8_SB_S5_SD_SB_PS3_PS7_21rocsparse_index_base_SG_SG_SG_bbb,"axG",@progbits,_ZN9rocsparseL26csrgemm_fill_block_per_rowILj256ELj32ELj512ELj137ELj32Eli21rocsparse_complex_numIfEEEvT5_PKS3_S5_NS_24const_host_device_scalarIT6_EEPKT4_S5_PKS7_SB_S5_SD_S8_SB_S5_SD_SB_PS3_PS7_21rocsparse_index_base_SG_SG_SG_bbb,comdat
.Lfunc_end222:
	.size	_ZN9rocsparseL26csrgemm_fill_block_per_rowILj256ELj32ELj512ELj137ELj32Eli21rocsparse_complex_numIfEEEvT5_PKS3_S5_NS_24const_host_device_scalarIT6_EEPKT4_S5_PKS7_SB_S5_SD_S8_SB_S5_SD_SB_PS3_PS7_21rocsparse_index_base_SG_SG_SG_bbb, .Lfunc_end222-_ZN9rocsparseL26csrgemm_fill_block_per_rowILj256ELj32ELj512ELj137ELj32Eli21rocsparse_complex_numIfEEEvT5_PKS3_S5_NS_24const_host_device_scalarIT6_EEPKT4_S5_PKS7_SB_S5_SD_S8_SB_S5_SD_SB_PS3_PS7_21rocsparse_index_base_SG_SG_SG_bbb
                                        ; -- End function
	.section	.AMDGPU.csdata,"",@progbits
; Kernel info:
; codeLenInByte = 3212
; NumSgprs: 50
; NumVgprs: 21
; ScratchSize: 0
; MemoryBound: 0
; FloatMode: 240
; IeeeMode: 1
; LDSByteSize: 0 bytes/workgroup (compile time only)
; SGPRBlocks: 6
; VGPRBlocks: 2
; NumSGPRsForWavesPerEU: 50
; NumVGPRsForWavesPerEU: 21
; Occupancy: 16
; WaveLimiterHint : 1
; COMPUTE_PGM_RSRC2:SCRATCH_EN: 0
; COMPUTE_PGM_RSRC2:USER_SGPR: 15
; COMPUTE_PGM_RSRC2:TRAP_HANDLER: 0
; COMPUTE_PGM_RSRC2:TGID_X_EN: 1
; COMPUTE_PGM_RSRC2:TGID_Y_EN: 0
; COMPUTE_PGM_RSRC2:TGID_Z_EN: 0
; COMPUTE_PGM_RSRC2:TIDIG_COMP_CNT: 0
	.section	.text._ZN9rocsparseL26csrgemm_fill_block_per_rowILj256ELj32ELj512ELj137ELj64Eli21rocsparse_complex_numIfEEEvT5_PKS3_S5_NS_24const_host_device_scalarIT6_EEPKT4_S5_PKS7_SB_S5_SD_S8_SB_S5_SD_SB_PS3_PS7_21rocsparse_index_base_SG_SG_SG_bbb,"axG",@progbits,_ZN9rocsparseL26csrgemm_fill_block_per_rowILj256ELj32ELj512ELj137ELj64Eli21rocsparse_complex_numIfEEEvT5_PKS3_S5_NS_24const_host_device_scalarIT6_EEPKT4_S5_PKS7_SB_S5_SD_S8_SB_S5_SD_SB_PS3_PS7_21rocsparse_index_base_SG_SG_SG_bbb,comdat
	.globl	_ZN9rocsparseL26csrgemm_fill_block_per_rowILj256ELj32ELj512ELj137ELj64Eli21rocsparse_complex_numIfEEEvT5_PKS3_S5_NS_24const_host_device_scalarIT6_EEPKT4_S5_PKS7_SB_S5_SD_S8_SB_S5_SD_SB_PS3_PS7_21rocsparse_index_base_SG_SG_SG_bbb ; -- Begin function _ZN9rocsparseL26csrgemm_fill_block_per_rowILj256ELj32ELj512ELj137ELj64Eli21rocsparse_complex_numIfEEEvT5_PKS3_S5_NS_24const_host_device_scalarIT6_EEPKT4_S5_PKS7_SB_S5_SD_S8_SB_S5_SD_SB_PS3_PS7_21rocsparse_index_base_SG_SG_SG_bbb
	.p2align	8
	.type	_ZN9rocsparseL26csrgemm_fill_block_per_rowILj256ELj32ELj512ELj137ELj64Eli21rocsparse_complex_numIfEEEvT5_PKS3_S5_NS_24const_host_device_scalarIT6_EEPKT4_S5_PKS7_SB_S5_SD_S8_SB_S5_SD_SB_PS3_PS7_21rocsparse_index_base_SG_SG_SG_bbb,@function
_ZN9rocsparseL26csrgemm_fill_block_per_rowILj256ELj32ELj512ELj137ELj64Eli21rocsparse_complex_numIfEEEvT5_PKS3_S5_NS_24const_host_device_scalarIT6_EEPKT4_S5_PKS7_SB_S5_SD_S8_SB_S5_SD_SB_PS3_PS7_21rocsparse_index_base_SG_SG_SG_bbb: ; @_ZN9rocsparseL26csrgemm_fill_block_per_rowILj256ELj32ELj512ELj137ELj64Eli21rocsparse_complex_numIfEEEvT5_PKS3_S5_NS_24const_host_device_scalarIT6_EEPKT4_S5_PKS7_SB_S5_SD_S8_SB_S5_SD_SB_PS3_PS7_21rocsparse_index_base_SG_SG_SG_bbb
; %bb.0:
	s_clause 0x6
	s_load_b32 s14, s[0:1], 0x98
	s_load_b256 s[4:11], s[0:1], 0x60
	s_load_b256 s[16:23], s[0:1], 0x40
	s_load_b128 s[40:43], s[0:1], 0x8
	s_load_b256 s[24:31], s[0:1], 0x20
	s_load_b64 s[12:13], s[0:1], 0x80
	s_load_b128 s[36:39], s[0:1], 0x88
	s_mov_b32 s3, 0
	s_mov_b32 s44, 0
	s_waitcnt lgkmcnt(0)
	s_bitcmp1_b32 s14, 0
	s_cselect_b32 s45, -1, 0
	s_bitcmp1_b32 s14, 16
	s_cselect_b32 s2, -1, 0
	s_delay_alu instid0(SALU_CYCLE_1) | instskip(SKIP_2) | instid1(VALU_DEP_1)
	s_xor_b32 s33, s2, -1
	s_bitcmp0_b32 s14, 0
	v_cndmask_b32_e64 v1, 0, 1, s33
	v_cmp_ne_u32_e32 vcc_lo, 1, v1
	s_cbranch_scc1 .LBB223_5
; %bb.1:
	s_load_b64 s[2:3], s[0:1], 0x18
	s_and_b32 vcc_lo, exec_lo, vcc_lo
	s_waitcnt lgkmcnt(0)
	s_mov_b32 s44, s2
	s_cbranch_vccnz .LBB223_3
; %bb.2:
	s_load_b32 s44, s[2:3], 0x0
.LBB223_3:
	s_and_not1_b32 vcc_lo, exec_lo, s33
	s_cbranch_vccnz .LBB223_5
; %bb.4:
	s_load_b32 s3, s[2:3], 0x4
.LBB223_5:
	s_bitcmp1_b32 s14, 8
	s_mov_b32 s35, 0
	s_cselect_b32 s2, -1, 0
	s_bfe_u32 s14, s14, 0x10008
	s_mov_b32 s34, 0
	s_cmp_eq_u32 s14, 0
	s_cbranch_scc1 .LBB223_11
; %bb.6:
	v_cmp_ne_u32_e32 vcc_lo, 1, v1
	s_mov_b32 s34, s20
	s_cbranch_vccnz .LBB223_8
; %bb.7:
	s_load_b32 s34, s[20:21], 0x0
.LBB223_8:
	v_cmp_ne_u32_e32 vcc_lo, 1, v1
	s_cbranch_vccnz .LBB223_10
; %bb.9:
	s_load_b32 s21, s[20:21], 0x4
.LBB223_10:
	s_waitcnt lgkmcnt(0)
	s_mov_b32 s35, s21
.LBB223_11:
	s_load_b32 s33, s[0:1], 0x0
	v_cmp_gt_u32_e64 s0, 0x200, v0
	v_lshlrev_b32_e32 v9, 3, v0
	v_or_b32_e32 v7, 0xffffff00, v0
	v_lshl_add_u32 v8, v0, 2, 0
	s_delay_alu instid0(VALU_DEP_4)
	s_and_saveexec_b32 s1, s0
	s_cbranch_execz .LBB223_14
; %bb.12:
	v_add3_u32 v1, v9, 0, 0x800
	v_or_b32_e32 v2, 0xffffff00, v0
	v_lshl_add_u32 v3, v0, 2, 0
	s_waitcnt lgkmcnt(0)
	v_dual_mov_b32 v4, s33 :: v_dual_mov_b32 v5, 0
	s_mov_b32 s14, 0
.LBB223_13:                             ; =>This Inner Loop Header: Depth=1
	v_add_co_u32 v2, s20, 0x100, v2
	s_delay_alu instid0(VALU_DEP_1)
	s_xor_b32 s20, s20, -1
	ds_store_b32 v3, v4
	ds_store_2addr_b32 v1, v5, v5 offset1:1
	v_add_nc_u32_e32 v1, 0x800, v1
	v_add_nc_u32_e32 v3, 0x400, v3
	s_and_b32 s20, exec_lo, s20
	s_delay_alu instid0(SALU_CYCLE_1) | instskip(NEXT) | instid1(SALU_CYCLE_1)
	s_or_b32 s14, s20, s14
	s_and_not1_b32 exec_lo, exec_lo, s14
	s_cbranch_execnz .LBB223_13
.LBB223_14:
	s_or_b32 exec_lo, exec_lo, s1
	s_waitcnt lgkmcnt(0)
	s_barrier
	buffer_gl0_inv
	s_load_b32 s1, s[40:41], 0x0
	s_waitcnt lgkmcnt(0)
	s_add_i32 s14, s1, s15
	s_mov_b32 s15, 0
	s_delay_alu instid0(SALU_CYCLE_1) | instskip(NEXT) | instid1(SALU_CYCLE_1)
	s_lshl_b64 s[14:15], s[14:15], 2
	s_add_u32 s14, s42, s14
	s_addc_u32 s15, s43, s15
	s_and_b32 vcc_lo, exec_lo, s45
	s_load_b32 s14, s[14:15], 0x0
	s_cbranch_vccz .LBB223_34
; %bb.15:
	s_waitcnt lgkmcnt(0)
	s_ashr_i32 s15, s14, 31
	v_lshrrev_b32_e32 v1, 5, v0
	s_lshl_b64 s[20:21], s[14:15], 3
	s_delay_alu instid0(SALU_CYCLE_1) | instskip(SKIP_1) | instid1(VALU_DEP_1)
	s_add_u32 s20, s24, s20
	s_addc_u32 s21, s25, s21
	v_sub_co_u32 v1, s1, v1, s36
	s_load_b128 s[40:43], s[20:21], 0x0
	v_sub_co_ci_u32_e64 v2, null, 0, 0, s1
	s_mov_b32 s1, exec_lo
	s_waitcnt lgkmcnt(0)
	v_add_co_u32 v1, vcc_lo, s40, v1
	s_delay_alu instid0(VALU_DEP_2)
	v_add_co_ci_u32_e32 v2, vcc_lo, s41, v2, vcc_lo
	s_sub_u32 s20, s42, s36
	s_subb_u32 s21, s43, 0
	s_delay_alu instid0(VALU_DEP_1) | instid1(SALU_CYCLE_1)
	v_cmpx_gt_i64_e64 s[20:21], v[1:2]
	s_cbranch_execz .LBB223_33
; %bb.16:
	v_and_b32_e32 v3, 31, v0
	s_mov_b32 s24, s37
	s_delay_alu instid0(VALU_DEP_1) | instskip(NEXT) | instid1(VALU_DEP_1)
	v_sub_co_u32 v10, s15, v3, s37
	v_sub_co_ci_u32_e64 v11, null, 0, 0, s15
	s_mov_b32 s15, 0
	s_branch .LBB223_18
.LBB223_17:                             ;   in Loop: Header=BB223_18 Depth=1
	s_or_b32 exec_lo, exec_lo, s25
	v_add_co_u32 v1, vcc_lo, v1, 8
	v_add_co_ci_u32_e32 v2, vcc_lo, 0, v2, vcc_lo
	s_delay_alu instid0(VALU_DEP_1) | instskip(SKIP_1) | instid1(SALU_CYCLE_1)
	v_cmp_le_i64_e32 vcc_lo, s[20:21], v[1:2]
	s_or_b32 s15, vcc_lo, s15
	s_and_not1_b32 exec_lo, exec_lo, s15
	s_cbranch_execz .LBB223_33
.LBB223_18:                             ; =>This Loop Header: Depth=1
                                        ;     Child Loop BB223_21 Depth 2
                                        ;       Child Loop BB223_23 Depth 3
	v_lshlrev_b64 v[3:4], 2, v[1:2]
	s_mov_b32 s25, exec_lo
	s_delay_alu instid0(VALU_DEP_1) | instskip(NEXT) | instid1(VALU_DEP_2)
	v_add_co_u32 v3, vcc_lo, s26, v3
	v_add_co_ci_u32_e32 v4, vcc_lo, s27, v4, vcc_lo
	global_load_b32 v3, v[3:4], off
	s_waitcnt vmcnt(0)
	v_subrev_nc_u32_e32 v3, s36, v3
	s_delay_alu instid0(VALU_DEP_1) | instskip(NEXT) | instid1(VALU_DEP_1)
	v_ashrrev_i32_e32 v4, 31, v3
	v_lshlrev_b64 v[3:4], 3, v[3:4]
	s_delay_alu instid0(VALU_DEP_1) | instskip(NEXT) | instid1(VALU_DEP_2)
	v_add_co_u32 v3, vcc_lo, s30, v3
	v_add_co_ci_u32_e32 v4, vcc_lo, s31, v4, vcc_lo
	global_load_b128 v[12:15], v[3:4], off
	s_waitcnt vmcnt(0)
	v_sub_co_u32 v3, vcc_lo, v14, s24
	v_subrev_co_ci_u32_e32 v4, vcc_lo, 0, v15, vcc_lo
	v_add_co_u32 v5, vcc_lo, v12, v10
	v_add_co_ci_u32_e32 v6, vcc_lo, v13, v11, vcc_lo
	s_delay_alu instid0(VALU_DEP_1)
	v_cmpx_lt_i64_e64 v[5:6], v[3:4]
	s_cbranch_execz .LBB223_17
; %bb.19:                               ;   in Loop: Header=BB223_18 Depth=1
	v_lshlrev_b64 v[12:13], 3, v[1:2]
	s_mov_b32 s40, 0
	s_delay_alu instid0(VALU_DEP_1) | instskip(NEXT) | instid1(VALU_DEP_2)
	v_add_co_u32 v12, vcc_lo, s28, v12
	v_add_co_ci_u32_e32 v13, vcc_lo, s29, v13, vcc_lo
	global_load_b64 v[14:15], v[12:13], off
	s_waitcnt vmcnt(0)
	v_mul_f32_e64 v12, v15, -s3
	s_delay_alu instid0(VALU_DEP_1) | instskip(NEXT) | instid1(VALU_DEP_1)
	v_dual_mul_f32 v13, s44, v15 :: v_dual_fmac_f32 v12, s44, v14
	v_fmac_f32_e32 v13, s3, v14
	s_branch .LBB223_21
.LBB223_20:                             ;   in Loop: Header=BB223_21 Depth=2
	s_or_b32 exec_lo, exec_lo, s41
	v_add_co_u32 v5, vcc_lo, v5, 32
	v_add_co_ci_u32_e32 v6, vcc_lo, 0, v6, vcc_lo
	s_delay_alu instid0(VALU_DEP_1) | instskip(SKIP_1) | instid1(SALU_CYCLE_1)
	v_cmp_ge_i64_e32 vcc_lo, v[5:6], v[3:4]
	s_or_b32 s40, vcc_lo, s40
	s_and_not1_b32 exec_lo, exec_lo, s40
	s_cbranch_execz .LBB223_17
.LBB223_21:                             ;   Parent Loop BB223_18 Depth=1
                                        ; =>  This Loop Header: Depth=2
                                        ;       Child Loop BB223_23 Depth 3
	v_lshlrev_b64 v[14:15], 2, v[5:6]
	v_lshlrev_b64 v[16:17], 3, v[5:6]
	s_mov_b32 s41, 0
	s_delay_alu instid0(VALU_DEP_2) | instskip(NEXT) | instid1(VALU_DEP_3)
	v_add_co_u32 v14, vcc_lo, s16, v14
	v_add_co_ci_u32_e32 v15, vcc_lo, s17, v15, vcc_lo
	global_load_b32 v19, v[14:15], off
	v_add_co_u32 v14, vcc_lo, s18, v16
	v_add_co_ci_u32_e32 v15, vcc_lo, s19, v17, vcc_lo
	global_load_b64 v[17:18], v[14:15], off
	s_waitcnt vmcnt(1)
	v_subrev_nc_u32_e32 v14, s37, v19
	s_delay_alu instid0(VALU_DEP_1) | instskip(SKIP_3) | instid1(VALU_DEP_2)
	v_mul_lo_u32 v19, 0x89, v14
	s_waitcnt vmcnt(0)
	v_mul_f32_e64 v15, v18, -v13
	v_mul_f32_e32 v16, v12, v18
	v_fmac_f32_e32 v15, v12, v17
	s_delay_alu instid0(VALU_DEP_2)
	v_dual_fmac_f32 v16, v13, v17 :: v_dual_and_b32 v17, 0x1ff, v19
	s_branch .LBB223_23
.LBB223_22:                             ;   in Loop: Header=BB223_23 Depth=3
	s_or_b32 exec_lo, exec_lo, s42
	s_xor_b32 s42, s43, -1
	s_delay_alu instid0(SALU_CYCLE_1) | instskip(NEXT) | instid1(SALU_CYCLE_1)
	s_and_b32 s42, exec_lo, s42
	s_or_b32 s41, s42, s41
	s_delay_alu instid0(SALU_CYCLE_1)
	s_and_not1_b32 exec_lo, exec_lo, s41
	s_cbranch_execz .LBB223_20
.LBB223_23:                             ;   Parent Loop BB223_18 Depth=1
                                        ;     Parent Loop BB223_21 Depth=2
                                        ; =>    This Inner Loop Header: Depth=3
	s_delay_alu instid0(VALU_DEP_1)
	v_lshl_add_u32 v18, v17, 2, 0
	s_mov_b32 s42, exec_lo
                                        ; implicit-def: $sgpr43
	ds_load_b32 v19, v18
	s_waitcnt lgkmcnt(0)
	v_cmpx_ne_u32_e64 v19, v14
	s_xor_b32 s42, exec_lo, s42
	s_cbranch_execz .LBB223_31
; %bb.24:                               ;   in Loop: Header=BB223_23 Depth=3
	s_mov_b32 s45, exec_lo
                                        ; implicit-def: $sgpr43
	v_cmpx_ne_u32_e64 s33, v19
	s_xor_b32 s45, exec_lo, s45
; %bb.25:                               ;   in Loop: Header=BB223_23 Depth=3
	v_add_nc_u32_e32 v17, 1, v17
	s_mov_b32 s43, -1
                                        ; implicit-def: $vgpr18
	s_delay_alu instid0(VALU_DEP_1)
	v_and_b32_e32 v17, 0x1ff, v17
; %bb.26:                               ;   in Loop: Header=BB223_23 Depth=3
	s_and_not1_saveexec_b32 s45, s45
	s_cbranch_execz .LBB223_30
; %bb.27:                               ;   in Loop: Header=BB223_23 Depth=3
	v_mov_b32_e32 v19, s33
	s_mov_b32 s46, -1
	s_mov_b32 s47, exec_lo
	ds_cmpstore_rtn_b32 v19, v18, v14, v19
	s_waitcnt lgkmcnt(0)
	v_cmpx_eq_u32_e64 s33, v19
	s_cbranch_execz .LBB223_29
; %bb.28:                               ;   in Loop: Header=BB223_23 Depth=3
	v_lshl_add_u32 v18, v17, 2, v18
	s_xor_b32 s46, exec_lo, -1
	ds_add_f32 v18, v15 offset:2048
	ds_add_f32 v18, v16 offset:2052
.LBB223_29:                             ;   in Loop: Header=BB223_23 Depth=3
	s_or_b32 exec_lo, exec_lo, s47
	s_delay_alu instid0(SALU_CYCLE_1) | instskip(SKIP_1) | instid1(SALU_CYCLE_1)
	s_and_not1_b32 s43, s43, exec_lo
	s_and_b32 s46, s46, exec_lo
	s_or_b32 s43, s43, s46
.LBB223_30:                             ;   in Loop: Header=BB223_23 Depth=3
	s_or_b32 exec_lo, exec_lo, s45
	s_delay_alu instid0(SALU_CYCLE_1)
	s_and_b32 s43, s43, exec_lo
                                        ; implicit-def: $vgpr18
.LBB223_31:                             ;   in Loop: Header=BB223_23 Depth=3
	s_and_not1_saveexec_b32 s42, s42
	s_cbranch_execz .LBB223_22
; %bb.32:                               ;   in Loop: Header=BB223_23 Depth=3
	v_lshl_add_u32 v18, v17, 2, v18
	s_and_not1_b32 s43, s43, exec_lo
	ds_add_f32 v18, v15 offset:2048
	ds_add_f32 v18, v16 offset:2052
	s_branch .LBB223_22
.LBB223_33:
	s_or_b32 exec_lo, exec_lo, s1
.LBB223_34:
	s_delay_alu instid0(SALU_CYCLE_1)
	s_and_not1_b32 vcc_lo, exec_lo, s2
	s_cbranch_vccnz .LBB223_37
; %bb.35:
	s_waitcnt lgkmcnt(0)
	s_ashr_i32 s15, s14, 31
	v_sub_co_u32 v1, s1, v0, s39
	s_lshl_b64 s[2:3], s[14:15], 3
	v_sub_co_ci_u32_e64 v2, null, 0, 0, s1
	s_add_u32 s2, s22, s2
	s_addc_u32 s3, s23, s3
	s_mov_b32 s15, 0
	s_load_b128 s[16:19], s[2:3], 0x0
	s_mov_b32 s1, exec_lo
	s_waitcnt lgkmcnt(0)
	v_add_co_u32 v1, vcc_lo, s16, v1
	v_add_co_ci_u32_e32 v2, vcc_lo, s17, v2, vcc_lo
	s_sub_u32 s2, s18, s39
	s_subb_u32 s3, s19, 0
	s_delay_alu instid0(VALU_DEP_1) | instid1(SALU_CYCLE_1)
	v_cmpx_gt_i64_e64 s[2:3], v[1:2]
	s_cbranch_execnz .LBB223_51
.LBB223_36:
	s_or_b32 exec_lo, exec_lo, s1
.LBB223_37:
	s_waitcnt lgkmcnt(0)
	s_barrier
	buffer_gl0_inv
	s_and_saveexec_b32 s4, s0
	s_cbranch_execz .LBB223_63
; %bb.38:
	v_mbcnt_lo_u32_b32 v1, -1, 0
	v_lshrrev_b32_e32 v2, 4, v0
	v_cmp_eq_u32_e32 vcc_lo, 0xff, v0
	v_cmp_lt_u32_e64 s0, 63, v0
	v_cmp_lt_u32_e64 s1, 0x7f, v0
	v_xor_b32_e32 v1, 63, v1
	v_dual_mov_b32 v6, 0 :: v_dual_and_b32 v3, 12, v2
	v_cmp_lt_u32_e64 s2, 0xbf, v0
	v_add3_u32 v4, v9, 0, 0x800
	s_delay_alu instid0(VALU_DEP_4) | instskip(NEXT) | instid1(VALU_DEP_4)
	v_lshrrev_b64 v[1:2], v1, -1
	v_add_nc_u32_e32 v5, 0, v3
	v_mov_b32_e32 v9, 0
	s_mov_b32 s5, 0
	s_branch .LBB223_40
.LBB223_39:                             ;   in Loop: Header=BB223_40 Depth=1
	s_or_b32 exec_lo, exec_lo, s3
	s_waitcnt lgkmcnt(0)
	s_barrier
	buffer_gl0_inv
	ds_load_b32 v2, v6 offset:6156
	v_add_co_u32 v7, s3, 0x100, v7
	s_delay_alu instid0(VALU_DEP_1) | instskip(SKIP_3) | instid1(SALU_CYCLE_1)
	s_xor_b32 s3, s3, -1
	v_add_nc_u32_e32 v4, 0x800, v4
	v_add_nc_u32_e32 v8, 0x400, v8
	s_and_b32 s3, exec_lo, s3
	s_or_b32 s5, s3, s5
	s_waitcnt lgkmcnt(0)
	v_add_nc_u32_e32 v9, v2, v9
	s_and_not1_b32 exec_lo, exec_lo, s5
	s_cbranch_execz .LBB223_63
.LBB223_40:                             ; =>This Inner Loop Header: Depth=1
	ds_load_b32 v10, v8
	ds_load_2addr_b32 v[2:3], v4 offset1:1
	s_waitcnt lgkmcnt(0)
	s_barrier
	buffer_gl0_inv
	v_cmp_gt_i32_e64 s3, s33, v10
	s_delay_alu instid0(VALU_DEP_1) | instskip(NEXT) | instid1(SALU_CYCLE_1)
	s_bcnt1_i32_b32 s6, s3
	v_dual_mov_b32 v12, s6 :: v_dual_and_b32 v11, s3, v1
	s_delay_alu instid0(VALU_DEP_1)
	v_bcnt_u32_b32 v11, v11, 0
	ds_store_b32 v5, v12 offset:6144
	s_waitcnt lgkmcnt(0)
	s_barrier
	buffer_gl0_inv
	s_and_saveexec_b32 s6, s0
	s_cbranch_execnz .LBB223_45
; %bb.41:                               ;   in Loop: Header=BB223_40 Depth=1
	s_or_b32 exec_lo, exec_lo, s6
	s_and_saveexec_b32 s6, s1
	s_cbranch_execnz .LBB223_46
.LBB223_42:                             ;   in Loop: Header=BB223_40 Depth=1
	s_or_b32 exec_lo, exec_lo, s6
	s_and_saveexec_b32 s6, s2
	s_cbranch_execnz .LBB223_47
.LBB223_43:                             ;   in Loop: Header=BB223_40 Depth=1
	s_or_b32 exec_lo, exec_lo, s6
	s_and_saveexec_b32 s6, s3
	s_cbranch_execnz .LBB223_48
.LBB223_44:                             ;   in Loop: Header=BB223_40 Depth=1
	s_or_b32 exec_lo, exec_lo, s6
	s_and_saveexec_b32 s3, vcc_lo
	s_cbranch_execz .LBB223_39
	s_branch .LBB223_49
.LBB223_45:                             ;   in Loop: Header=BB223_40 Depth=1
	ds_load_b32 v12, v6 offset:6144
	s_waitcnt lgkmcnt(0)
	v_add_nc_u32_e32 v11, v12, v11
	s_or_b32 exec_lo, exec_lo, s6
	s_and_saveexec_b32 s6, s1
	s_cbranch_execz .LBB223_42
.LBB223_46:                             ;   in Loop: Header=BB223_40 Depth=1
	ds_load_b32 v12, v6 offset:6148
	s_waitcnt lgkmcnt(0)
	v_add_nc_u32_e32 v11, v12, v11
	s_or_b32 exec_lo, exec_lo, s6
	s_and_saveexec_b32 s6, s2
	s_cbranch_execz .LBB223_43
.LBB223_47:                             ;   in Loop: Header=BB223_40 Depth=1
	ds_load_b32 v12, v6 offset:6152
	s_waitcnt lgkmcnt(0)
	v_add_nc_u32_e32 v11, v12, v11
	s_or_b32 exec_lo, exec_lo, s6
	s_and_saveexec_b32 s6, s3
	s_cbranch_execz .LBB223_44
.LBB223_48:                             ;   in Loop: Header=BB223_40 Depth=1
	s_delay_alu instid0(VALU_DEP_1) | instskip(NEXT) | instid1(VALU_DEP_1)
	v_add3_u32 v12, v9, -1, v11
	v_lshlrev_b32_e32 v13, 3, v12
	v_lshl_add_u32 v12, v12, 2, 0
	s_delay_alu instid0(VALU_DEP_2)
	v_add3_u32 v13, 0, v13, 0x800
	ds_store_b32 v12, v10
	ds_store_2addr_b32 v13, v2, v3 offset1:1
	s_or_b32 exec_lo, exec_lo, s6
	s_and_saveexec_b32 s3, vcc_lo
	s_cbranch_execz .LBB223_39
.LBB223_49:                             ;   in Loop: Header=BB223_40 Depth=1
	ds_store_b32 v6, v11 offset:6156
	s_branch .LBB223_39
.LBB223_50:                             ;   in Loop: Header=BB223_51 Depth=1
	s_or_b32 exec_lo, exec_lo, s16
	v_add_co_u32 v1, vcc_lo, 0x100, v1
	v_add_co_ci_u32_e32 v2, vcc_lo, 0, v2, vcc_lo
	s_delay_alu instid0(VALU_DEP_1) | instskip(SKIP_1) | instid1(SALU_CYCLE_1)
	v_cmp_le_i64_e32 vcc_lo, s[2:3], v[1:2]
	s_or_b32 s15, vcc_lo, s15
	s_and_not1_b32 exec_lo, exec_lo, s15
	s_cbranch_execz .LBB223_36
.LBB223_51:                             ; =>This Loop Header: Depth=1
                                        ;     Child Loop BB223_53 Depth 2
	v_lshlrev_b64 v[3:4], 2, v[1:2]
	v_lshlrev_b64 v[5:6], 3, v[1:2]
	s_mov_b32 s16, 0
	s_delay_alu instid0(VALU_DEP_2) | instskip(NEXT) | instid1(VALU_DEP_3)
	v_add_co_u32 v3, vcc_lo, s4, v3
	v_add_co_ci_u32_e32 v4, vcc_lo, s5, v4, vcc_lo
	global_load_b32 v12, v[3:4], off
	v_add_co_u32 v3, vcc_lo, s6, v5
	v_add_co_ci_u32_e32 v4, vcc_lo, s7, v6, vcc_lo
	global_load_b64 v[10:11], v[3:4], off
	s_waitcnt vmcnt(1)
	v_subrev_nc_u32_e32 v3, s39, v12
	s_delay_alu instid0(VALU_DEP_1) | instskip(SKIP_2) | instid1(VALU_DEP_1)
	v_mul_lo_u32 v6, 0x89, v3
	s_waitcnt vmcnt(0)
	v_mul_f32_e64 v4, v11, -s35
	v_dual_mul_f32 v5, s34, v11 :: v_dual_fmac_f32 v4, s34, v10
	s_delay_alu instid0(VALU_DEP_1) | instskip(NEXT) | instid1(VALU_DEP_4)
	v_fmac_f32_e32 v5, s35, v10
	v_and_b32_e32 v6, 0x1ff, v6
	s_branch .LBB223_53
.LBB223_52:                             ;   in Loop: Header=BB223_53 Depth=2
	s_or_b32 exec_lo, exec_lo, s17
	s_xor_b32 s17, s18, -1
	s_delay_alu instid0(SALU_CYCLE_1) | instskip(NEXT) | instid1(SALU_CYCLE_1)
	s_and_b32 s17, exec_lo, s17
	s_or_b32 s16, s17, s16
	s_delay_alu instid0(SALU_CYCLE_1)
	s_and_not1_b32 exec_lo, exec_lo, s16
	s_cbranch_execz .LBB223_50
.LBB223_53:                             ;   Parent Loop BB223_51 Depth=1
                                        ; =>  This Inner Loop Header: Depth=2
	s_delay_alu instid0(VALU_DEP_1)
	v_lshl_add_u32 v10, v6, 2, 0
	s_mov_b32 s17, exec_lo
                                        ; implicit-def: $sgpr18
	ds_load_b32 v11, v10
	s_waitcnt lgkmcnt(0)
	v_cmpx_ne_u32_e64 v11, v3
	s_xor_b32 s17, exec_lo, s17
	s_cbranch_execz .LBB223_61
; %bb.54:                               ;   in Loop: Header=BB223_53 Depth=2
	s_mov_b32 s19, exec_lo
                                        ; implicit-def: $sgpr18
	v_cmpx_ne_u32_e64 s33, v11
	s_xor_b32 s19, exec_lo, s19
; %bb.55:                               ;   in Loop: Header=BB223_53 Depth=2
	v_add_nc_u32_e32 v6, 1, v6
	s_mov_b32 s18, -1
                                        ; implicit-def: $vgpr10
	s_delay_alu instid0(VALU_DEP_1)
	v_and_b32_e32 v6, 0x1ff, v6
; %bb.56:                               ;   in Loop: Header=BB223_53 Depth=2
	s_and_not1_saveexec_b32 s19, s19
	s_cbranch_execz .LBB223_60
; %bb.57:                               ;   in Loop: Header=BB223_53 Depth=2
	v_mov_b32_e32 v11, s33
	s_mov_b32 s20, -1
	s_mov_b32 s21, exec_lo
	ds_cmpstore_rtn_b32 v11, v10, v3, v11
	s_waitcnt lgkmcnt(0)
	v_cmpx_eq_u32_e64 s33, v11
	s_cbranch_execz .LBB223_59
; %bb.58:                               ;   in Loop: Header=BB223_53 Depth=2
	v_lshl_add_u32 v10, v6, 2, v10
	s_xor_b32 s20, exec_lo, -1
	ds_add_f32 v10, v4 offset:2048
	ds_add_f32 v10, v5 offset:2052
.LBB223_59:                             ;   in Loop: Header=BB223_53 Depth=2
	s_or_b32 exec_lo, exec_lo, s21
	s_delay_alu instid0(SALU_CYCLE_1) | instskip(SKIP_1) | instid1(SALU_CYCLE_1)
	s_and_not1_b32 s18, s18, exec_lo
	s_and_b32 s20, s20, exec_lo
	s_or_b32 s18, s18, s20
.LBB223_60:                             ;   in Loop: Header=BB223_53 Depth=2
	s_or_b32 exec_lo, exec_lo, s19
	s_delay_alu instid0(SALU_CYCLE_1)
	s_and_b32 s18, s18, exec_lo
                                        ; implicit-def: $vgpr10
.LBB223_61:                             ;   in Loop: Header=BB223_53 Depth=2
	s_and_not1_saveexec_b32 s17, s17
	s_cbranch_execz .LBB223_52
; %bb.62:                               ;   in Loop: Header=BB223_53 Depth=2
	v_lshl_add_u32 v10, v6, 2, v10
	s_and_not1_b32 s18, s18, exec_lo
	ds_add_f32 v10, v4 offset:2048
	ds_add_f32 v10, v5 offset:2052
	s_branch .LBB223_52
.LBB223_63:
	s_or_b32 exec_lo, exec_lo, s4
	s_ashr_i32 s15, s14, 31
	s_mov_b32 s4, exec_lo
	s_lshl_b64 s[0:1], s[14:15], 3
	s_delay_alu instid0(SALU_CYCLE_1) | instskip(SKIP_4) | instid1(SALU_CYCLE_1)
	s_add_u32 s0, s8, s0
	s_addc_u32 s1, s9, s1
	s_load_b128 s[0:3], s[0:1], 0x0
	s_waitcnt lgkmcnt(0)
	s_sub_i32 s3, s2, s0
	v_cmpx_gt_i32_e64 s3, v0
	s_cbranch_execz .LBB223_73
; %bb.64:
	s_sub_u32 s4, s0, s38
	s_subb_u32 s5, s1, 0
	s_sub_i32 s0, s0, s2
	s_and_b32 s1, s3, 7
	s_cmp_lt_u32 s0, -7
	s_mov_b32 s8, 0
	s_cselect_b32 s2, -1, 0
	s_and_b32 s6, s3, -8
	s_cmp_lg_u32 s1, 0
	s_cselect_b32 s7, -1, 0
	s_branch .LBB223_66
.LBB223_65:                             ;   in Loop: Header=BB223_66 Depth=1
	s_delay_alu instid0(VALU_DEP_1) | instskip(SKIP_4) | instid1(VALU_DEP_4)
	v_lshlrev_b64 v[6:7], 2, v[3:4]
	v_lshlrev_b64 v[3:4], 3, v[3:4]
	v_add_nc_u32_e32 v0, 0x100, v0
	s_waitcnt lgkmcnt(1)
	v_add_nc_u32_e32 v8, s38, v5
	v_add_co_u32 v5, vcc_lo, s10, v6
	v_add_co_ci_u32_e32 v6, vcc_lo, s11, v7, vcc_lo
	v_cmp_le_i32_e32 vcc_lo, s3, v0
	v_add_co_u32 v3, s0, s12, v3
	s_delay_alu instid0(VALU_DEP_1)
	v_add_co_ci_u32_e64 v4, s0, s13, v4, s0
	s_or_b32 s8, vcc_lo, s8
	global_store_b32 v[5:6], v8, off
	s_waitcnt lgkmcnt(0)
	global_store_b64 v[3:4], v[1:2], off
	s_and_not1_b32 exec_lo, exec_lo, s8
	s_cbranch_execz .LBB223_73
.LBB223_66:                             ; =>This Loop Header: Depth=1
                                        ;     Child Loop BB223_68 Depth 2
                                        ;     Child Loop BB223_72 Depth 2
	v_lshlrev_b32_e32 v1, 2, v0
	v_dual_mov_b32 v3, s4 :: v_dual_mov_b32 v4, s5
	s_and_not1_b32 vcc_lo, exec_lo, s2
	s_mov_b32 s0, 0
	s_delay_alu instid0(VALU_DEP_2) | instskip(NEXT) | instid1(VALU_DEP_1)
	v_add_nc_u32_e32 v2, 0, v1
	v_add3_u32 v1, v2, v1, 0x800
	ds_load_b32 v5, v2
	ds_load_2addr_b32 v[1:2], v1 offset1:1
	s_cbranch_vccnz .LBB223_70
; %bb.67:                               ;   in Loop: Header=BB223_66 Depth=1
	v_dual_mov_b32 v3, s4 :: v_dual_mov_b32 v4, s5
	s_mov_b32 s9, 0
	s_mov_b32 s14, 0
.LBB223_68:                             ;   Parent Loop BB223_66 Depth=1
                                        ; =>  This Inner Loop Header: Depth=2
	s_delay_alu instid0(SALU_CYCLE_1)
	v_mov_b32_e32 v12, s14
	s_add_i32 s9, s9, 8
	s_add_i32 s14, s14, 32
	s_cmp_eq_u32 s6, s9
	ds_load_2addr_b32 v[6:7], v12 offset1:1
	ds_load_2addr_b32 v[8:9], v12 offset0:2 offset1:3
	ds_load_2addr_b32 v[10:11], v12 offset0:4 offset1:5
	;; [unrolled: 1-line block ×3, first 2 shown]
	s_waitcnt lgkmcnt(3)
	v_cmp_gt_i32_e32 vcc_lo, v5, v6
	v_cndmask_b32_e64 v6, 0, 1, vcc_lo
	v_cmp_gt_i32_e32 vcc_lo, v5, v7
	v_cndmask_b32_e64 v7, 0, 1, vcc_lo
	s_waitcnt lgkmcnt(2)
	v_cmp_gt_i32_e32 vcc_lo, v5, v8
	v_cndmask_b32_e64 v8, 0, 1, vcc_lo
	v_cmp_gt_i32_e32 vcc_lo, v5, v9
	v_cndmask_b32_e64 v9, 0, 1, vcc_lo
	s_waitcnt lgkmcnt(1)
	v_cmp_gt_i32_e32 vcc_lo, v5, v10
	v_cndmask_b32_e64 v10, 0, 1, vcc_lo
	v_add_co_u32 v3, vcc_lo, v3, v6
	v_add_co_ci_u32_e32 v4, vcc_lo, 0, v4, vcc_lo
	v_cmp_gt_i32_e32 vcc_lo, v5, v11
	s_delay_alu instid0(VALU_DEP_3) | instskip(NEXT) | instid1(VALU_DEP_1)
	v_add_co_u32 v3, s0, v3, v7
	v_add_co_ci_u32_e64 v4, s0, 0, v4, s0
	v_cndmask_b32_e64 v6, 0, 1, vcc_lo
	s_delay_alu instid0(VALU_DEP_3) | instskip(NEXT) | instid1(VALU_DEP_3)
	v_add_co_u32 v3, vcc_lo, v3, v8
	v_add_co_ci_u32_e32 v4, vcc_lo, 0, v4, vcc_lo
	s_waitcnt lgkmcnt(0)
	v_cmp_gt_i32_e32 vcc_lo, v5, v12
	s_delay_alu instid0(VALU_DEP_3) | instskip(NEXT) | instid1(VALU_DEP_1)
	v_add_co_u32 v3, s0, v3, v9
	v_add_co_ci_u32_e64 v4, s0, 0, v4, s0
	v_cndmask_b32_e64 v7, 0, 1, vcc_lo
	s_delay_alu instid0(VALU_DEP_3) | instskip(NEXT) | instid1(VALU_DEP_3)
	v_add_co_u32 v3, vcc_lo, v3, v10
	v_add_co_ci_u32_e32 v4, vcc_lo, 0, v4, vcc_lo
	v_cmp_gt_i32_e32 vcc_lo, v5, v13
	s_delay_alu instid0(VALU_DEP_3) | instskip(NEXT) | instid1(VALU_DEP_1)
	v_add_co_u32 v3, s0, v3, v6
	v_add_co_ci_u32_e64 v4, s0, 0, v4, s0
	v_cndmask_b32_e64 v6, 0, 1, vcc_lo
	s_delay_alu instid0(VALU_DEP_3) | instskip(NEXT) | instid1(VALU_DEP_3)
	v_add_co_u32 v3, vcc_lo, v3, v7
	v_add_co_ci_u32_e32 v4, vcc_lo, 0, v4, vcc_lo
	s_delay_alu instid0(VALU_DEP_2) | instskip(NEXT) | instid1(VALU_DEP_2)
	v_add_co_u32 v3, vcc_lo, v3, v6
	v_add_co_ci_u32_e32 v4, vcc_lo, 0, v4, vcc_lo
	s_cbranch_scc0 .LBB223_68
; %bb.69:                               ;   in Loop: Header=BB223_66 Depth=1
	s_mov_b32 s0, s6
.LBB223_70:                             ;   in Loop: Header=BB223_66 Depth=1
	s_and_not1_b32 vcc_lo, exec_lo, s7
	s_cbranch_vccnz .LBB223_65
; %bb.71:                               ;   in Loop: Header=BB223_66 Depth=1
	s_lshl_b32 s0, s0, 2
	s_mov_b32 s9, s1
	s_add_i32 s0, s0, 0
.LBB223_72:                             ;   Parent Loop BB223_66 Depth=1
                                        ; =>  This Inner Loop Header: Depth=2
	s_delay_alu instid0(SALU_CYCLE_1)
	v_mov_b32_e32 v6, s0
	s_add_i32 s9, s9, -1
	s_add_i32 s0, s0, 4
	s_cmp_lg_u32 s9, 0
	ds_load_b32 v6, v6
	s_waitcnt lgkmcnt(0)
	v_cmp_gt_i32_e32 vcc_lo, v5, v6
	v_cndmask_b32_e64 v6, 0, 1, vcc_lo
	s_delay_alu instid0(VALU_DEP_1)
	v_add_co_u32 v3, vcc_lo, v3, v6
	v_add_co_ci_u32_e32 v4, vcc_lo, 0, v4, vcc_lo
	s_cbranch_scc1 .LBB223_72
	s_branch .LBB223_65
.LBB223_73:
	s_nop 0
	s_sendmsg sendmsg(MSG_DEALLOC_VGPRS)
	s_endpgm
	.section	.rodata,"a",@progbits
	.p2align	6, 0x0
	.amdhsa_kernel _ZN9rocsparseL26csrgemm_fill_block_per_rowILj256ELj32ELj512ELj137ELj64Eli21rocsparse_complex_numIfEEEvT5_PKS3_S5_NS_24const_host_device_scalarIT6_EEPKT4_S5_PKS7_SB_S5_SD_S8_SB_S5_SD_SB_PS3_PS7_21rocsparse_index_base_SG_SG_SG_bbb
		.amdhsa_group_segment_fixed_size 0
		.amdhsa_private_segment_fixed_size 0
		.amdhsa_kernarg_size 156
		.amdhsa_user_sgpr_count 15
		.amdhsa_user_sgpr_dispatch_ptr 0
		.amdhsa_user_sgpr_queue_ptr 0
		.amdhsa_user_sgpr_kernarg_segment_ptr 1
		.amdhsa_user_sgpr_dispatch_id 0
		.amdhsa_user_sgpr_private_segment_size 0
		.amdhsa_wavefront_size32 1
		.amdhsa_uses_dynamic_stack 0
		.amdhsa_enable_private_segment 0
		.amdhsa_system_sgpr_workgroup_id_x 1
		.amdhsa_system_sgpr_workgroup_id_y 0
		.amdhsa_system_sgpr_workgroup_id_z 0
		.amdhsa_system_sgpr_workgroup_info 0
		.amdhsa_system_vgpr_workitem_id 0
		.amdhsa_next_free_vgpr 20
		.amdhsa_next_free_sgpr 48
		.amdhsa_reserve_vcc 1
		.amdhsa_float_round_mode_32 0
		.amdhsa_float_round_mode_16_64 0
		.amdhsa_float_denorm_mode_32 3
		.amdhsa_float_denorm_mode_16_64 3
		.amdhsa_dx10_clamp 1
		.amdhsa_ieee_mode 1
		.amdhsa_fp16_overflow 0
		.amdhsa_workgroup_processor_mode 1
		.amdhsa_memory_ordered 1
		.amdhsa_forward_progress 0
		.amdhsa_shared_vgpr_count 0
		.amdhsa_exception_fp_ieee_invalid_op 0
		.amdhsa_exception_fp_denorm_src 0
		.amdhsa_exception_fp_ieee_div_zero 0
		.amdhsa_exception_fp_ieee_overflow 0
		.amdhsa_exception_fp_ieee_underflow 0
		.amdhsa_exception_fp_ieee_inexact 0
		.amdhsa_exception_int_div_zero 0
	.end_amdhsa_kernel
	.section	.text._ZN9rocsparseL26csrgemm_fill_block_per_rowILj256ELj32ELj512ELj137ELj64Eli21rocsparse_complex_numIfEEEvT5_PKS3_S5_NS_24const_host_device_scalarIT6_EEPKT4_S5_PKS7_SB_S5_SD_S8_SB_S5_SD_SB_PS3_PS7_21rocsparse_index_base_SG_SG_SG_bbb,"axG",@progbits,_ZN9rocsparseL26csrgemm_fill_block_per_rowILj256ELj32ELj512ELj137ELj64Eli21rocsparse_complex_numIfEEEvT5_PKS3_S5_NS_24const_host_device_scalarIT6_EEPKT4_S5_PKS7_SB_S5_SD_S8_SB_S5_SD_SB_PS3_PS7_21rocsparse_index_base_SG_SG_SG_bbb,comdat
.Lfunc_end223:
	.size	_ZN9rocsparseL26csrgemm_fill_block_per_rowILj256ELj32ELj512ELj137ELj64Eli21rocsparse_complex_numIfEEEvT5_PKS3_S5_NS_24const_host_device_scalarIT6_EEPKT4_S5_PKS7_SB_S5_SD_S8_SB_S5_SD_SB_PS3_PS7_21rocsparse_index_base_SG_SG_SG_bbb, .Lfunc_end223-_ZN9rocsparseL26csrgemm_fill_block_per_rowILj256ELj32ELj512ELj137ELj64Eli21rocsparse_complex_numIfEEEvT5_PKS3_S5_NS_24const_host_device_scalarIT6_EEPKT4_S5_PKS7_SB_S5_SD_S8_SB_S5_SD_SB_PS3_PS7_21rocsparse_index_base_SG_SG_SG_bbb
                                        ; -- End function
	.section	.AMDGPU.csdata,"",@progbits
; Kernel info:
; codeLenInByte = 3024
; NumSgprs: 50
; NumVgprs: 20
; ScratchSize: 0
; MemoryBound: 0
; FloatMode: 240
; IeeeMode: 1
; LDSByteSize: 0 bytes/workgroup (compile time only)
; SGPRBlocks: 6
; VGPRBlocks: 2
; NumSGPRsForWavesPerEU: 50
; NumVGPRsForWavesPerEU: 20
; Occupancy: 16
; WaveLimiterHint : 1
; COMPUTE_PGM_RSRC2:SCRATCH_EN: 0
; COMPUTE_PGM_RSRC2:USER_SGPR: 15
; COMPUTE_PGM_RSRC2:TRAP_HANDLER: 0
; COMPUTE_PGM_RSRC2:TGID_X_EN: 1
; COMPUTE_PGM_RSRC2:TGID_Y_EN: 0
; COMPUTE_PGM_RSRC2:TGID_Z_EN: 0
; COMPUTE_PGM_RSRC2:TIDIG_COMP_CNT: 0
	.section	.text._ZN9rocsparseL26csrgemm_fill_block_per_rowILj512ELj32ELj1024ELj137ELj32Eli21rocsparse_complex_numIfEEEvT5_PKS3_S5_NS_24const_host_device_scalarIT6_EEPKT4_S5_PKS7_SB_S5_SD_S8_SB_S5_SD_SB_PS3_PS7_21rocsparse_index_base_SG_SG_SG_bbb,"axG",@progbits,_ZN9rocsparseL26csrgemm_fill_block_per_rowILj512ELj32ELj1024ELj137ELj32Eli21rocsparse_complex_numIfEEEvT5_PKS3_S5_NS_24const_host_device_scalarIT6_EEPKT4_S5_PKS7_SB_S5_SD_S8_SB_S5_SD_SB_PS3_PS7_21rocsparse_index_base_SG_SG_SG_bbb,comdat
	.globl	_ZN9rocsparseL26csrgemm_fill_block_per_rowILj512ELj32ELj1024ELj137ELj32Eli21rocsparse_complex_numIfEEEvT5_PKS3_S5_NS_24const_host_device_scalarIT6_EEPKT4_S5_PKS7_SB_S5_SD_S8_SB_S5_SD_SB_PS3_PS7_21rocsparse_index_base_SG_SG_SG_bbb ; -- Begin function _ZN9rocsparseL26csrgemm_fill_block_per_rowILj512ELj32ELj1024ELj137ELj32Eli21rocsparse_complex_numIfEEEvT5_PKS3_S5_NS_24const_host_device_scalarIT6_EEPKT4_S5_PKS7_SB_S5_SD_S8_SB_S5_SD_SB_PS3_PS7_21rocsparse_index_base_SG_SG_SG_bbb
	.p2align	8
	.type	_ZN9rocsparseL26csrgemm_fill_block_per_rowILj512ELj32ELj1024ELj137ELj32Eli21rocsparse_complex_numIfEEEvT5_PKS3_S5_NS_24const_host_device_scalarIT6_EEPKT4_S5_PKS7_SB_S5_SD_S8_SB_S5_SD_SB_PS3_PS7_21rocsparse_index_base_SG_SG_SG_bbb,@function
_ZN9rocsparseL26csrgemm_fill_block_per_rowILj512ELj32ELj1024ELj137ELj32Eli21rocsparse_complex_numIfEEEvT5_PKS3_S5_NS_24const_host_device_scalarIT6_EEPKT4_S5_PKS7_SB_S5_SD_S8_SB_S5_SD_SB_PS3_PS7_21rocsparse_index_base_SG_SG_SG_bbb: ; @_ZN9rocsparseL26csrgemm_fill_block_per_rowILj512ELj32ELj1024ELj137ELj32Eli21rocsparse_complex_numIfEEEvT5_PKS3_S5_NS_24const_host_device_scalarIT6_EEPKT4_S5_PKS7_SB_S5_SD_S8_SB_S5_SD_SB_PS3_PS7_21rocsparse_index_base_SG_SG_SG_bbb
; %bb.0:
	s_clause 0x6
	s_load_b32 s12, s[0:1], 0x98
	s_load_b256 s[16:23], s[0:1], 0x60
	s_load_b256 s[4:11], s[0:1], 0x40
	s_load_b128 s[40:43], s[0:1], 0x8
	s_load_b256 s[24:31], s[0:1], 0x20
	s_load_b64 s[34:35], s[0:1], 0x80
	s_load_b128 s[36:39], s[0:1], 0x88
	s_mov_b32 s3, 0
	s_mov_b32 s13, 0
	s_waitcnt lgkmcnt(0)
	s_bitcmp1_b32 s12, 0
	s_cselect_b32 s44, -1, 0
	s_bitcmp1_b32 s12, 16
	s_cselect_b32 s2, -1, 0
	s_delay_alu instid0(SALU_CYCLE_1) | instskip(SKIP_2) | instid1(VALU_DEP_1)
	s_xor_b32 s14, s2, -1
	s_bitcmp0_b32 s12, 0
	v_cndmask_b32_e64 v1, 0, 1, s14
	v_cmp_ne_u32_e32 vcc_lo, 1, v1
	s_cbranch_scc1 .LBB224_5
; %bb.1:
	s_load_b64 s[2:3], s[0:1], 0x18
	s_and_b32 vcc_lo, exec_lo, vcc_lo
	s_waitcnt lgkmcnt(0)
	s_mov_b32 s13, s2
	s_cbranch_vccnz .LBB224_3
; %bb.2:
	s_load_b32 s13, s[2:3], 0x0
.LBB224_3:
	s_and_not1_b32 vcc_lo, exec_lo, s14
	s_cbranch_vccnz .LBB224_5
; %bb.4:
	s_load_b32 s3, s[2:3], 0x4
.LBB224_5:
	s_bitcmp1_b32 s12, 8
	s_cselect_b32 s14, -1, 0
	s_bfe_u32 s2, s12, 0x10008
	s_mov_b32 s12, 0
	s_cmp_eq_u32 s2, 0
	s_mov_b32 s2, 0
	s_cbranch_scc1 .LBB224_11
; %bb.6:
	v_cmp_ne_u32_e32 vcc_lo, 1, v1
	s_mov_b32 s2, s8
	s_cbranch_vccnz .LBB224_8
; %bb.7:
	s_load_b32 s2, s[8:9], 0x0
.LBB224_8:
	v_cmp_ne_u32_e32 vcc_lo, 1, v1
	s_cbranch_vccnz .LBB224_10
; %bb.9:
	s_load_b32 s9, s[8:9], 0x4
.LBB224_10:
	s_waitcnt lgkmcnt(0)
	s_mov_b32 s12, s9
.LBB224_11:
	s_load_b32 s33, s[0:1], 0x0
	v_lshl_add_u32 v7, v0, 2, 0
	v_lshlrev_b32_e32 v1, 3, v0
	v_or_b32_e32 v8, 0xfffffe00, v0
	s_mov_b32 s0, 0
	s_delay_alu instid0(VALU_DEP_3) | instskip(NEXT) | instid1(VALU_DEP_3)
	v_mov_b32_e32 v2, v7
	v_add3_u32 v9, v1, 0, 0x1000
	v_mov_b32_e32 v1, 0
	v_mov_b32_e32 v3, v8
	s_waitcnt lgkmcnt(0)
	s_delay_alu instid0(VALU_DEP_3)
	v_dual_mov_b32 v5, v9 :: v_dual_mov_b32 v4, s33
.LBB224_12:                             ; =>This Inner Loop Header: Depth=1
	s_delay_alu instid0(VALU_DEP_2) | instskip(NEXT) | instid1(VALU_DEP_1)
	v_add_co_u32 v3, s1, 0x200, v3
	s_xor_b32 s1, s1, -1
	ds_store_b32 v2, v4
	ds_store_2addr_b32 v5, v1, v1 offset1:1
	v_add_nc_u32_e32 v5, 0x1000, v5
	v_add_nc_u32_e32 v2, 0x800, v2
	s_and_b32 s1, exec_lo, s1
	s_delay_alu instid0(SALU_CYCLE_1) | instskip(NEXT) | instid1(SALU_CYCLE_1)
	s_or_b32 s0, s1, s0
	s_and_not1_b32 exec_lo, exec_lo, s0
	s_cbranch_execnz .LBB224_12
; %bb.13:
	s_or_b32 exec_lo, exec_lo, s0
	s_waitcnt lgkmcnt(0)
	s_barrier
	buffer_gl0_inv
	s_load_b32 s0, s[40:41], 0x0
	s_mov_b32 s1, 0
	v_lshrrev_b32_e32 v10, 5, v0
	s_waitcnt lgkmcnt(0)
	s_add_i32 s0, s0, s15
	s_delay_alu instid0(SALU_CYCLE_1) | instskip(NEXT) | instid1(SALU_CYCLE_1)
	s_lshl_b64 s[0:1], s[0:1], 2
	s_add_u32 s0, s42, s0
	s_addc_u32 s1, s43, s1
	s_and_b32 vcc_lo, exec_lo, s44
	s_load_b32 s40, s[0:1], 0x0
	s_cbranch_vccz .LBB224_33
; %bb.14:
	s_waitcnt lgkmcnt(0)
	s_ashr_i32 s41, s40, 31
	s_mov_b32 s8, exec_lo
	s_lshl_b64 s[0:1], s[40:41], 3
	s_delay_alu instid0(SALU_CYCLE_1) | instskip(SKIP_3) | instid1(VALU_DEP_1)
	s_add_u32 s0, s24, s0
	s_addc_u32 s1, s25, s1
	s_load_b128 s[44:47], s[0:1], 0x0
	v_sub_co_u32 v1, s0, v10, s36
	v_sub_co_ci_u32_e64 v2, null, 0, 0, s0
	s_waitcnt lgkmcnt(0)
	s_delay_alu instid0(VALU_DEP_2) | instskip(NEXT) | instid1(VALU_DEP_2)
	v_add_co_u32 v1, vcc_lo, s44, v1
	v_add_co_ci_u32_e32 v2, vcc_lo, s45, v2, vcc_lo
	s_sub_u32 s0, s46, s36
	s_subb_u32 s1, s47, 0
	s_delay_alu instid0(VALU_DEP_1) | instid1(SALU_CYCLE_1)
	v_cmpx_gt_i64_e64 s[0:1], v[1:2]
	s_cbranch_execz .LBB224_32
; %bb.15:
	v_and_b32_e32 v3, 31, v0
	s_mov_b32 s15, s37
	s_delay_alu instid0(VALU_DEP_1) | instskip(NEXT) | instid1(VALU_DEP_1)
	v_sub_co_u32 v11, s9, v3, s37
	v_sub_co_ci_u32_e64 v12, null, 0, 0, s9
	s_mov_b32 s9, 0
	s_branch .LBB224_17
.LBB224_16:                             ;   in Loop: Header=BB224_17 Depth=1
	s_or_b32 exec_lo, exec_lo, s24
	v_add_co_u32 v1, vcc_lo, v1, 16
	v_add_co_ci_u32_e32 v2, vcc_lo, 0, v2, vcc_lo
	s_delay_alu instid0(VALU_DEP_1) | instskip(SKIP_1) | instid1(SALU_CYCLE_1)
	v_cmp_le_i64_e32 vcc_lo, s[0:1], v[1:2]
	s_or_b32 s9, vcc_lo, s9
	s_and_not1_b32 exec_lo, exec_lo, s9
	s_cbranch_execz .LBB224_32
.LBB224_17:                             ; =>This Loop Header: Depth=1
                                        ;     Child Loop BB224_20 Depth 2
                                        ;       Child Loop BB224_22 Depth 3
	v_lshlrev_b64 v[3:4], 2, v[1:2]
	s_mov_b32 s24, exec_lo
	s_delay_alu instid0(VALU_DEP_1) | instskip(NEXT) | instid1(VALU_DEP_2)
	v_add_co_u32 v3, vcc_lo, s26, v3
	v_add_co_ci_u32_e32 v4, vcc_lo, s27, v4, vcc_lo
	global_load_b32 v3, v[3:4], off
	s_waitcnt vmcnt(0)
	v_subrev_nc_u32_e32 v3, s36, v3
	s_delay_alu instid0(VALU_DEP_1) | instskip(NEXT) | instid1(VALU_DEP_1)
	v_ashrrev_i32_e32 v4, 31, v3
	v_lshlrev_b64 v[3:4], 3, v[3:4]
	s_delay_alu instid0(VALU_DEP_1) | instskip(NEXT) | instid1(VALU_DEP_2)
	v_add_co_u32 v3, vcc_lo, s30, v3
	v_add_co_ci_u32_e32 v4, vcc_lo, s31, v4, vcc_lo
	global_load_b128 v[13:16], v[3:4], off
	s_waitcnt vmcnt(0)
	v_sub_co_u32 v3, vcc_lo, v15, s15
	v_subrev_co_ci_u32_e32 v4, vcc_lo, 0, v16, vcc_lo
	v_add_co_u32 v5, vcc_lo, v13, v11
	v_add_co_ci_u32_e32 v6, vcc_lo, v14, v12, vcc_lo
	s_delay_alu instid0(VALU_DEP_1)
	v_cmpx_lt_i64_e64 v[5:6], v[3:4]
	s_cbranch_execz .LBB224_16
; %bb.18:                               ;   in Loop: Header=BB224_17 Depth=1
	v_lshlrev_b64 v[13:14], 3, v[1:2]
	s_mov_b32 s25, 0
	s_delay_alu instid0(VALU_DEP_1) | instskip(NEXT) | instid1(VALU_DEP_2)
	v_add_co_u32 v13, vcc_lo, s28, v13
	v_add_co_ci_u32_e32 v14, vcc_lo, s29, v14, vcc_lo
	global_load_b64 v[15:16], v[13:14], off
	s_waitcnt vmcnt(0)
	v_mul_f32_e64 v13, v16, -s3
	s_delay_alu instid0(VALU_DEP_1) | instskip(NEXT) | instid1(VALU_DEP_1)
	v_dual_mul_f32 v14, s13, v16 :: v_dual_fmac_f32 v13, s13, v15
	v_fmac_f32_e32 v14, s3, v15
	s_branch .LBB224_20
.LBB224_19:                             ;   in Loop: Header=BB224_20 Depth=2
	s_or_b32 exec_lo, exec_lo, s41
	v_add_co_u32 v5, vcc_lo, v5, 32
	v_add_co_ci_u32_e32 v6, vcc_lo, 0, v6, vcc_lo
	s_delay_alu instid0(VALU_DEP_1) | instskip(SKIP_1) | instid1(SALU_CYCLE_1)
	v_cmp_ge_i64_e32 vcc_lo, v[5:6], v[3:4]
	s_or_b32 s25, vcc_lo, s25
	s_and_not1_b32 exec_lo, exec_lo, s25
	s_cbranch_execz .LBB224_16
.LBB224_20:                             ;   Parent Loop BB224_17 Depth=1
                                        ; =>  This Loop Header: Depth=2
                                        ;       Child Loop BB224_22 Depth 3
	v_lshlrev_b64 v[15:16], 2, v[5:6]
	v_lshlrev_b64 v[17:18], 3, v[5:6]
	s_mov_b32 s41, 0
	s_delay_alu instid0(VALU_DEP_2) | instskip(NEXT) | instid1(VALU_DEP_3)
	v_add_co_u32 v15, vcc_lo, s4, v15
	v_add_co_ci_u32_e32 v16, vcc_lo, s5, v16, vcc_lo
	global_load_b32 v20, v[15:16], off
	v_add_co_u32 v15, vcc_lo, s6, v17
	v_add_co_ci_u32_e32 v16, vcc_lo, s7, v18, vcc_lo
	global_load_b64 v[18:19], v[15:16], off
	s_waitcnt vmcnt(1)
	v_subrev_nc_u32_e32 v15, s37, v20
	s_delay_alu instid0(VALU_DEP_1) | instskip(SKIP_3) | instid1(VALU_DEP_2)
	v_mul_lo_u32 v20, 0x89, v15
	s_waitcnt vmcnt(0)
	v_mul_f32_e64 v16, v19, -v14
	v_mul_f32_e32 v17, v13, v19
	v_fmac_f32_e32 v16, v13, v18
	s_delay_alu instid0(VALU_DEP_2)
	v_dual_fmac_f32 v17, v14, v18 :: v_dual_and_b32 v18, 0x3ff, v20
	s_branch .LBB224_22
.LBB224_21:                             ;   in Loop: Header=BB224_22 Depth=3
	s_or_b32 exec_lo, exec_lo, s42
	s_xor_b32 s42, s43, -1
	s_delay_alu instid0(SALU_CYCLE_1) | instskip(NEXT) | instid1(SALU_CYCLE_1)
	s_and_b32 s42, exec_lo, s42
	s_or_b32 s41, s42, s41
	s_delay_alu instid0(SALU_CYCLE_1)
	s_and_not1_b32 exec_lo, exec_lo, s41
	s_cbranch_execz .LBB224_19
.LBB224_22:                             ;   Parent Loop BB224_17 Depth=1
                                        ;     Parent Loop BB224_20 Depth=2
                                        ; =>    This Inner Loop Header: Depth=3
	s_delay_alu instid0(VALU_DEP_1)
	v_lshl_add_u32 v19, v18, 2, 0
	s_mov_b32 s42, exec_lo
                                        ; implicit-def: $sgpr43
	ds_load_b32 v20, v19
	s_waitcnt lgkmcnt(0)
	v_cmpx_ne_u32_e64 v20, v15
	s_xor_b32 s42, exec_lo, s42
	s_cbranch_execz .LBB224_30
; %bb.23:                               ;   in Loop: Header=BB224_22 Depth=3
	s_mov_b32 s44, exec_lo
                                        ; implicit-def: $sgpr43
	v_cmpx_ne_u32_e64 s33, v20
	s_xor_b32 s44, exec_lo, s44
; %bb.24:                               ;   in Loop: Header=BB224_22 Depth=3
	v_add_nc_u32_e32 v18, 1, v18
	s_mov_b32 s43, -1
                                        ; implicit-def: $vgpr19
	s_delay_alu instid0(VALU_DEP_1)
	v_and_b32_e32 v18, 0x3ff, v18
; %bb.25:                               ;   in Loop: Header=BB224_22 Depth=3
	s_and_not1_saveexec_b32 s44, s44
	s_cbranch_execz .LBB224_29
; %bb.26:                               ;   in Loop: Header=BB224_22 Depth=3
	v_mov_b32_e32 v20, s33
	s_mov_b32 s45, -1
	s_mov_b32 s46, exec_lo
	ds_cmpstore_rtn_b32 v20, v19, v15, v20
	s_waitcnt lgkmcnt(0)
	v_cmpx_eq_u32_e64 s33, v20
	s_cbranch_execz .LBB224_28
; %bb.27:                               ;   in Loop: Header=BB224_22 Depth=3
	v_lshl_add_u32 v19, v18, 2, v19
	s_xor_b32 s45, exec_lo, -1
	ds_add_f32 v19, v16 offset:4096
	ds_add_f32 v19, v17 offset:4100
.LBB224_28:                             ;   in Loop: Header=BB224_22 Depth=3
	s_or_b32 exec_lo, exec_lo, s46
	s_delay_alu instid0(SALU_CYCLE_1) | instskip(SKIP_1) | instid1(SALU_CYCLE_1)
	s_and_not1_b32 s43, s43, exec_lo
	s_and_b32 s45, s45, exec_lo
	s_or_b32 s43, s43, s45
.LBB224_29:                             ;   in Loop: Header=BB224_22 Depth=3
	s_or_b32 exec_lo, exec_lo, s44
	s_delay_alu instid0(SALU_CYCLE_1)
	s_and_b32 s43, s43, exec_lo
                                        ; implicit-def: $vgpr19
.LBB224_30:                             ;   in Loop: Header=BB224_22 Depth=3
	s_and_not1_saveexec_b32 s42, s42
	s_cbranch_execz .LBB224_21
; %bb.31:                               ;   in Loop: Header=BB224_22 Depth=3
	v_lshl_add_u32 v19, v18, 2, v19
	s_and_not1_b32 s43, s43, exec_lo
	ds_add_f32 v19, v16 offset:4096
	ds_add_f32 v19, v17 offset:4100
	s_branch .LBB224_21
.LBB224_32:
	s_or_b32 exec_lo, exec_lo, s8
.LBB224_33:
	s_delay_alu instid0(SALU_CYCLE_1)
	s_and_not1_b32 vcc_lo, exec_lo, s14
	s_cbranch_vccnz .LBB224_36
; %bb.34:
	s_waitcnt lgkmcnt(0)
	s_ashr_i32 s41, s40, 31
	s_mov_b32 s3, exec_lo
	s_lshl_b64 s[0:1], s[40:41], 3
	s_delay_alu instid0(SALU_CYCLE_1) | instskip(SKIP_3) | instid1(VALU_DEP_1)
	s_add_u32 s0, s10, s0
	s_addc_u32 s1, s11, s1
	s_load_b128 s[4:7], s[0:1], 0x0
	v_sub_co_u32 v1, s0, v0, s39
	v_sub_co_ci_u32_e64 v2, null, 0, 0, s0
	s_waitcnt lgkmcnt(0)
	s_delay_alu instid0(VALU_DEP_2) | instskip(NEXT) | instid1(VALU_DEP_2)
	v_add_co_u32 v1, vcc_lo, s4, v1
	v_add_co_ci_u32_e32 v2, vcc_lo, s5, v2, vcc_lo
	s_sub_u32 s0, s6, s39
	s_subb_u32 s1, s7, 0
	s_mov_b32 s4, 0
	s_delay_alu instid0(VALU_DEP_1)
	v_cmpx_gt_i64_e64 s[0:1], v[1:2]
	s_cbranch_execnz .LBB224_73
.LBB224_35:
	s_or_b32 exec_lo, exec_lo, s3
.LBB224_36:
	v_mbcnt_lo_u32_b32 v1, -1, 0
	v_lshl_add_u32 v4, v10, 2, 0
	v_cmp_eq_u32_e32 vcc_lo, 0x1ff, v0
	v_cmp_lt_u32_e64 s0, 31, v0
	v_cmp_lt_u32_e64 s1, 63, v0
	v_xor_b32_e32 v1, 63, v1
	v_cmp_lt_u32_e64 s2, 0x5f, v0
	v_cmp_lt_u32_e64 s3, 0x7f, v0
	;; [unrolled: 1-line block ×4, first 2 shown]
	v_lshrrev_b64 v[1:2], v1, -1
	v_cmp_lt_u32_e64 s6, 0xdf, v0
	v_cmp_lt_u32_e64 s7, 0xff, v0
	;; [unrolled: 1-line block ×9, first 2 shown]
	v_dual_mov_b32 v5, 0 :: v_dual_mov_b32 v6, 0
	s_mov_b32 s16, 0
	s_waitcnt lgkmcnt(0)
	s_barrier
	buffer_gl0_inv
	s_branch .LBB224_38
.LBB224_37:                             ;   in Loop: Header=BB224_38 Depth=1
	s_or_b32 exec_lo, exec_lo, s15
	s_waitcnt lgkmcnt(0)
	s_barrier
	buffer_gl0_inv
	ds_load_b32 v2, v5 offset:12348
	v_add_co_u32 v8, s15, 0x200, v8
	s_delay_alu instid0(VALU_DEP_1) | instskip(SKIP_3) | instid1(SALU_CYCLE_1)
	s_xor_b32 s15, s15, -1
	v_add_nc_u32_e32 v9, 0x1000, v9
	v_add_nc_u32_e32 v7, 0x800, v7
	s_and_b32 s15, exec_lo, s15
	s_or_b32 s16, s15, s16
	s_waitcnt lgkmcnt(0)
	v_add_nc_u32_e32 v6, v2, v6
	s_and_not1_b32 exec_lo, exec_lo, s16
	s_cbranch_execz .LBB224_85
.LBB224_38:                             ; =>This Inner Loop Header: Depth=1
	ds_load_b32 v10, v7
	ds_load_2addr_b32 v[2:3], v9 offset1:1
	s_waitcnt lgkmcnt(0)
	s_barrier
	buffer_gl0_inv
	v_cmp_gt_i32_e64 s15, s33, v10
	s_delay_alu instid0(VALU_DEP_1) | instskip(NEXT) | instid1(SALU_CYCLE_1)
	s_bcnt1_i32_b32 s17, s15
	v_dual_mov_b32 v12, s17 :: v_dual_and_b32 v11, s15, v1
	s_delay_alu instid0(VALU_DEP_1)
	v_bcnt_u32_b32 v11, v11, 0
	ds_store_b32 v4, v12 offset:12288
	s_waitcnt lgkmcnt(0)
	s_barrier
	buffer_gl0_inv
	s_and_saveexec_b32 s17, s0
	s_cbranch_execnz .LBB224_55
; %bb.39:                               ;   in Loop: Header=BB224_38 Depth=1
	s_or_b32 exec_lo, exec_lo, s17
	s_and_saveexec_b32 s17, s1
	s_cbranch_execnz .LBB224_56
.LBB224_40:                             ;   in Loop: Header=BB224_38 Depth=1
	s_or_b32 exec_lo, exec_lo, s17
	s_and_saveexec_b32 s17, s2
	s_cbranch_execnz .LBB224_57
.LBB224_41:                             ;   in Loop: Header=BB224_38 Depth=1
	s_or_b32 exec_lo, exec_lo, s17
	s_and_saveexec_b32 s17, s3
	s_cbranch_execnz .LBB224_58
.LBB224_42:                             ;   in Loop: Header=BB224_38 Depth=1
	s_or_b32 exec_lo, exec_lo, s17
	s_and_saveexec_b32 s17, s4
	s_cbranch_execnz .LBB224_59
.LBB224_43:                             ;   in Loop: Header=BB224_38 Depth=1
	s_or_b32 exec_lo, exec_lo, s17
	s_and_saveexec_b32 s17, s5
	s_cbranch_execnz .LBB224_60
.LBB224_44:                             ;   in Loop: Header=BB224_38 Depth=1
	s_or_b32 exec_lo, exec_lo, s17
	s_and_saveexec_b32 s17, s6
	s_cbranch_execnz .LBB224_61
.LBB224_45:                             ;   in Loop: Header=BB224_38 Depth=1
	s_or_b32 exec_lo, exec_lo, s17
	s_and_saveexec_b32 s17, s7
	s_cbranch_execnz .LBB224_62
.LBB224_46:                             ;   in Loop: Header=BB224_38 Depth=1
	s_or_b32 exec_lo, exec_lo, s17
	s_and_saveexec_b32 s17, s8
	s_cbranch_execnz .LBB224_63
.LBB224_47:                             ;   in Loop: Header=BB224_38 Depth=1
	s_or_b32 exec_lo, exec_lo, s17
	s_and_saveexec_b32 s17, s9
	s_cbranch_execnz .LBB224_64
.LBB224_48:                             ;   in Loop: Header=BB224_38 Depth=1
	s_or_b32 exec_lo, exec_lo, s17
	s_and_saveexec_b32 s17, s10
	s_cbranch_execnz .LBB224_65
.LBB224_49:                             ;   in Loop: Header=BB224_38 Depth=1
	s_or_b32 exec_lo, exec_lo, s17
	s_and_saveexec_b32 s17, s11
	s_cbranch_execnz .LBB224_66
.LBB224_50:                             ;   in Loop: Header=BB224_38 Depth=1
	s_or_b32 exec_lo, exec_lo, s17
	s_and_saveexec_b32 s17, s12
	s_cbranch_execnz .LBB224_67
.LBB224_51:                             ;   in Loop: Header=BB224_38 Depth=1
	s_or_b32 exec_lo, exec_lo, s17
	s_and_saveexec_b32 s17, s13
	s_cbranch_execnz .LBB224_68
.LBB224_52:                             ;   in Loop: Header=BB224_38 Depth=1
	s_or_b32 exec_lo, exec_lo, s17
	s_and_saveexec_b32 s17, s14
	s_cbranch_execnz .LBB224_69
.LBB224_53:                             ;   in Loop: Header=BB224_38 Depth=1
	s_or_b32 exec_lo, exec_lo, s17
	s_and_saveexec_b32 s17, s15
	s_cbranch_execnz .LBB224_70
.LBB224_54:                             ;   in Loop: Header=BB224_38 Depth=1
	s_or_b32 exec_lo, exec_lo, s17
	s_and_saveexec_b32 s15, vcc_lo
	s_cbranch_execz .LBB224_37
	s_branch .LBB224_71
.LBB224_55:                             ;   in Loop: Header=BB224_38 Depth=1
	ds_load_b32 v12, v5 offset:12288
	s_waitcnt lgkmcnt(0)
	v_add_nc_u32_e32 v11, v12, v11
	s_or_b32 exec_lo, exec_lo, s17
	s_and_saveexec_b32 s17, s1
	s_cbranch_execz .LBB224_40
.LBB224_56:                             ;   in Loop: Header=BB224_38 Depth=1
	ds_load_b32 v12, v5 offset:12292
	s_waitcnt lgkmcnt(0)
	v_add_nc_u32_e32 v11, v12, v11
	s_or_b32 exec_lo, exec_lo, s17
	s_and_saveexec_b32 s17, s2
	s_cbranch_execz .LBB224_41
.LBB224_57:                             ;   in Loop: Header=BB224_38 Depth=1
	ds_load_b32 v12, v5 offset:12296
	s_waitcnt lgkmcnt(0)
	v_add_nc_u32_e32 v11, v12, v11
	s_or_b32 exec_lo, exec_lo, s17
	s_and_saveexec_b32 s17, s3
	s_cbranch_execz .LBB224_42
.LBB224_58:                             ;   in Loop: Header=BB224_38 Depth=1
	ds_load_b32 v12, v5 offset:12300
	s_waitcnt lgkmcnt(0)
	v_add_nc_u32_e32 v11, v12, v11
	s_or_b32 exec_lo, exec_lo, s17
	s_and_saveexec_b32 s17, s4
	s_cbranch_execz .LBB224_43
.LBB224_59:                             ;   in Loop: Header=BB224_38 Depth=1
	ds_load_b32 v12, v5 offset:12304
	s_waitcnt lgkmcnt(0)
	v_add_nc_u32_e32 v11, v12, v11
	s_or_b32 exec_lo, exec_lo, s17
	s_and_saveexec_b32 s17, s5
	s_cbranch_execz .LBB224_44
.LBB224_60:                             ;   in Loop: Header=BB224_38 Depth=1
	ds_load_b32 v12, v5 offset:12308
	s_waitcnt lgkmcnt(0)
	v_add_nc_u32_e32 v11, v12, v11
	s_or_b32 exec_lo, exec_lo, s17
	s_and_saveexec_b32 s17, s6
	s_cbranch_execz .LBB224_45
.LBB224_61:                             ;   in Loop: Header=BB224_38 Depth=1
	ds_load_b32 v12, v5 offset:12312
	s_waitcnt lgkmcnt(0)
	v_add_nc_u32_e32 v11, v12, v11
	s_or_b32 exec_lo, exec_lo, s17
	s_and_saveexec_b32 s17, s7
	s_cbranch_execz .LBB224_46
.LBB224_62:                             ;   in Loop: Header=BB224_38 Depth=1
	ds_load_b32 v12, v5 offset:12316
	s_waitcnt lgkmcnt(0)
	v_add_nc_u32_e32 v11, v12, v11
	s_or_b32 exec_lo, exec_lo, s17
	s_and_saveexec_b32 s17, s8
	s_cbranch_execz .LBB224_47
.LBB224_63:                             ;   in Loop: Header=BB224_38 Depth=1
	ds_load_b32 v12, v5 offset:12320
	s_waitcnt lgkmcnt(0)
	v_add_nc_u32_e32 v11, v12, v11
	s_or_b32 exec_lo, exec_lo, s17
	s_and_saveexec_b32 s17, s9
	s_cbranch_execz .LBB224_48
.LBB224_64:                             ;   in Loop: Header=BB224_38 Depth=1
	ds_load_b32 v12, v5 offset:12324
	s_waitcnt lgkmcnt(0)
	v_add_nc_u32_e32 v11, v12, v11
	s_or_b32 exec_lo, exec_lo, s17
	s_and_saveexec_b32 s17, s10
	s_cbranch_execz .LBB224_49
.LBB224_65:                             ;   in Loop: Header=BB224_38 Depth=1
	ds_load_b32 v12, v5 offset:12328
	s_waitcnt lgkmcnt(0)
	v_add_nc_u32_e32 v11, v12, v11
	s_or_b32 exec_lo, exec_lo, s17
	s_and_saveexec_b32 s17, s11
	s_cbranch_execz .LBB224_50
.LBB224_66:                             ;   in Loop: Header=BB224_38 Depth=1
	ds_load_b32 v12, v5 offset:12332
	s_waitcnt lgkmcnt(0)
	v_add_nc_u32_e32 v11, v12, v11
	s_or_b32 exec_lo, exec_lo, s17
	s_and_saveexec_b32 s17, s12
	s_cbranch_execz .LBB224_51
.LBB224_67:                             ;   in Loop: Header=BB224_38 Depth=1
	ds_load_b32 v12, v5 offset:12336
	s_waitcnt lgkmcnt(0)
	v_add_nc_u32_e32 v11, v12, v11
	s_or_b32 exec_lo, exec_lo, s17
	s_and_saveexec_b32 s17, s13
	s_cbranch_execz .LBB224_52
.LBB224_68:                             ;   in Loop: Header=BB224_38 Depth=1
	ds_load_b32 v12, v5 offset:12340
	s_waitcnt lgkmcnt(0)
	v_add_nc_u32_e32 v11, v12, v11
	s_or_b32 exec_lo, exec_lo, s17
	s_and_saveexec_b32 s17, s14
	s_cbranch_execz .LBB224_53
.LBB224_69:                             ;   in Loop: Header=BB224_38 Depth=1
	ds_load_b32 v12, v5 offset:12344
	s_waitcnt lgkmcnt(0)
	v_add_nc_u32_e32 v11, v12, v11
	s_or_b32 exec_lo, exec_lo, s17
	s_and_saveexec_b32 s17, s15
	s_cbranch_execz .LBB224_54
.LBB224_70:                             ;   in Loop: Header=BB224_38 Depth=1
	s_delay_alu instid0(VALU_DEP_1) | instskip(NEXT) | instid1(VALU_DEP_1)
	v_add3_u32 v12, v6, -1, v11
	v_lshlrev_b32_e32 v13, 3, v12
	v_lshl_add_u32 v12, v12, 2, 0
	s_delay_alu instid0(VALU_DEP_2)
	v_add3_u32 v13, 0, v13, 0x1000
	ds_store_b32 v12, v10
	ds_store_2addr_b32 v13, v2, v3 offset1:1
	s_or_b32 exec_lo, exec_lo, s17
	s_and_saveexec_b32 s15, vcc_lo
	s_cbranch_execz .LBB224_37
.LBB224_71:                             ;   in Loop: Header=BB224_38 Depth=1
	ds_store_b32 v5, v11 offset:12348
	s_branch .LBB224_37
.LBB224_72:                             ;   in Loop: Header=BB224_73 Depth=1
	s_or_b32 exec_lo, exec_lo, s5
	v_add_co_u32 v1, vcc_lo, 0x200, v1
	v_add_co_ci_u32_e32 v2, vcc_lo, 0, v2, vcc_lo
	s_delay_alu instid0(VALU_DEP_1) | instskip(SKIP_1) | instid1(SALU_CYCLE_1)
	v_cmp_le_i64_e32 vcc_lo, s[0:1], v[1:2]
	s_or_b32 s4, vcc_lo, s4
	s_and_not1_b32 exec_lo, exec_lo, s4
	s_cbranch_execz .LBB224_35
.LBB224_73:                             ; =>This Loop Header: Depth=1
                                        ;     Child Loop BB224_75 Depth 2
	v_lshlrev_b64 v[3:4], 2, v[1:2]
	v_lshlrev_b64 v[5:6], 3, v[1:2]
	s_mov_b32 s5, 0
	s_delay_alu instid0(VALU_DEP_2) | instskip(NEXT) | instid1(VALU_DEP_3)
	v_add_co_u32 v3, vcc_lo, s16, v3
	v_add_co_ci_u32_e32 v4, vcc_lo, s17, v4, vcc_lo
	global_load_b32 v13, v[3:4], off
	v_add_co_u32 v3, vcc_lo, s18, v5
	v_add_co_ci_u32_e32 v4, vcc_lo, s19, v6, vcc_lo
	global_load_b64 v[11:12], v[3:4], off
	s_waitcnt vmcnt(1)
	v_subrev_nc_u32_e32 v3, s39, v13
	s_delay_alu instid0(VALU_DEP_1) | instskip(SKIP_2) | instid1(VALU_DEP_1)
	v_mul_lo_u32 v6, 0x89, v3
	s_waitcnt vmcnt(0)
	v_mul_f32_e64 v4, v12, -s12
	v_dual_mul_f32 v5, s2, v12 :: v_dual_fmac_f32 v4, s2, v11
	s_delay_alu instid0(VALU_DEP_1)
	v_dual_fmac_f32 v5, s12, v11 :: v_dual_and_b32 v6, 0x3ff, v6
	s_branch .LBB224_75
.LBB224_74:                             ;   in Loop: Header=BB224_75 Depth=2
	s_or_b32 exec_lo, exec_lo, s6
	s_xor_b32 s6, s7, -1
	s_delay_alu instid0(SALU_CYCLE_1) | instskip(NEXT) | instid1(SALU_CYCLE_1)
	s_and_b32 s6, exec_lo, s6
	s_or_b32 s5, s6, s5
	s_delay_alu instid0(SALU_CYCLE_1)
	s_and_not1_b32 exec_lo, exec_lo, s5
	s_cbranch_execz .LBB224_72
.LBB224_75:                             ;   Parent Loop BB224_73 Depth=1
                                        ; =>  This Inner Loop Header: Depth=2
	s_delay_alu instid0(VALU_DEP_1)
	v_lshl_add_u32 v11, v6, 2, 0
	s_mov_b32 s6, exec_lo
                                        ; implicit-def: $sgpr7
	ds_load_b32 v12, v11
	s_waitcnt lgkmcnt(0)
	v_cmpx_ne_u32_e64 v12, v3
	s_xor_b32 s6, exec_lo, s6
	s_cbranch_execz .LBB224_83
; %bb.76:                               ;   in Loop: Header=BB224_75 Depth=2
	s_mov_b32 s8, exec_lo
                                        ; implicit-def: $sgpr7
	v_cmpx_ne_u32_e64 s33, v12
	s_xor_b32 s8, exec_lo, s8
; %bb.77:                               ;   in Loop: Header=BB224_75 Depth=2
	v_add_nc_u32_e32 v6, 1, v6
	s_mov_b32 s7, -1
                                        ; implicit-def: $vgpr11
	s_delay_alu instid0(VALU_DEP_1)
	v_and_b32_e32 v6, 0x3ff, v6
; %bb.78:                               ;   in Loop: Header=BB224_75 Depth=2
	s_and_not1_saveexec_b32 s8, s8
	s_cbranch_execz .LBB224_82
; %bb.79:                               ;   in Loop: Header=BB224_75 Depth=2
	v_mov_b32_e32 v12, s33
	s_mov_b32 s9, -1
	s_mov_b32 s10, exec_lo
	ds_cmpstore_rtn_b32 v12, v11, v3, v12
	s_waitcnt lgkmcnt(0)
	v_cmpx_eq_u32_e64 s33, v12
	s_cbranch_execz .LBB224_81
; %bb.80:                               ;   in Loop: Header=BB224_75 Depth=2
	v_lshl_add_u32 v11, v6, 2, v11
	s_xor_b32 s9, exec_lo, -1
	ds_add_f32 v11, v4 offset:4096
	ds_add_f32 v11, v5 offset:4100
.LBB224_81:                             ;   in Loop: Header=BB224_75 Depth=2
	s_or_b32 exec_lo, exec_lo, s10
	s_delay_alu instid0(SALU_CYCLE_1) | instskip(SKIP_1) | instid1(SALU_CYCLE_1)
	s_and_not1_b32 s7, s7, exec_lo
	s_and_b32 s9, s9, exec_lo
	s_or_b32 s7, s7, s9
.LBB224_82:                             ;   in Loop: Header=BB224_75 Depth=2
	s_or_b32 exec_lo, exec_lo, s8
	s_delay_alu instid0(SALU_CYCLE_1)
	s_and_b32 s7, s7, exec_lo
                                        ; implicit-def: $vgpr11
.LBB224_83:                             ;   in Loop: Header=BB224_75 Depth=2
	s_and_not1_saveexec_b32 s6, s6
	s_cbranch_execz .LBB224_74
; %bb.84:                               ;   in Loop: Header=BB224_75 Depth=2
	v_lshl_add_u32 v11, v6, 2, v11
	s_and_not1_b32 s7, s7, exec_lo
	ds_add_f32 v11, v4 offset:4096
	ds_add_f32 v11, v5 offset:4100
	s_branch .LBB224_74
.LBB224_85:
	s_or_b32 exec_lo, exec_lo, s16
	s_ashr_i32 s41, s40, 31
	s_mov_b32 s4, exec_lo
	s_lshl_b64 s[0:1], s[40:41], 3
	s_delay_alu instid0(SALU_CYCLE_1) | instskip(SKIP_4) | instid1(SALU_CYCLE_1)
	s_add_u32 s0, s20, s0
	s_addc_u32 s1, s21, s1
	s_load_b128 s[0:3], s[0:1], 0x0
	s_waitcnt lgkmcnt(0)
	s_sub_i32 s3, s2, s0
	v_cmpx_gt_i32_e64 s3, v0
	s_cbranch_execz .LBB224_95
; %bb.86:
	s_sub_u32 s4, s0, s38
	s_subb_u32 s5, s1, 0
	s_sub_i32 s0, s0, s2
	s_and_b32 s1, s3, 7
	s_cmp_lt_u32 s0, -7
	s_mov_b32 s8, 0
	s_cselect_b32 s2, -1, 0
	s_and_b32 s6, s3, -8
	s_cmp_lg_u32 s1, 0
	s_cselect_b32 s7, -1, 0
	s_branch .LBB224_88
.LBB224_87:                             ;   in Loop: Header=BB224_88 Depth=1
	s_delay_alu instid0(VALU_DEP_1) | instskip(SKIP_4) | instid1(VALU_DEP_4)
	v_lshlrev_b64 v[6:7], 2, v[3:4]
	v_lshlrev_b64 v[3:4], 3, v[3:4]
	v_add_nc_u32_e32 v0, 0x200, v0
	s_waitcnt lgkmcnt(1)
	v_add_nc_u32_e32 v8, s38, v5
	v_add_co_u32 v5, vcc_lo, s22, v6
	v_add_co_ci_u32_e32 v6, vcc_lo, s23, v7, vcc_lo
	v_cmp_le_i32_e32 vcc_lo, s3, v0
	v_add_co_u32 v3, s0, s34, v3
	s_delay_alu instid0(VALU_DEP_1)
	v_add_co_ci_u32_e64 v4, s0, s35, v4, s0
	s_or_b32 s8, vcc_lo, s8
	global_store_b32 v[5:6], v8, off
	s_waitcnt lgkmcnt(0)
	global_store_b64 v[3:4], v[1:2], off
	s_and_not1_b32 exec_lo, exec_lo, s8
	s_cbranch_execz .LBB224_95
.LBB224_88:                             ; =>This Loop Header: Depth=1
                                        ;     Child Loop BB224_90 Depth 2
                                        ;     Child Loop BB224_94 Depth 2
	v_lshlrev_b32_e32 v1, 2, v0
	v_dual_mov_b32 v3, s4 :: v_dual_mov_b32 v4, s5
	s_and_not1_b32 vcc_lo, exec_lo, s2
	s_mov_b32 s0, 0
	s_delay_alu instid0(VALU_DEP_2) | instskip(NEXT) | instid1(VALU_DEP_1)
	v_add_nc_u32_e32 v2, 0, v1
	v_add3_u32 v1, v2, v1, 0x1000
	ds_load_b32 v5, v2
	ds_load_2addr_b32 v[1:2], v1 offset1:1
	s_cbranch_vccnz .LBB224_92
; %bb.89:                               ;   in Loop: Header=BB224_88 Depth=1
	v_dual_mov_b32 v3, s4 :: v_dual_mov_b32 v4, s5
	s_mov_b32 s9, 0
	s_mov_b32 s10, 0
.LBB224_90:                             ;   Parent Loop BB224_88 Depth=1
                                        ; =>  This Inner Loop Header: Depth=2
	s_delay_alu instid0(SALU_CYCLE_1)
	v_mov_b32_e32 v12, s10
	s_add_i32 s9, s9, 8
	s_add_i32 s10, s10, 32
	s_cmp_eq_u32 s6, s9
	ds_load_2addr_b32 v[6:7], v12 offset1:1
	ds_load_2addr_b32 v[8:9], v12 offset0:2 offset1:3
	ds_load_2addr_b32 v[10:11], v12 offset0:4 offset1:5
	;; [unrolled: 1-line block ×3, first 2 shown]
	s_waitcnt lgkmcnt(3)
	v_cmp_gt_i32_e32 vcc_lo, v5, v6
	v_cndmask_b32_e64 v6, 0, 1, vcc_lo
	v_cmp_gt_i32_e32 vcc_lo, v5, v7
	v_cndmask_b32_e64 v7, 0, 1, vcc_lo
	s_waitcnt lgkmcnt(2)
	v_cmp_gt_i32_e32 vcc_lo, v5, v8
	v_cndmask_b32_e64 v8, 0, 1, vcc_lo
	v_cmp_gt_i32_e32 vcc_lo, v5, v9
	v_cndmask_b32_e64 v9, 0, 1, vcc_lo
	s_waitcnt lgkmcnt(1)
	v_cmp_gt_i32_e32 vcc_lo, v5, v10
	v_cndmask_b32_e64 v10, 0, 1, vcc_lo
	v_add_co_u32 v3, vcc_lo, v3, v6
	v_add_co_ci_u32_e32 v4, vcc_lo, 0, v4, vcc_lo
	v_cmp_gt_i32_e32 vcc_lo, v5, v11
	s_delay_alu instid0(VALU_DEP_3) | instskip(NEXT) | instid1(VALU_DEP_1)
	v_add_co_u32 v3, s0, v3, v7
	v_add_co_ci_u32_e64 v4, s0, 0, v4, s0
	v_cndmask_b32_e64 v6, 0, 1, vcc_lo
	s_delay_alu instid0(VALU_DEP_3) | instskip(NEXT) | instid1(VALU_DEP_3)
	v_add_co_u32 v3, vcc_lo, v3, v8
	v_add_co_ci_u32_e32 v4, vcc_lo, 0, v4, vcc_lo
	s_waitcnt lgkmcnt(0)
	v_cmp_gt_i32_e32 vcc_lo, v5, v12
	s_delay_alu instid0(VALU_DEP_3) | instskip(NEXT) | instid1(VALU_DEP_1)
	v_add_co_u32 v3, s0, v3, v9
	v_add_co_ci_u32_e64 v4, s0, 0, v4, s0
	v_cndmask_b32_e64 v7, 0, 1, vcc_lo
	s_delay_alu instid0(VALU_DEP_3) | instskip(NEXT) | instid1(VALU_DEP_3)
	v_add_co_u32 v3, vcc_lo, v3, v10
	v_add_co_ci_u32_e32 v4, vcc_lo, 0, v4, vcc_lo
	v_cmp_gt_i32_e32 vcc_lo, v5, v13
	s_delay_alu instid0(VALU_DEP_3) | instskip(NEXT) | instid1(VALU_DEP_1)
	v_add_co_u32 v3, s0, v3, v6
	v_add_co_ci_u32_e64 v4, s0, 0, v4, s0
	v_cndmask_b32_e64 v6, 0, 1, vcc_lo
	s_delay_alu instid0(VALU_DEP_3) | instskip(NEXT) | instid1(VALU_DEP_3)
	v_add_co_u32 v3, vcc_lo, v3, v7
	v_add_co_ci_u32_e32 v4, vcc_lo, 0, v4, vcc_lo
	s_delay_alu instid0(VALU_DEP_2) | instskip(NEXT) | instid1(VALU_DEP_2)
	v_add_co_u32 v3, vcc_lo, v3, v6
	v_add_co_ci_u32_e32 v4, vcc_lo, 0, v4, vcc_lo
	s_cbranch_scc0 .LBB224_90
; %bb.91:                               ;   in Loop: Header=BB224_88 Depth=1
	s_mov_b32 s0, s6
.LBB224_92:                             ;   in Loop: Header=BB224_88 Depth=1
	s_and_not1_b32 vcc_lo, exec_lo, s7
	s_cbranch_vccnz .LBB224_87
; %bb.93:                               ;   in Loop: Header=BB224_88 Depth=1
	s_lshl_b32 s0, s0, 2
	s_mov_b32 s9, s1
	s_add_i32 s0, s0, 0
.LBB224_94:                             ;   Parent Loop BB224_88 Depth=1
                                        ; =>  This Inner Loop Header: Depth=2
	s_delay_alu instid0(SALU_CYCLE_1)
	v_mov_b32_e32 v6, s0
	s_add_i32 s9, s9, -1
	s_add_i32 s0, s0, 4
	s_cmp_lg_u32 s9, 0
	ds_load_b32 v6, v6
	s_waitcnt lgkmcnt(0)
	v_cmp_gt_i32_e32 vcc_lo, v5, v6
	v_cndmask_b32_e64 v6, 0, 1, vcc_lo
	s_delay_alu instid0(VALU_DEP_1)
	v_add_co_u32 v3, vcc_lo, v3, v6
	v_add_co_ci_u32_e32 v4, vcc_lo, 0, v4, vcc_lo
	s_cbranch_scc1 .LBB224_94
	s_branch .LBB224_87
.LBB224_95:
	s_nop 0
	s_sendmsg sendmsg(MSG_DEALLOC_VGPRS)
	s_endpgm
	.section	.rodata,"a",@progbits
	.p2align	6, 0x0
	.amdhsa_kernel _ZN9rocsparseL26csrgemm_fill_block_per_rowILj512ELj32ELj1024ELj137ELj32Eli21rocsparse_complex_numIfEEEvT5_PKS3_S5_NS_24const_host_device_scalarIT6_EEPKT4_S5_PKS7_SB_S5_SD_S8_SB_S5_SD_SB_PS3_PS7_21rocsparse_index_base_SG_SG_SG_bbb
		.amdhsa_group_segment_fixed_size 0
		.amdhsa_private_segment_fixed_size 0
		.amdhsa_kernarg_size 156
		.amdhsa_user_sgpr_count 15
		.amdhsa_user_sgpr_dispatch_ptr 0
		.amdhsa_user_sgpr_queue_ptr 0
		.amdhsa_user_sgpr_kernarg_segment_ptr 1
		.amdhsa_user_sgpr_dispatch_id 0
		.amdhsa_user_sgpr_private_segment_size 0
		.amdhsa_wavefront_size32 1
		.amdhsa_uses_dynamic_stack 0
		.amdhsa_enable_private_segment 0
		.amdhsa_system_sgpr_workgroup_id_x 1
		.amdhsa_system_sgpr_workgroup_id_y 0
		.amdhsa_system_sgpr_workgroup_id_z 0
		.amdhsa_system_sgpr_workgroup_info 0
		.amdhsa_system_vgpr_workitem_id 0
		.amdhsa_next_free_vgpr 21
		.amdhsa_next_free_sgpr 48
		.amdhsa_reserve_vcc 1
		.amdhsa_float_round_mode_32 0
		.amdhsa_float_round_mode_16_64 0
		.amdhsa_float_denorm_mode_32 3
		.amdhsa_float_denorm_mode_16_64 3
		.amdhsa_dx10_clamp 1
		.amdhsa_ieee_mode 1
		.amdhsa_fp16_overflow 0
		.amdhsa_workgroup_processor_mode 1
		.amdhsa_memory_ordered 1
		.amdhsa_forward_progress 0
		.amdhsa_shared_vgpr_count 0
		.amdhsa_exception_fp_ieee_invalid_op 0
		.amdhsa_exception_fp_denorm_src 0
		.amdhsa_exception_fp_ieee_div_zero 0
		.amdhsa_exception_fp_ieee_overflow 0
		.amdhsa_exception_fp_ieee_underflow 0
		.amdhsa_exception_fp_ieee_inexact 0
		.amdhsa_exception_int_div_zero 0
	.end_amdhsa_kernel
	.section	.text._ZN9rocsparseL26csrgemm_fill_block_per_rowILj512ELj32ELj1024ELj137ELj32Eli21rocsparse_complex_numIfEEEvT5_PKS3_S5_NS_24const_host_device_scalarIT6_EEPKT4_S5_PKS7_SB_S5_SD_S8_SB_S5_SD_SB_PS3_PS7_21rocsparse_index_base_SG_SG_SG_bbb,"axG",@progbits,_ZN9rocsparseL26csrgemm_fill_block_per_rowILj512ELj32ELj1024ELj137ELj32Eli21rocsparse_complex_numIfEEEvT5_PKS3_S5_NS_24const_host_device_scalarIT6_EEPKT4_S5_PKS7_SB_S5_SD_S8_SB_S5_SD_SB_PS3_PS7_21rocsparse_index_base_SG_SG_SG_bbb,comdat
.Lfunc_end224:
	.size	_ZN9rocsparseL26csrgemm_fill_block_per_rowILj512ELj32ELj1024ELj137ELj32Eli21rocsparse_complex_numIfEEEvT5_PKS3_S5_NS_24const_host_device_scalarIT6_EEPKT4_S5_PKS7_SB_S5_SD_S8_SB_S5_SD_SB_PS3_PS7_21rocsparse_index_base_SG_SG_SG_bbb, .Lfunc_end224-_ZN9rocsparseL26csrgemm_fill_block_per_rowILj512ELj32ELj1024ELj137ELj32Eli21rocsparse_complex_numIfEEEvT5_PKS3_S5_NS_24const_host_device_scalarIT6_EEPKT4_S5_PKS7_SB_S5_SD_S8_SB_S5_SD_SB_PS3_PS7_21rocsparse_index_base_SG_SG_SG_bbb
                                        ; -- End function
	.section	.AMDGPU.csdata,"",@progbits
; Kernel info:
; codeLenInByte = 3604
; NumSgprs: 50
; NumVgprs: 21
; ScratchSize: 0
; MemoryBound: 0
; FloatMode: 240
; IeeeMode: 1
; LDSByteSize: 0 bytes/workgroup (compile time only)
; SGPRBlocks: 6
; VGPRBlocks: 2
; NumSGPRsForWavesPerEU: 50
; NumVGPRsForWavesPerEU: 21
; Occupancy: 16
; WaveLimiterHint : 1
; COMPUTE_PGM_RSRC2:SCRATCH_EN: 0
; COMPUTE_PGM_RSRC2:USER_SGPR: 15
; COMPUTE_PGM_RSRC2:TRAP_HANDLER: 0
; COMPUTE_PGM_RSRC2:TGID_X_EN: 1
; COMPUTE_PGM_RSRC2:TGID_Y_EN: 0
; COMPUTE_PGM_RSRC2:TGID_Z_EN: 0
; COMPUTE_PGM_RSRC2:TIDIG_COMP_CNT: 0
	.section	.text._ZN9rocsparseL26csrgemm_fill_block_per_rowILj512ELj32ELj1024ELj137ELj64Eli21rocsparse_complex_numIfEEEvT5_PKS3_S5_NS_24const_host_device_scalarIT6_EEPKT4_S5_PKS7_SB_S5_SD_S8_SB_S5_SD_SB_PS3_PS7_21rocsparse_index_base_SG_SG_SG_bbb,"axG",@progbits,_ZN9rocsparseL26csrgemm_fill_block_per_rowILj512ELj32ELj1024ELj137ELj64Eli21rocsparse_complex_numIfEEEvT5_PKS3_S5_NS_24const_host_device_scalarIT6_EEPKT4_S5_PKS7_SB_S5_SD_S8_SB_S5_SD_SB_PS3_PS7_21rocsparse_index_base_SG_SG_SG_bbb,comdat
	.globl	_ZN9rocsparseL26csrgemm_fill_block_per_rowILj512ELj32ELj1024ELj137ELj64Eli21rocsparse_complex_numIfEEEvT5_PKS3_S5_NS_24const_host_device_scalarIT6_EEPKT4_S5_PKS7_SB_S5_SD_S8_SB_S5_SD_SB_PS3_PS7_21rocsparse_index_base_SG_SG_SG_bbb ; -- Begin function _ZN9rocsparseL26csrgemm_fill_block_per_rowILj512ELj32ELj1024ELj137ELj64Eli21rocsparse_complex_numIfEEEvT5_PKS3_S5_NS_24const_host_device_scalarIT6_EEPKT4_S5_PKS7_SB_S5_SD_S8_SB_S5_SD_SB_PS3_PS7_21rocsparse_index_base_SG_SG_SG_bbb
	.p2align	8
	.type	_ZN9rocsparseL26csrgemm_fill_block_per_rowILj512ELj32ELj1024ELj137ELj64Eli21rocsparse_complex_numIfEEEvT5_PKS3_S5_NS_24const_host_device_scalarIT6_EEPKT4_S5_PKS7_SB_S5_SD_S8_SB_S5_SD_SB_PS3_PS7_21rocsparse_index_base_SG_SG_SG_bbb,@function
_ZN9rocsparseL26csrgemm_fill_block_per_rowILj512ELj32ELj1024ELj137ELj64Eli21rocsparse_complex_numIfEEEvT5_PKS3_S5_NS_24const_host_device_scalarIT6_EEPKT4_S5_PKS7_SB_S5_SD_S8_SB_S5_SD_SB_PS3_PS7_21rocsparse_index_base_SG_SG_SG_bbb: ; @_ZN9rocsparseL26csrgemm_fill_block_per_rowILj512ELj32ELj1024ELj137ELj64Eli21rocsparse_complex_numIfEEEvT5_PKS3_S5_NS_24const_host_device_scalarIT6_EEPKT4_S5_PKS7_SB_S5_SD_S8_SB_S5_SD_SB_PS3_PS7_21rocsparse_index_base_SG_SG_SG_bbb
; %bb.0:
	s_clause 0x6
	s_load_b32 s14, s[0:1], 0x98
	s_load_b256 s[4:11], s[0:1], 0x60
	s_load_b256 s[16:23], s[0:1], 0x40
	s_load_b128 s[40:43], s[0:1], 0x8
	s_load_b256 s[24:31], s[0:1], 0x20
	s_load_b64 s[12:13], s[0:1], 0x80
	s_load_b128 s[36:39], s[0:1], 0x88
	s_mov_b32 s3, 0
	s_mov_b32 s34, 0
	s_waitcnt lgkmcnt(0)
	s_bitcmp1_b32 s14, 0
	s_cselect_b32 s44, -1, 0
	s_bitcmp1_b32 s14, 16
	s_cselect_b32 s2, -1, 0
	s_delay_alu instid0(SALU_CYCLE_1) | instskip(SKIP_2) | instid1(VALU_DEP_1)
	s_xor_b32 s33, s2, -1
	s_bitcmp0_b32 s14, 0
	v_cndmask_b32_e64 v1, 0, 1, s33
	v_cmp_ne_u32_e32 vcc_lo, 1, v1
	s_cbranch_scc1 .LBB225_5
; %bb.1:
	s_load_b64 s[2:3], s[0:1], 0x18
	s_and_b32 vcc_lo, exec_lo, vcc_lo
	s_waitcnt lgkmcnt(0)
	s_mov_b32 s34, s2
	s_cbranch_vccnz .LBB225_3
; %bb.2:
	s_load_b32 s34, s[2:3], 0x0
.LBB225_3:
	s_and_not1_b32 vcc_lo, exec_lo, s33
	s_cbranch_vccnz .LBB225_5
; %bb.4:
	s_load_b32 s3, s[2:3], 0x4
.LBB225_5:
	s_bitcmp1_b32 s14, 8
	s_mov_b32 s33, 0
	s_cselect_b32 s35, -1, 0
	s_bfe_u32 s2, s14, 0x10008
	s_delay_alu instid0(SALU_CYCLE_1)
	s_cmp_eq_u32 s2, 0
	s_mov_b32 s2, 0
	s_cbranch_scc1 .LBB225_11
; %bb.6:
	v_cmp_ne_u32_e32 vcc_lo, 1, v1
	s_mov_b32 s2, s20
	s_cbranch_vccnz .LBB225_8
; %bb.7:
	s_load_b32 s2, s[20:21], 0x0
.LBB225_8:
	v_cmp_ne_u32_e32 vcc_lo, 1, v1
	s_cbranch_vccnz .LBB225_10
; %bb.9:
	s_load_b32 s21, s[20:21], 0x4
.LBB225_10:
	s_waitcnt lgkmcnt(0)
	s_mov_b32 s33, s21
.LBB225_11:
	s_load_b32 s20, s[0:1], 0x0
	v_lshl_add_u32 v7, v0, 2, 0
	v_lshlrev_b32_e32 v1, 3, v0
	v_or_b32_e32 v8, 0xfffffe00, v0
	s_mov_b32 s0, 0
	s_delay_alu instid0(VALU_DEP_3) | instskip(NEXT) | instid1(VALU_DEP_3)
	v_mov_b32_e32 v2, v7
	v_add3_u32 v9, v1, 0, 0x1000
	v_mov_b32_e32 v1, 0
	v_mov_b32_e32 v3, v8
	s_waitcnt lgkmcnt(0)
	s_delay_alu instid0(VALU_DEP_3)
	v_dual_mov_b32 v5, v9 :: v_dual_mov_b32 v4, s20
.LBB225_12:                             ; =>This Inner Loop Header: Depth=1
	s_delay_alu instid0(VALU_DEP_2) | instskip(NEXT) | instid1(VALU_DEP_1)
	v_add_co_u32 v3, s1, 0x200, v3
	s_xor_b32 s1, s1, -1
	ds_store_b32 v2, v4
	ds_store_2addr_b32 v5, v1, v1 offset1:1
	v_add_nc_u32_e32 v5, 0x1000, v5
	v_add_nc_u32_e32 v2, 0x800, v2
	s_and_b32 s1, exec_lo, s1
	s_delay_alu instid0(SALU_CYCLE_1) | instskip(NEXT) | instid1(SALU_CYCLE_1)
	s_or_b32 s0, s1, s0
	s_and_not1_b32 exec_lo, exec_lo, s0
	s_cbranch_execnz .LBB225_12
; %bb.13:
	s_or_b32 exec_lo, exec_lo, s0
	s_waitcnt lgkmcnt(0)
	s_barrier
	buffer_gl0_inv
	s_load_b32 s0, s[40:41], 0x0
	s_mov_b32 s1, 0
	s_waitcnt lgkmcnt(0)
	s_add_i32 s0, s0, s15
	s_delay_alu instid0(SALU_CYCLE_1) | instskip(NEXT) | instid1(SALU_CYCLE_1)
	s_lshl_b64 s[0:1], s[0:1], 2
	s_add_u32 s0, s42, s0
	s_addc_u32 s1, s43, s1
	s_and_b32 vcc_lo, exec_lo, s44
	s_load_b32 s14, s[0:1], 0x0
	s_cbranch_vccz .LBB225_33
; %bb.14:
	s_waitcnt lgkmcnt(0)
	s_ashr_i32 s15, s14, 31
	v_lshrrev_b32_e32 v1, 5, v0
	s_lshl_b64 s[0:1], s[14:15], 3
	s_mov_b32 s15, exec_lo
	s_add_u32 s0, s24, s0
	s_addc_u32 s1, s25, s1
	s_load_b128 s[40:43], s[0:1], 0x0
	v_sub_co_u32 v1, s0, v1, s36
	s_delay_alu instid0(VALU_DEP_1) | instskip(SKIP_1) | instid1(VALU_DEP_2)
	v_sub_co_ci_u32_e64 v2, null, 0, 0, s0
	s_waitcnt lgkmcnt(0)
	v_add_co_u32 v1, vcc_lo, s40, v1
	s_delay_alu instid0(VALU_DEP_2)
	v_add_co_ci_u32_e32 v2, vcc_lo, s41, v2, vcc_lo
	s_sub_u32 s0, s42, s36
	s_subb_u32 s1, s43, 0
	s_delay_alu instid0(VALU_DEP_1) | instid1(SALU_CYCLE_1)
	v_cmpx_gt_i64_e64 s[0:1], v[1:2]
	s_cbranch_execz .LBB225_32
; %bb.15:
	v_and_b32_e32 v3, 31, v0
	s_mov_b32 s24, s37
	s_delay_alu instid0(VALU_DEP_1) | instskip(NEXT) | instid1(VALU_DEP_1)
	v_sub_co_u32 v10, s21, v3, s37
	v_sub_co_ci_u32_e64 v11, null, 0, 0, s21
	s_mov_b32 s21, 0
	s_branch .LBB225_17
.LBB225_16:                             ;   in Loop: Header=BB225_17 Depth=1
	s_or_b32 exec_lo, exec_lo, s25
	v_add_co_u32 v1, vcc_lo, v1, 16
	v_add_co_ci_u32_e32 v2, vcc_lo, 0, v2, vcc_lo
	s_delay_alu instid0(VALU_DEP_1) | instskip(SKIP_1) | instid1(SALU_CYCLE_1)
	v_cmp_le_i64_e32 vcc_lo, s[0:1], v[1:2]
	s_or_b32 s21, vcc_lo, s21
	s_and_not1_b32 exec_lo, exec_lo, s21
	s_cbranch_execz .LBB225_32
.LBB225_17:                             ; =>This Loop Header: Depth=1
                                        ;     Child Loop BB225_20 Depth 2
                                        ;       Child Loop BB225_22 Depth 3
	v_lshlrev_b64 v[3:4], 2, v[1:2]
	s_mov_b32 s25, exec_lo
	s_delay_alu instid0(VALU_DEP_1) | instskip(NEXT) | instid1(VALU_DEP_2)
	v_add_co_u32 v3, vcc_lo, s26, v3
	v_add_co_ci_u32_e32 v4, vcc_lo, s27, v4, vcc_lo
	global_load_b32 v3, v[3:4], off
	s_waitcnt vmcnt(0)
	v_subrev_nc_u32_e32 v3, s36, v3
	s_delay_alu instid0(VALU_DEP_1) | instskip(NEXT) | instid1(VALU_DEP_1)
	v_ashrrev_i32_e32 v4, 31, v3
	v_lshlrev_b64 v[3:4], 3, v[3:4]
	s_delay_alu instid0(VALU_DEP_1) | instskip(NEXT) | instid1(VALU_DEP_2)
	v_add_co_u32 v3, vcc_lo, s30, v3
	v_add_co_ci_u32_e32 v4, vcc_lo, s31, v4, vcc_lo
	global_load_b128 v[12:15], v[3:4], off
	s_waitcnt vmcnt(0)
	v_sub_co_u32 v3, vcc_lo, v14, s24
	v_subrev_co_ci_u32_e32 v4, vcc_lo, 0, v15, vcc_lo
	v_add_co_u32 v5, vcc_lo, v12, v10
	v_add_co_ci_u32_e32 v6, vcc_lo, v13, v11, vcc_lo
	s_delay_alu instid0(VALU_DEP_1)
	v_cmpx_lt_i64_e64 v[5:6], v[3:4]
	s_cbranch_execz .LBB225_16
; %bb.18:                               ;   in Loop: Header=BB225_17 Depth=1
	v_lshlrev_b64 v[12:13], 3, v[1:2]
	s_mov_b32 s40, 0
	s_delay_alu instid0(VALU_DEP_1) | instskip(NEXT) | instid1(VALU_DEP_2)
	v_add_co_u32 v12, vcc_lo, s28, v12
	v_add_co_ci_u32_e32 v13, vcc_lo, s29, v13, vcc_lo
	global_load_b64 v[14:15], v[12:13], off
	s_waitcnt vmcnt(0)
	v_mul_f32_e64 v12, v15, -s3
	s_delay_alu instid0(VALU_DEP_1) | instskip(NEXT) | instid1(VALU_DEP_1)
	v_dual_mul_f32 v13, s34, v15 :: v_dual_fmac_f32 v12, s34, v14
	v_fmac_f32_e32 v13, s3, v14
	s_branch .LBB225_20
.LBB225_19:                             ;   in Loop: Header=BB225_20 Depth=2
	s_or_b32 exec_lo, exec_lo, s41
	v_add_co_u32 v5, vcc_lo, v5, 32
	v_add_co_ci_u32_e32 v6, vcc_lo, 0, v6, vcc_lo
	s_delay_alu instid0(VALU_DEP_1) | instskip(SKIP_1) | instid1(SALU_CYCLE_1)
	v_cmp_ge_i64_e32 vcc_lo, v[5:6], v[3:4]
	s_or_b32 s40, vcc_lo, s40
	s_and_not1_b32 exec_lo, exec_lo, s40
	s_cbranch_execz .LBB225_16
.LBB225_20:                             ;   Parent Loop BB225_17 Depth=1
                                        ; =>  This Loop Header: Depth=2
                                        ;       Child Loop BB225_22 Depth 3
	v_lshlrev_b64 v[14:15], 2, v[5:6]
	v_lshlrev_b64 v[16:17], 3, v[5:6]
	s_mov_b32 s41, 0
	s_delay_alu instid0(VALU_DEP_2) | instskip(NEXT) | instid1(VALU_DEP_3)
	v_add_co_u32 v14, vcc_lo, s16, v14
	v_add_co_ci_u32_e32 v15, vcc_lo, s17, v15, vcc_lo
	global_load_b32 v19, v[14:15], off
	v_add_co_u32 v14, vcc_lo, s18, v16
	v_add_co_ci_u32_e32 v15, vcc_lo, s19, v17, vcc_lo
	global_load_b64 v[17:18], v[14:15], off
	s_waitcnt vmcnt(1)
	v_subrev_nc_u32_e32 v14, s37, v19
	s_delay_alu instid0(VALU_DEP_1) | instskip(SKIP_3) | instid1(VALU_DEP_2)
	v_mul_lo_u32 v19, 0x89, v14
	s_waitcnt vmcnt(0)
	v_mul_f32_e64 v15, v18, -v13
	v_mul_f32_e32 v16, v12, v18
	v_fmac_f32_e32 v15, v12, v17
	s_delay_alu instid0(VALU_DEP_2)
	v_dual_fmac_f32 v16, v13, v17 :: v_dual_and_b32 v17, 0x3ff, v19
	s_branch .LBB225_22
.LBB225_21:                             ;   in Loop: Header=BB225_22 Depth=3
	s_or_b32 exec_lo, exec_lo, s42
	s_xor_b32 s42, s43, -1
	s_delay_alu instid0(SALU_CYCLE_1) | instskip(NEXT) | instid1(SALU_CYCLE_1)
	s_and_b32 s42, exec_lo, s42
	s_or_b32 s41, s42, s41
	s_delay_alu instid0(SALU_CYCLE_1)
	s_and_not1_b32 exec_lo, exec_lo, s41
	s_cbranch_execz .LBB225_19
.LBB225_22:                             ;   Parent Loop BB225_17 Depth=1
                                        ;     Parent Loop BB225_20 Depth=2
                                        ; =>    This Inner Loop Header: Depth=3
	s_delay_alu instid0(VALU_DEP_1)
	v_lshl_add_u32 v18, v17, 2, 0
	s_mov_b32 s42, exec_lo
                                        ; implicit-def: $sgpr43
	ds_load_b32 v19, v18
	s_waitcnt lgkmcnt(0)
	v_cmpx_ne_u32_e64 v19, v14
	s_xor_b32 s42, exec_lo, s42
	s_cbranch_execz .LBB225_30
; %bb.23:                               ;   in Loop: Header=BB225_22 Depth=3
	s_mov_b32 s44, exec_lo
                                        ; implicit-def: $sgpr43
	v_cmpx_ne_u32_e64 s20, v19
	s_xor_b32 s44, exec_lo, s44
; %bb.24:                               ;   in Loop: Header=BB225_22 Depth=3
	v_add_nc_u32_e32 v17, 1, v17
	s_mov_b32 s43, -1
                                        ; implicit-def: $vgpr18
	s_delay_alu instid0(VALU_DEP_1)
	v_and_b32_e32 v17, 0x3ff, v17
; %bb.25:                               ;   in Loop: Header=BB225_22 Depth=3
	s_and_not1_saveexec_b32 s44, s44
	s_cbranch_execz .LBB225_29
; %bb.26:                               ;   in Loop: Header=BB225_22 Depth=3
	v_mov_b32_e32 v19, s20
	s_mov_b32 s45, -1
	s_mov_b32 s46, exec_lo
	ds_cmpstore_rtn_b32 v19, v18, v14, v19
	s_waitcnt lgkmcnt(0)
	v_cmpx_eq_u32_e64 s20, v19
	s_cbranch_execz .LBB225_28
; %bb.27:                               ;   in Loop: Header=BB225_22 Depth=3
	v_lshl_add_u32 v18, v17, 2, v18
	s_xor_b32 s45, exec_lo, -1
	ds_add_f32 v18, v15 offset:4096
	ds_add_f32 v18, v16 offset:4100
.LBB225_28:                             ;   in Loop: Header=BB225_22 Depth=3
	s_or_b32 exec_lo, exec_lo, s46
	s_delay_alu instid0(SALU_CYCLE_1) | instskip(SKIP_1) | instid1(SALU_CYCLE_1)
	s_and_not1_b32 s43, s43, exec_lo
	s_and_b32 s45, s45, exec_lo
	s_or_b32 s43, s43, s45
.LBB225_29:                             ;   in Loop: Header=BB225_22 Depth=3
	s_or_b32 exec_lo, exec_lo, s44
	s_delay_alu instid0(SALU_CYCLE_1)
	s_and_b32 s43, s43, exec_lo
                                        ; implicit-def: $vgpr18
.LBB225_30:                             ;   in Loop: Header=BB225_22 Depth=3
	s_and_not1_saveexec_b32 s42, s42
	s_cbranch_execz .LBB225_21
; %bb.31:                               ;   in Loop: Header=BB225_22 Depth=3
	v_lshl_add_u32 v18, v17, 2, v18
	s_and_not1_b32 s43, s43, exec_lo
	ds_add_f32 v18, v15 offset:4096
	ds_add_f32 v18, v16 offset:4100
	s_branch .LBB225_21
.LBB225_32:
	s_or_b32 exec_lo, exec_lo, s15
.LBB225_33:
	s_delay_alu instid0(SALU_CYCLE_1)
	s_and_not1_b32 vcc_lo, exec_lo, s35
	s_cbranch_vccnz .LBB225_36
; %bb.34:
	s_waitcnt lgkmcnt(0)
	s_ashr_i32 s15, s14, 31
	s_mov_b32 s3, exec_lo
	s_lshl_b64 s[0:1], s[14:15], 3
	s_mov_b32 s15, 0
	s_add_u32 s0, s22, s0
	s_addc_u32 s1, s23, s1
	s_load_b128 s[16:19], s[0:1], 0x0
	v_sub_co_u32 v1, s0, v0, s39
	s_delay_alu instid0(VALU_DEP_1) | instskip(SKIP_1) | instid1(VALU_DEP_2)
	v_sub_co_ci_u32_e64 v2, null, 0, 0, s0
	s_waitcnt lgkmcnt(0)
	v_add_co_u32 v1, vcc_lo, s16, v1
	s_delay_alu instid0(VALU_DEP_2)
	v_add_co_ci_u32_e32 v2, vcc_lo, s17, v2, vcc_lo
	s_sub_u32 s0, s18, s39
	s_subb_u32 s1, s19, 0
	s_delay_alu instid0(VALU_DEP_1) | instid1(SALU_CYCLE_1)
	v_cmpx_gt_i64_e64 s[0:1], v[1:2]
	s_cbranch_execnz .LBB225_57
.LBB225_35:
	s_or_b32 exec_lo, exec_lo, s3
.LBB225_36:
	v_mbcnt_lo_u32_b32 v1, -1, 0
	v_lshrrev_b32_e32 v2, 4, v0
	v_cmp_eq_u32_e32 vcc_lo, 0x1ff, v0
	v_cmp_lt_u32_e64 s0, 63, v0
	v_cmp_lt_u32_e64 s1, 0x7f, v0
	v_xor_b32_e32 v1, 63, v1
	v_dual_mov_b32 v6, 0 :: v_dual_and_b32 v3, 28, v2
	v_cmp_lt_u32_e64 s2, 0xbf, v0
	v_cmp_lt_u32_e64 s3, 0xff, v0
	s_delay_alu instid0(VALU_DEP_4) | instskip(NEXT) | instid1(VALU_DEP_4)
	v_lshrrev_b64 v[1:2], v1, -1
	v_dual_mov_b32 v5, 0 :: v_dual_add_nc_u32 v4, 0, v3
	v_cmp_lt_u32_e64 s4, 0x13f, v0
	v_cmp_lt_u32_e64 s5, 0x17f, v0
	;; [unrolled: 1-line block ×3, first 2 shown]
	s_mov_b32 s15, 0
	s_waitcnt lgkmcnt(0)
	s_barrier
	buffer_gl0_inv
	s_branch .LBB225_38
.LBB225_37:                             ;   in Loop: Header=BB225_38 Depth=1
	s_or_b32 exec_lo, exec_lo, s7
	s_waitcnt lgkmcnt(0)
	s_barrier
	buffer_gl0_inv
	ds_load_b32 v2, v5 offset:12316
	v_add_co_u32 v8, s7, 0x200, v8
	s_delay_alu instid0(VALU_DEP_1) | instskip(SKIP_3) | instid1(SALU_CYCLE_1)
	s_xor_b32 s7, s7, -1
	v_add_nc_u32_e32 v9, 0x1000, v9
	v_add_nc_u32_e32 v7, 0x800, v7
	s_and_b32 s7, exec_lo, s7
	s_or_b32 s15, s7, s15
	s_waitcnt lgkmcnt(0)
	v_add_nc_u32_e32 v6, v2, v6
	s_and_not1_b32 exec_lo, exec_lo, s15
	s_cbranch_execz .LBB225_69
.LBB225_38:                             ; =>This Inner Loop Header: Depth=1
	ds_load_b32 v10, v7
	ds_load_2addr_b32 v[2:3], v9 offset1:1
	s_waitcnt lgkmcnt(0)
	s_barrier
	buffer_gl0_inv
	v_cmp_gt_i32_e64 s7, s20, v10
	s_delay_alu instid0(VALU_DEP_1) | instskip(NEXT) | instid1(SALU_CYCLE_1)
	s_bcnt1_i32_b32 s16, s7
	v_dual_mov_b32 v12, s16 :: v_dual_and_b32 v11, s7, v1
	s_delay_alu instid0(VALU_DEP_1)
	v_bcnt_u32_b32 v11, v11, 0
	ds_store_b32 v4, v12 offset:12288
	s_waitcnt lgkmcnt(0)
	s_barrier
	buffer_gl0_inv
	s_and_saveexec_b32 s16, s0
	s_cbranch_execnz .LBB225_47
; %bb.39:                               ;   in Loop: Header=BB225_38 Depth=1
	s_or_b32 exec_lo, exec_lo, s16
	s_and_saveexec_b32 s16, s1
	s_cbranch_execnz .LBB225_48
.LBB225_40:                             ;   in Loop: Header=BB225_38 Depth=1
	s_or_b32 exec_lo, exec_lo, s16
	s_and_saveexec_b32 s16, s2
	s_cbranch_execnz .LBB225_49
.LBB225_41:                             ;   in Loop: Header=BB225_38 Depth=1
	s_or_b32 exec_lo, exec_lo, s16
	s_and_saveexec_b32 s16, s3
	s_cbranch_execnz .LBB225_50
.LBB225_42:                             ;   in Loop: Header=BB225_38 Depth=1
	s_or_b32 exec_lo, exec_lo, s16
	s_and_saveexec_b32 s16, s4
	s_cbranch_execnz .LBB225_51
.LBB225_43:                             ;   in Loop: Header=BB225_38 Depth=1
	s_or_b32 exec_lo, exec_lo, s16
	s_and_saveexec_b32 s16, s5
	s_cbranch_execnz .LBB225_52
.LBB225_44:                             ;   in Loop: Header=BB225_38 Depth=1
	s_or_b32 exec_lo, exec_lo, s16
	s_and_saveexec_b32 s16, s6
	s_cbranch_execnz .LBB225_53
.LBB225_45:                             ;   in Loop: Header=BB225_38 Depth=1
	s_or_b32 exec_lo, exec_lo, s16
	s_and_saveexec_b32 s16, s7
	s_cbranch_execnz .LBB225_54
.LBB225_46:                             ;   in Loop: Header=BB225_38 Depth=1
	s_or_b32 exec_lo, exec_lo, s16
	s_and_saveexec_b32 s7, vcc_lo
	s_cbranch_execz .LBB225_37
	s_branch .LBB225_55
.LBB225_47:                             ;   in Loop: Header=BB225_38 Depth=1
	ds_load_b32 v12, v5 offset:12288
	s_waitcnt lgkmcnt(0)
	v_add_nc_u32_e32 v11, v12, v11
	s_or_b32 exec_lo, exec_lo, s16
	s_and_saveexec_b32 s16, s1
	s_cbranch_execz .LBB225_40
.LBB225_48:                             ;   in Loop: Header=BB225_38 Depth=1
	ds_load_b32 v12, v5 offset:12292
	s_waitcnt lgkmcnt(0)
	v_add_nc_u32_e32 v11, v12, v11
	s_or_b32 exec_lo, exec_lo, s16
	s_and_saveexec_b32 s16, s2
	s_cbranch_execz .LBB225_41
.LBB225_49:                             ;   in Loop: Header=BB225_38 Depth=1
	ds_load_b32 v12, v5 offset:12296
	s_waitcnt lgkmcnt(0)
	v_add_nc_u32_e32 v11, v12, v11
	s_or_b32 exec_lo, exec_lo, s16
	s_and_saveexec_b32 s16, s3
	s_cbranch_execz .LBB225_42
.LBB225_50:                             ;   in Loop: Header=BB225_38 Depth=1
	ds_load_b32 v12, v5 offset:12300
	s_waitcnt lgkmcnt(0)
	v_add_nc_u32_e32 v11, v12, v11
	s_or_b32 exec_lo, exec_lo, s16
	s_and_saveexec_b32 s16, s4
	s_cbranch_execz .LBB225_43
.LBB225_51:                             ;   in Loop: Header=BB225_38 Depth=1
	ds_load_b32 v12, v5 offset:12304
	s_waitcnt lgkmcnt(0)
	v_add_nc_u32_e32 v11, v12, v11
	s_or_b32 exec_lo, exec_lo, s16
	s_and_saveexec_b32 s16, s5
	s_cbranch_execz .LBB225_44
.LBB225_52:                             ;   in Loop: Header=BB225_38 Depth=1
	ds_load_b32 v12, v5 offset:12308
	s_waitcnt lgkmcnt(0)
	v_add_nc_u32_e32 v11, v12, v11
	s_or_b32 exec_lo, exec_lo, s16
	s_and_saveexec_b32 s16, s6
	s_cbranch_execz .LBB225_45
.LBB225_53:                             ;   in Loop: Header=BB225_38 Depth=1
	ds_load_b32 v12, v5 offset:12312
	s_waitcnt lgkmcnt(0)
	v_add_nc_u32_e32 v11, v12, v11
	s_or_b32 exec_lo, exec_lo, s16
	s_and_saveexec_b32 s16, s7
	s_cbranch_execz .LBB225_46
.LBB225_54:                             ;   in Loop: Header=BB225_38 Depth=1
	s_delay_alu instid0(VALU_DEP_1) | instskip(NEXT) | instid1(VALU_DEP_1)
	v_add3_u32 v12, v6, -1, v11
	v_lshlrev_b32_e32 v13, 3, v12
	v_lshl_add_u32 v12, v12, 2, 0
	s_delay_alu instid0(VALU_DEP_2)
	v_add3_u32 v13, 0, v13, 0x1000
	ds_store_b32 v12, v10
	ds_store_2addr_b32 v13, v2, v3 offset1:1
	s_or_b32 exec_lo, exec_lo, s16
	s_and_saveexec_b32 s7, vcc_lo
	s_cbranch_execz .LBB225_37
.LBB225_55:                             ;   in Loop: Header=BB225_38 Depth=1
	ds_store_b32 v5, v11 offset:12316
	s_branch .LBB225_37
.LBB225_56:                             ;   in Loop: Header=BB225_57 Depth=1
	s_or_b32 exec_lo, exec_lo, s16
	v_add_co_u32 v1, vcc_lo, 0x200, v1
	v_add_co_ci_u32_e32 v2, vcc_lo, 0, v2, vcc_lo
	s_delay_alu instid0(VALU_DEP_1) | instskip(SKIP_1) | instid1(SALU_CYCLE_1)
	v_cmp_le_i64_e32 vcc_lo, s[0:1], v[1:2]
	s_or_b32 s15, vcc_lo, s15
	s_and_not1_b32 exec_lo, exec_lo, s15
	s_cbranch_execz .LBB225_35
.LBB225_57:                             ; =>This Loop Header: Depth=1
                                        ;     Child Loop BB225_59 Depth 2
	v_lshlrev_b64 v[3:4], 2, v[1:2]
	v_lshlrev_b64 v[5:6], 3, v[1:2]
	s_mov_b32 s16, 0
	s_delay_alu instid0(VALU_DEP_2) | instskip(NEXT) | instid1(VALU_DEP_3)
	v_add_co_u32 v3, vcc_lo, s4, v3
	v_add_co_ci_u32_e32 v4, vcc_lo, s5, v4, vcc_lo
	global_load_b32 v12, v[3:4], off
	v_add_co_u32 v3, vcc_lo, s6, v5
	v_add_co_ci_u32_e32 v4, vcc_lo, s7, v6, vcc_lo
	global_load_b64 v[10:11], v[3:4], off
	s_waitcnt vmcnt(1)
	v_subrev_nc_u32_e32 v3, s39, v12
	s_delay_alu instid0(VALU_DEP_1) | instskip(SKIP_2) | instid1(VALU_DEP_1)
	v_mul_lo_u32 v6, 0x89, v3
	s_waitcnt vmcnt(0)
	v_mul_f32_e64 v4, v11, -s33
	v_dual_mul_f32 v5, s2, v11 :: v_dual_fmac_f32 v4, s2, v10
	s_delay_alu instid0(VALU_DEP_1) | instskip(NEXT) | instid1(VALU_DEP_4)
	v_fmac_f32_e32 v5, s33, v10
	v_and_b32_e32 v6, 0x3ff, v6
	s_branch .LBB225_59
.LBB225_58:                             ;   in Loop: Header=BB225_59 Depth=2
	s_or_b32 exec_lo, exec_lo, s17
	s_xor_b32 s17, s18, -1
	s_delay_alu instid0(SALU_CYCLE_1) | instskip(NEXT) | instid1(SALU_CYCLE_1)
	s_and_b32 s17, exec_lo, s17
	s_or_b32 s16, s17, s16
	s_delay_alu instid0(SALU_CYCLE_1)
	s_and_not1_b32 exec_lo, exec_lo, s16
	s_cbranch_execz .LBB225_56
.LBB225_59:                             ;   Parent Loop BB225_57 Depth=1
                                        ; =>  This Inner Loop Header: Depth=2
	s_delay_alu instid0(VALU_DEP_1)
	v_lshl_add_u32 v10, v6, 2, 0
	s_mov_b32 s17, exec_lo
                                        ; implicit-def: $sgpr18
	ds_load_b32 v11, v10
	s_waitcnt lgkmcnt(0)
	v_cmpx_ne_u32_e64 v11, v3
	s_xor_b32 s17, exec_lo, s17
	s_cbranch_execz .LBB225_67
; %bb.60:                               ;   in Loop: Header=BB225_59 Depth=2
	s_mov_b32 s19, exec_lo
                                        ; implicit-def: $sgpr18
	v_cmpx_ne_u32_e64 s20, v11
	s_xor_b32 s19, exec_lo, s19
; %bb.61:                               ;   in Loop: Header=BB225_59 Depth=2
	v_add_nc_u32_e32 v6, 1, v6
	s_mov_b32 s18, -1
                                        ; implicit-def: $vgpr10
	s_delay_alu instid0(VALU_DEP_1)
	v_and_b32_e32 v6, 0x3ff, v6
; %bb.62:                               ;   in Loop: Header=BB225_59 Depth=2
	s_and_not1_saveexec_b32 s19, s19
	s_cbranch_execz .LBB225_66
; %bb.63:                               ;   in Loop: Header=BB225_59 Depth=2
	v_mov_b32_e32 v11, s20
	s_mov_b32 s21, -1
	s_mov_b32 s22, exec_lo
	ds_cmpstore_rtn_b32 v11, v10, v3, v11
	s_waitcnt lgkmcnt(0)
	v_cmpx_eq_u32_e64 s20, v11
	s_cbranch_execz .LBB225_65
; %bb.64:                               ;   in Loop: Header=BB225_59 Depth=2
	v_lshl_add_u32 v10, v6, 2, v10
	s_xor_b32 s21, exec_lo, -1
	ds_add_f32 v10, v4 offset:4096
	ds_add_f32 v10, v5 offset:4100
.LBB225_65:                             ;   in Loop: Header=BB225_59 Depth=2
	s_or_b32 exec_lo, exec_lo, s22
	s_delay_alu instid0(SALU_CYCLE_1) | instskip(SKIP_1) | instid1(SALU_CYCLE_1)
	s_and_not1_b32 s18, s18, exec_lo
	s_and_b32 s21, s21, exec_lo
	s_or_b32 s18, s18, s21
.LBB225_66:                             ;   in Loop: Header=BB225_59 Depth=2
	s_or_b32 exec_lo, exec_lo, s19
	s_delay_alu instid0(SALU_CYCLE_1)
	s_and_b32 s18, s18, exec_lo
                                        ; implicit-def: $vgpr10
.LBB225_67:                             ;   in Loop: Header=BB225_59 Depth=2
	s_and_not1_saveexec_b32 s17, s17
	s_cbranch_execz .LBB225_58
; %bb.68:                               ;   in Loop: Header=BB225_59 Depth=2
	v_lshl_add_u32 v10, v6, 2, v10
	s_and_not1_b32 s18, s18, exec_lo
	ds_add_f32 v10, v4 offset:4096
	ds_add_f32 v10, v5 offset:4100
	s_branch .LBB225_58
.LBB225_69:
	s_or_b32 exec_lo, exec_lo, s15
	s_ashr_i32 s15, s14, 31
	s_mov_b32 s4, exec_lo
	s_lshl_b64 s[0:1], s[14:15], 3
	s_delay_alu instid0(SALU_CYCLE_1) | instskip(SKIP_4) | instid1(SALU_CYCLE_1)
	s_add_u32 s0, s8, s0
	s_addc_u32 s1, s9, s1
	s_load_b128 s[0:3], s[0:1], 0x0
	s_waitcnt lgkmcnt(0)
	s_sub_i32 s3, s2, s0
	v_cmpx_gt_i32_e64 s3, v0
	s_cbranch_execz .LBB225_79
; %bb.70:
	s_sub_u32 s4, s0, s38
	s_subb_u32 s5, s1, 0
	s_sub_i32 s0, s0, s2
	s_and_b32 s1, s3, 7
	s_cmp_lt_u32 s0, -7
	s_mov_b32 s8, 0
	s_cselect_b32 s2, -1, 0
	s_and_b32 s6, s3, -8
	s_cmp_lg_u32 s1, 0
	s_cselect_b32 s7, -1, 0
	s_branch .LBB225_72
.LBB225_71:                             ;   in Loop: Header=BB225_72 Depth=1
	s_delay_alu instid0(VALU_DEP_1) | instskip(SKIP_4) | instid1(VALU_DEP_4)
	v_lshlrev_b64 v[6:7], 2, v[3:4]
	v_lshlrev_b64 v[3:4], 3, v[3:4]
	v_add_nc_u32_e32 v0, 0x200, v0
	s_waitcnt lgkmcnt(1)
	v_add_nc_u32_e32 v8, s38, v5
	v_add_co_u32 v5, vcc_lo, s10, v6
	v_add_co_ci_u32_e32 v6, vcc_lo, s11, v7, vcc_lo
	v_cmp_le_i32_e32 vcc_lo, s3, v0
	v_add_co_u32 v3, s0, s12, v3
	s_delay_alu instid0(VALU_DEP_1)
	v_add_co_ci_u32_e64 v4, s0, s13, v4, s0
	s_or_b32 s8, vcc_lo, s8
	global_store_b32 v[5:6], v8, off
	s_waitcnt lgkmcnt(0)
	global_store_b64 v[3:4], v[1:2], off
	s_and_not1_b32 exec_lo, exec_lo, s8
	s_cbranch_execz .LBB225_79
.LBB225_72:                             ; =>This Loop Header: Depth=1
                                        ;     Child Loop BB225_74 Depth 2
                                        ;     Child Loop BB225_78 Depth 2
	v_lshlrev_b32_e32 v1, 2, v0
	v_dual_mov_b32 v3, s4 :: v_dual_mov_b32 v4, s5
	s_and_not1_b32 vcc_lo, exec_lo, s2
	s_mov_b32 s0, 0
	s_delay_alu instid0(VALU_DEP_2) | instskip(NEXT) | instid1(VALU_DEP_1)
	v_add_nc_u32_e32 v2, 0, v1
	v_add3_u32 v1, v2, v1, 0x1000
	ds_load_b32 v5, v2
	ds_load_2addr_b32 v[1:2], v1 offset1:1
	s_cbranch_vccnz .LBB225_76
; %bb.73:                               ;   in Loop: Header=BB225_72 Depth=1
	v_dual_mov_b32 v3, s4 :: v_dual_mov_b32 v4, s5
	s_mov_b32 s9, 0
	s_mov_b32 s14, 0
.LBB225_74:                             ;   Parent Loop BB225_72 Depth=1
                                        ; =>  This Inner Loop Header: Depth=2
	s_delay_alu instid0(SALU_CYCLE_1)
	v_mov_b32_e32 v12, s14
	s_add_i32 s9, s9, 8
	s_add_i32 s14, s14, 32
	s_cmp_eq_u32 s6, s9
	ds_load_2addr_b32 v[6:7], v12 offset1:1
	ds_load_2addr_b32 v[8:9], v12 offset0:2 offset1:3
	ds_load_2addr_b32 v[10:11], v12 offset0:4 offset1:5
	ds_load_2addr_b32 v[12:13], v12 offset0:6 offset1:7
	s_waitcnt lgkmcnt(3)
	v_cmp_gt_i32_e32 vcc_lo, v5, v6
	v_cndmask_b32_e64 v6, 0, 1, vcc_lo
	v_cmp_gt_i32_e32 vcc_lo, v5, v7
	v_cndmask_b32_e64 v7, 0, 1, vcc_lo
	s_waitcnt lgkmcnt(2)
	v_cmp_gt_i32_e32 vcc_lo, v5, v8
	v_cndmask_b32_e64 v8, 0, 1, vcc_lo
	v_cmp_gt_i32_e32 vcc_lo, v5, v9
	v_cndmask_b32_e64 v9, 0, 1, vcc_lo
	s_waitcnt lgkmcnt(1)
	v_cmp_gt_i32_e32 vcc_lo, v5, v10
	v_cndmask_b32_e64 v10, 0, 1, vcc_lo
	v_add_co_u32 v3, vcc_lo, v3, v6
	v_add_co_ci_u32_e32 v4, vcc_lo, 0, v4, vcc_lo
	v_cmp_gt_i32_e32 vcc_lo, v5, v11
	s_delay_alu instid0(VALU_DEP_3) | instskip(NEXT) | instid1(VALU_DEP_1)
	v_add_co_u32 v3, s0, v3, v7
	v_add_co_ci_u32_e64 v4, s0, 0, v4, s0
	v_cndmask_b32_e64 v6, 0, 1, vcc_lo
	s_delay_alu instid0(VALU_DEP_3) | instskip(NEXT) | instid1(VALU_DEP_3)
	v_add_co_u32 v3, vcc_lo, v3, v8
	v_add_co_ci_u32_e32 v4, vcc_lo, 0, v4, vcc_lo
	s_waitcnt lgkmcnt(0)
	v_cmp_gt_i32_e32 vcc_lo, v5, v12
	s_delay_alu instid0(VALU_DEP_3) | instskip(NEXT) | instid1(VALU_DEP_1)
	v_add_co_u32 v3, s0, v3, v9
	v_add_co_ci_u32_e64 v4, s0, 0, v4, s0
	v_cndmask_b32_e64 v7, 0, 1, vcc_lo
	s_delay_alu instid0(VALU_DEP_3) | instskip(NEXT) | instid1(VALU_DEP_3)
	v_add_co_u32 v3, vcc_lo, v3, v10
	v_add_co_ci_u32_e32 v4, vcc_lo, 0, v4, vcc_lo
	v_cmp_gt_i32_e32 vcc_lo, v5, v13
	s_delay_alu instid0(VALU_DEP_3) | instskip(NEXT) | instid1(VALU_DEP_1)
	v_add_co_u32 v3, s0, v3, v6
	v_add_co_ci_u32_e64 v4, s0, 0, v4, s0
	v_cndmask_b32_e64 v6, 0, 1, vcc_lo
	s_delay_alu instid0(VALU_DEP_3) | instskip(NEXT) | instid1(VALU_DEP_3)
	v_add_co_u32 v3, vcc_lo, v3, v7
	v_add_co_ci_u32_e32 v4, vcc_lo, 0, v4, vcc_lo
	s_delay_alu instid0(VALU_DEP_2) | instskip(NEXT) | instid1(VALU_DEP_2)
	v_add_co_u32 v3, vcc_lo, v3, v6
	v_add_co_ci_u32_e32 v4, vcc_lo, 0, v4, vcc_lo
	s_cbranch_scc0 .LBB225_74
; %bb.75:                               ;   in Loop: Header=BB225_72 Depth=1
	s_mov_b32 s0, s6
.LBB225_76:                             ;   in Loop: Header=BB225_72 Depth=1
	s_and_not1_b32 vcc_lo, exec_lo, s7
	s_cbranch_vccnz .LBB225_71
; %bb.77:                               ;   in Loop: Header=BB225_72 Depth=1
	s_lshl_b32 s0, s0, 2
	s_mov_b32 s9, s1
	s_add_i32 s0, s0, 0
.LBB225_78:                             ;   Parent Loop BB225_72 Depth=1
                                        ; =>  This Inner Loop Header: Depth=2
	s_delay_alu instid0(SALU_CYCLE_1)
	v_mov_b32_e32 v6, s0
	s_add_i32 s9, s9, -1
	s_add_i32 s0, s0, 4
	s_cmp_lg_u32 s9, 0
	ds_load_b32 v6, v6
	s_waitcnt lgkmcnt(0)
	v_cmp_gt_i32_e32 vcc_lo, v5, v6
	v_cndmask_b32_e64 v6, 0, 1, vcc_lo
	s_delay_alu instid0(VALU_DEP_1)
	v_add_co_u32 v3, vcc_lo, v3, v6
	v_add_co_ci_u32_e32 v4, vcc_lo, 0, v4, vcc_lo
	s_cbranch_scc1 .LBB225_78
	s_branch .LBB225_71
.LBB225_79:
	s_nop 0
	s_sendmsg sendmsg(MSG_DEALLOC_VGPRS)
	s_endpgm
	.section	.rodata,"a",@progbits
	.p2align	6, 0x0
	.amdhsa_kernel _ZN9rocsparseL26csrgemm_fill_block_per_rowILj512ELj32ELj1024ELj137ELj64Eli21rocsparse_complex_numIfEEEvT5_PKS3_S5_NS_24const_host_device_scalarIT6_EEPKT4_S5_PKS7_SB_S5_SD_S8_SB_S5_SD_SB_PS3_PS7_21rocsparse_index_base_SG_SG_SG_bbb
		.amdhsa_group_segment_fixed_size 0
		.amdhsa_private_segment_fixed_size 0
		.amdhsa_kernarg_size 156
		.amdhsa_user_sgpr_count 15
		.amdhsa_user_sgpr_dispatch_ptr 0
		.amdhsa_user_sgpr_queue_ptr 0
		.amdhsa_user_sgpr_kernarg_segment_ptr 1
		.amdhsa_user_sgpr_dispatch_id 0
		.amdhsa_user_sgpr_private_segment_size 0
		.amdhsa_wavefront_size32 1
		.amdhsa_uses_dynamic_stack 0
		.amdhsa_enable_private_segment 0
		.amdhsa_system_sgpr_workgroup_id_x 1
		.amdhsa_system_sgpr_workgroup_id_y 0
		.amdhsa_system_sgpr_workgroup_id_z 0
		.amdhsa_system_sgpr_workgroup_info 0
		.amdhsa_system_vgpr_workitem_id 0
		.amdhsa_next_free_vgpr 20
		.amdhsa_next_free_sgpr 47
		.amdhsa_reserve_vcc 1
		.amdhsa_float_round_mode_32 0
		.amdhsa_float_round_mode_16_64 0
		.amdhsa_float_denorm_mode_32 3
		.amdhsa_float_denorm_mode_16_64 3
		.amdhsa_dx10_clamp 1
		.amdhsa_ieee_mode 1
		.amdhsa_fp16_overflow 0
		.amdhsa_workgroup_processor_mode 1
		.amdhsa_memory_ordered 1
		.amdhsa_forward_progress 0
		.amdhsa_shared_vgpr_count 0
		.amdhsa_exception_fp_ieee_invalid_op 0
		.amdhsa_exception_fp_denorm_src 0
		.amdhsa_exception_fp_ieee_div_zero 0
		.amdhsa_exception_fp_ieee_overflow 0
		.amdhsa_exception_fp_ieee_underflow 0
		.amdhsa_exception_fp_ieee_inexact 0
		.amdhsa_exception_int_div_zero 0
	.end_amdhsa_kernel
	.section	.text._ZN9rocsparseL26csrgemm_fill_block_per_rowILj512ELj32ELj1024ELj137ELj64Eli21rocsparse_complex_numIfEEEvT5_PKS3_S5_NS_24const_host_device_scalarIT6_EEPKT4_S5_PKS7_SB_S5_SD_S8_SB_S5_SD_SB_PS3_PS7_21rocsparse_index_base_SG_SG_SG_bbb,"axG",@progbits,_ZN9rocsparseL26csrgemm_fill_block_per_rowILj512ELj32ELj1024ELj137ELj64Eli21rocsparse_complex_numIfEEEvT5_PKS3_S5_NS_24const_host_device_scalarIT6_EEPKT4_S5_PKS7_SB_S5_SD_S8_SB_S5_SD_SB_PS3_PS7_21rocsparse_index_base_SG_SG_SG_bbb,comdat
.Lfunc_end225:
	.size	_ZN9rocsparseL26csrgemm_fill_block_per_rowILj512ELj32ELj1024ELj137ELj64Eli21rocsparse_complex_numIfEEEvT5_PKS3_S5_NS_24const_host_device_scalarIT6_EEPKT4_S5_PKS7_SB_S5_SD_S8_SB_S5_SD_SB_PS3_PS7_21rocsparse_index_base_SG_SG_SG_bbb, .Lfunc_end225-_ZN9rocsparseL26csrgemm_fill_block_per_rowILj512ELj32ELj1024ELj137ELj64Eli21rocsparse_complex_numIfEEEvT5_PKS3_S5_NS_24const_host_device_scalarIT6_EEPKT4_S5_PKS7_SB_S5_SD_S8_SB_S5_SD_SB_PS3_PS7_21rocsparse_index_base_SG_SG_SG_bbb
                                        ; -- End function
	.section	.AMDGPU.csdata,"",@progbits
; Kernel info:
; codeLenInByte = 3204
; NumSgprs: 49
; NumVgprs: 20
; ScratchSize: 0
; MemoryBound: 0
; FloatMode: 240
; IeeeMode: 1
; LDSByteSize: 0 bytes/workgroup (compile time only)
; SGPRBlocks: 6
; VGPRBlocks: 2
; NumSGPRsForWavesPerEU: 49
; NumVGPRsForWavesPerEU: 20
; Occupancy: 16
; WaveLimiterHint : 1
; COMPUTE_PGM_RSRC2:SCRATCH_EN: 0
; COMPUTE_PGM_RSRC2:USER_SGPR: 15
; COMPUTE_PGM_RSRC2:TRAP_HANDLER: 0
; COMPUTE_PGM_RSRC2:TGID_X_EN: 1
; COMPUTE_PGM_RSRC2:TGID_Y_EN: 0
; COMPUTE_PGM_RSRC2:TGID_Z_EN: 0
; COMPUTE_PGM_RSRC2:TIDIG_COMP_CNT: 0
	.section	.text._ZN9rocsparseL26csrgemm_fill_block_per_rowILj1024ELj32ELj2048ELj137ELj32Eli21rocsparse_complex_numIfEEEvT5_PKS3_S5_NS_24const_host_device_scalarIT6_EEPKT4_S5_PKS7_SB_S5_SD_S8_SB_S5_SD_SB_PS3_PS7_21rocsparse_index_base_SG_SG_SG_bbb,"axG",@progbits,_ZN9rocsparseL26csrgemm_fill_block_per_rowILj1024ELj32ELj2048ELj137ELj32Eli21rocsparse_complex_numIfEEEvT5_PKS3_S5_NS_24const_host_device_scalarIT6_EEPKT4_S5_PKS7_SB_S5_SD_S8_SB_S5_SD_SB_PS3_PS7_21rocsparse_index_base_SG_SG_SG_bbb,comdat
	.globl	_ZN9rocsparseL26csrgemm_fill_block_per_rowILj1024ELj32ELj2048ELj137ELj32Eli21rocsparse_complex_numIfEEEvT5_PKS3_S5_NS_24const_host_device_scalarIT6_EEPKT4_S5_PKS7_SB_S5_SD_S8_SB_S5_SD_SB_PS3_PS7_21rocsparse_index_base_SG_SG_SG_bbb ; -- Begin function _ZN9rocsparseL26csrgemm_fill_block_per_rowILj1024ELj32ELj2048ELj137ELj32Eli21rocsparse_complex_numIfEEEvT5_PKS3_S5_NS_24const_host_device_scalarIT6_EEPKT4_S5_PKS7_SB_S5_SD_S8_SB_S5_SD_SB_PS3_PS7_21rocsparse_index_base_SG_SG_SG_bbb
	.p2align	8
	.type	_ZN9rocsparseL26csrgemm_fill_block_per_rowILj1024ELj32ELj2048ELj137ELj32Eli21rocsparse_complex_numIfEEEvT5_PKS3_S5_NS_24const_host_device_scalarIT6_EEPKT4_S5_PKS7_SB_S5_SD_S8_SB_S5_SD_SB_PS3_PS7_21rocsparse_index_base_SG_SG_SG_bbb,@function
_ZN9rocsparseL26csrgemm_fill_block_per_rowILj1024ELj32ELj2048ELj137ELj32Eli21rocsparse_complex_numIfEEEvT5_PKS3_S5_NS_24const_host_device_scalarIT6_EEPKT4_S5_PKS7_SB_S5_SD_S8_SB_S5_SD_SB_PS3_PS7_21rocsparse_index_base_SG_SG_SG_bbb: ; @_ZN9rocsparseL26csrgemm_fill_block_per_rowILj1024ELj32ELj2048ELj137ELj32Eli21rocsparse_complex_numIfEEEvT5_PKS3_S5_NS_24const_host_device_scalarIT6_EEPKT4_S5_PKS7_SB_S5_SD_S8_SB_S5_SD_SB_PS3_PS7_21rocsparse_index_base_SG_SG_SG_bbb
; %bb.0:
	s_clause 0x6
	s_load_b32 s12, s[0:1], 0x98
	s_load_b256 s[36:43], s[0:1], 0x60
	s_load_b256 s[4:11], s[0:1], 0x40
	s_load_b128 s[24:27], s[0:1], 0x8
	s_load_b256 s[16:23], s[0:1], 0x20
	s_load_b64 s[34:35], s[0:1], 0x80
	s_load_b128 s[44:47], s[0:1], 0x88
	s_mov_b32 s3, 0
	s_mov_b32 s13, 0
	s_waitcnt lgkmcnt(0)
	s_bitcmp1_b32 s12, 0
	s_cselect_b32 s28, -1, 0
	s_bitcmp1_b32 s12, 16
	s_cselect_b32 s2, -1, 0
	s_delay_alu instid0(SALU_CYCLE_1) | instskip(SKIP_2) | instid1(VALU_DEP_1)
	s_xor_b32 s14, s2, -1
	s_bitcmp0_b32 s12, 0
	v_cndmask_b32_e64 v1, 0, 1, s14
	v_cmp_ne_u32_e32 vcc_lo, 1, v1
	s_cbranch_scc1 .LBB226_5
; %bb.1:
	s_load_b64 s[2:3], s[0:1], 0x18
	s_and_b32 vcc_lo, exec_lo, vcc_lo
	s_waitcnt lgkmcnt(0)
	s_mov_b32 s13, s2
	s_cbranch_vccnz .LBB226_3
; %bb.2:
	s_load_b32 s13, s[2:3], 0x0
.LBB226_3:
	s_and_not1_b32 vcc_lo, exec_lo, s14
	s_cbranch_vccnz .LBB226_5
; %bb.4:
	s_load_b32 s3, s[2:3], 0x4
.LBB226_5:
	s_bitcmp1_b32 s12, 8
	s_cselect_b32 s14, -1, 0
	s_bfe_u32 s2, s12, 0x10008
	s_mov_b32 s12, 0
	s_cmp_eq_u32 s2, 0
	s_mov_b32 s2, 0
	s_cbranch_scc1 .LBB226_11
; %bb.6:
	v_cmp_ne_u32_e32 vcc_lo, 1, v1
	s_mov_b32 s2, s8
	s_cbranch_vccnz .LBB226_8
; %bb.7:
	s_load_b32 s2, s[8:9], 0x0
.LBB226_8:
	v_cmp_ne_u32_e32 vcc_lo, 1, v1
	s_cbranch_vccnz .LBB226_10
; %bb.9:
	s_load_b32 s9, s[8:9], 0x4
.LBB226_10:
	s_waitcnt lgkmcnt(0)
	s_mov_b32 s12, s9
.LBB226_11:
	s_load_b32 s33, s[0:1], 0x0
	v_lshl_add_u32 v7, v0, 2, 0
	v_lshlrev_b32_e32 v1, 3, v0
	v_or_b32_e32 v8, 0xfffffc00, v0
	s_mov_b32 s0, 0
	s_delay_alu instid0(VALU_DEP_3) | instskip(NEXT) | instid1(VALU_DEP_3)
	v_mov_b32_e32 v2, v7
	v_add3_u32 v9, v1, 0, 0x2000
	v_mov_b32_e32 v1, 0
	v_mov_b32_e32 v3, v8
	s_waitcnt lgkmcnt(0)
	s_delay_alu instid0(VALU_DEP_3)
	v_dual_mov_b32 v5, v9 :: v_dual_mov_b32 v4, s33
.LBB226_12:                             ; =>This Inner Loop Header: Depth=1
	s_delay_alu instid0(VALU_DEP_2) | instskip(NEXT) | instid1(VALU_DEP_1)
	v_add_co_u32 v3, s1, 0x400, v3
	s_xor_b32 s1, s1, -1
	ds_store_b32 v2, v4
	ds_store_2addr_b32 v5, v1, v1 offset1:1
	v_add_nc_u32_e32 v5, 0x2000, v5
	v_add_nc_u32_e32 v2, 0x1000, v2
	s_and_b32 s1, exec_lo, s1
	s_delay_alu instid0(SALU_CYCLE_1) | instskip(NEXT) | instid1(SALU_CYCLE_1)
	s_or_b32 s0, s1, s0
	s_and_not1_b32 exec_lo, exec_lo, s0
	s_cbranch_execnz .LBB226_12
; %bb.13:
	s_or_b32 exec_lo, exec_lo, s0
	s_waitcnt lgkmcnt(0)
	s_barrier
	buffer_gl0_inv
	s_load_b32 s0, s[24:25], 0x0
	s_mov_b32 s1, 0
	v_lshrrev_b32_e32 v10, 5, v0
	s_waitcnt lgkmcnt(0)
	s_add_i32 s0, s0, s15
	s_delay_alu instid0(SALU_CYCLE_1) | instskip(NEXT) | instid1(SALU_CYCLE_1)
	s_lshl_b64 s[0:1], s[0:1], 2
	s_add_u32 s0, s26, s0
	s_addc_u32 s1, s27, s1
	s_and_b32 vcc_lo, exec_lo, s28
	s_load_b32 s48, s[0:1], 0x0
	s_cbranch_vccz .LBB226_33
; %bb.14:
	s_waitcnt lgkmcnt(0)
	s_ashr_i32 s49, s48, 31
	s_mov_b32 s8, exec_lo
	s_lshl_b64 s[0:1], s[48:49], 3
	s_delay_alu instid0(SALU_CYCLE_1) | instskip(SKIP_3) | instid1(VALU_DEP_1)
	s_add_u32 s0, s16, s0
	s_addc_u32 s1, s17, s1
	s_load_b128 s[24:27], s[0:1], 0x0
	v_sub_co_u32 v1, s0, v10, s44
	v_sub_co_ci_u32_e64 v2, null, 0, 0, s0
	s_waitcnt lgkmcnt(0)
	s_delay_alu instid0(VALU_DEP_2) | instskip(NEXT) | instid1(VALU_DEP_2)
	v_add_co_u32 v1, vcc_lo, s24, v1
	v_add_co_ci_u32_e32 v2, vcc_lo, s25, v2, vcc_lo
	s_sub_u32 s0, s26, s44
	s_subb_u32 s1, s27, 0
	s_delay_alu instid0(VALU_DEP_1) | instid1(SALU_CYCLE_1)
	v_cmpx_gt_i64_e64 s[0:1], v[1:2]
	s_cbranch_execz .LBB226_32
; %bb.15:
	v_and_b32_e32 v3, 31, v0
	s_mov_b32 s15, s45
	s_delay_alu instid0(VALU_DEP_1) | instskip(NEXT) | instid1(VALU_DEP_1)
	v_sub_co_u32 v11, s9, v3, s45
	v_sub_co_ci_u32_e64 v12, null, 0, 0, s9
	s_mov_b32 s9, 0
	s_branch .LBB226_17
.LBB226_16:                             ;   in Loop: Header=BB226_17 Depth=1
	s_or_b32 exec_lo, exec_lo, s16
	v_add_co_u32 v1, vcc_lo, v1, 32
	v_add_co_ci_u32_e32 v2, vcc_lo, 0, v2, vcc_lo
	s_delay_alu instid0(VALU_DEP_1) | instskip(SKIP_1) | instid1(SALU_CYCLE_1)
	v_cmp_le_i64_e32 vcc_lo, s[0:1], v[1:2]
	s_or_b32 s9, vcc_lo, s9
	s_and_not1_b32 exec_lo, exec_lo, s9
	s_cbranch_execz .LBB226_32
.LBB226_17:                             ; =>This Loop Header: Depth=1
                                        ;     Child Loop BB226_20 Depth 2
                                        ;       Child Loop BB226_22 Depth 3
	v_lshlrev_b64 v[3:4], 2, v[1:2]
	s_mov_b32 s16, exec_lo
	s_delay_alu instid0(VALU_DEP_1) | instskip(NEXT) | instid1(VALU_DEP_2)
	v_add_co_u32 v3, vcc_lo, s18, v3
	v_add_co_ci_u32_e32 v4, vcc_lo, s19, v4, vcc_lo
	global_load_b32 v3, v[3:4], off
	s_waitcnt vmcnt(0)
	v_subrev_nc_u32_e32 v3, s44, v3
	s_delay_alu instid0(VALU_DEP_1) | instskip(NEXT) | instid1(VALU_DEP_1)
	v_ashrrev_i32_e32 v4, 31, v3
	v_lshlrev_b64 v[3:4], 3, v[3:4]
	s_delay_alu instid0(VALU_DEP_1) | instskip(NEXT) | instid1(VALU_DEP_2)
	v_add_co_u32 v3, vcc_lo, s22, v3
	v_add_co_ci_u32_e32 v4, vcc_lo, s23, v4, vcc_lo
	global_load_b128 v[13:16], v[3:4], off
	s_waitcnt vmcnt(0)
	v_sub_co_u32 v3, vcc_lo, v15, s15
	v_subrev_co_ci_u32_e32 v4, vcc_lo, 0, v16, vcc_lo
	v_add_co_u32 v5, vcc_lo, v13, v11
	v_add_co_ci_u32_e32 v6, vcc_lo, v14, v12, vcc_lo
	s_delay_alu instid0(VALU_DEP_1)
	v_cmpx_lt_i64_e64 v[5:6], v[3:4]
	s_cbranch_execz .LBB226_16
; %bb.18:                               ;   in Loop: Header=BB226_17 Depth=1
	v_lshlrev_b64 v[13:14], 3, v[1:2]
	s_mov_b32 s17, 0
	s_delay_alu instid0(VALU_DEP_1) | instskip(NEXT) | instid1(VALU_DEP_2)
	v_add_co_u32 v13, vcc_lo, s20, v13
	v_add_co_ci_u32_e32 v14, vcc_lo, s21, v14, vcc_lo
	global_load_b64 v[15:16], v[13:14], off
	s_waitcnt vmcnt(0)
	v_mul_f32_e64 v13, v16, -s3
	s_delay_alu instid0(VALU_DEP_1) | instskip(NEXT) | instid1(VALU_DEP_1)
	v_dual_mul_f32 v14, s13, v16 :: v_dual_fmac_f32 v13, s13, v15
	v_fmac_f32_e32 v14, s3, v15
	s_branch .LBB226_20
.LBB226_19:                             ;   in Loop: Header=BB226_20 Depth=2
	s_or_b32 exec_lo, exec_lo, s24
	v_add_co_u32 v5, vcc_lo, v5, 32
	v_add_co_ci_u32_e32 v6, vcc_lo, 0, v6, vcc_lo
	s_delay_alu instid0(VALU_DEP_1) | instskip(SKIP_1) | instid1(SALU_CYCLE_1)
	v_cmp_ge_i64_e32 vcc_lo, v[5:6], v[3:4]
	s_or_b32 s17, vcc_lo, s17
	s_and_not1_b32 exec_lo, exec_lo, s17
	s_cbranch_execz .LBB226_16
.LBB226_20:                             ;   Parent Loop BB226_17 Depth=1
                                        ; =>  This Loop Header: Depth=2
                                        ;       Child Loop BB226_22 Depth 3
	v_lshlrev_b64 v[15:16], 2, v[5:6]
	v_lshlrev_b64 v[17:18], 3, v[5:6]
	s_mov_b32 s24, 0
	s_delay_alu instid0(VALU_DEP_2) | instskip(NEXT) | instid1(VALU_DEP_3)
	v_add_co_u32 v15, vcc_lo, s4, v15
	v_add_co_ci_u32_e32 v16, vcc_lo, s5, v16, vcc_lo
	global_load_b32 v20, v[15:16], off
	v_add_co_u32 v15, vcc_lo, s6, v17
	v_add_co_ci_u32_e32 v16, vcc_lo, s7, v18, vcc_lo
	global_load_b64 v[18:19], v[15:16], off
	s_waitcnt vmcnt(1)
	v_subrev_nc_u32_e32 v15, s45, v20
	s_delay_alu instid0(VALU_DEP_1) | instskip(SKIP_3) | instid1(VALU_DEP_2)
	v_mul_lo_u32 v20, 0x89, v15
	s_waitcnt vmcnt(0)
	v_mul_f32_e64 v16, v19, -v14
	v_mul_f32_e32 v17, v13, v19
	v_fmac_f32_e32 v16, v13, v18
	s_delay_alu instid0(VALU_DEP_2)
	v_dual_fmac_f32 v17, v14, v18 :: v_dual_and_b32 v18, 0x7ff, v20
	s_branch .LBB226_22
.LBB226_21:                             ;   in Loop: Header=BB226_22 Depth=3
	s_or_b32 exec_lo, exec_lo, s25
	s_xor_b32 s25, s26, -1
	s_delay_alu instid0(SALU_CYCLE_1) | instskip(NEXT) | instid1(SALU_CYCLE_1)
	s_and_b32 s25, exec_lo, s25
	s_or_b32 s24, s25, s24
	s_delay_alu instid0(SALU_CYCLE_1)
	s_and_not1_b32 exec_lo, exec_lo, s24
	s_cbranch_execz .LBB226_19
.LBB226_22:                             ;   Parent Loop BB226_17 Depth=1
                                        ;     Parent Loop BB226_20 Depth=2
                                        ; =>    This Inner Loop Header: Depth=3
	s_delay_alu instid0(VALU_DEP_1)
	v_lshl_add_u32 v19, v18, 2, 0
	s_mov_b32 s25, exec_lo
                                        ; implicit-def: $sgpr26
	ds_load_b32 v20, v19
	s_waitcnt lgkmcnt(0)
	v_cmpx_ne_u32_e64 v20, v15
	s_xor_b32 s25, exec_lo, s25
	s_cbranch_execz .LBB226_30
; %bb.23:                               ;   in Loop: Header=BB226_22 Depth=3
	s_mov_b32 s27, exec_lo
                                        ; implicit-def: $sgpr26
	v_cmpx_ne_u32_e64 s33, v20
	s_xor_b32 s27, exec_lo, s27
; %bb.24:                               ;   in Loop: Header=BB226_22 Depth=3
	v_add_nc_u32_e32 v18, 1, v18
	s_mov_b32 s26, -1
                                        ; implicit-def: $vgpr19
	s_delay_alu instid0(VALU_DEP_1)
	v_and_b32_e32 v18, 0x7ff, v18
; %bb.25:                               ;   in Loop: Header=BB226_22 Depth=3
	s_and_not1_saveexec_b32 s27, s27
	s_cbranch_execz .LBB226_29
; %bb.26:                               ;   in Loop: Header=BB226_22 Depth=3
	v_mov_b32_e32 v20, s33
	s_mov_b32 s28, -1
	s_mov_b32 s29, exec_lo
	ds_cmpstore_rtn_b32 v20, v19, v15, v20
	s_waitcnt lgkmcnt(0)
	v_cmpx_eq_u32_e64 s33, v20
	s_cbranch_execz .LBB226_28
; %bb.27:                               ;   in Loop: Header=BB226_22 Depth=3
	v_lshl_add_u32 v19, v18, 2, v19
	s_xor_b32 s28, exec_lo, -1
	ds_add_f32 v19, v16 offset:8192
	ds_add_f32 v19, v17 offset:8196
.LBB226_28:                             ;   in Loop: Header=BB226_22 Depth=3
	s_or_b32 exec_lo, exec_lo, s29
	s_delay_alu instid0(SALU_CYCLE_1) | instskip(SKIP_1) | instid1(SALU_CYCLE_1)
	s_and_not1_b32 s26, s26, exec_lo
	s_and_b32 s28, s28, exec_lo
	s_or_b32 s26, s26, s28
.LBB226_29:                             ;   in Loop: Header=BB226_22 Depth=3
	s_or_b32 exec_lo, exec_lo, s27
	s_delay_alu instid0(SALU_CYCLE_1)
	s_and_b32 s26, s26, exec_lo
                                        ; implicit-def: $vgpr19
.LBB226_30:                             ;   in Loop: Header=BB226_22 Depth=3
	s_and_not1_saveexec_b32 s25, s25
	s_cbranch_execz .LBB226_21
; %bb.31:                               ;   in Loop: Header=BB226_22 Depth=3
	v_lshl_add_u32 v19, v18, 2, v19
	s_and_not1_b32 s26, s26, exec_lo
	ds_add_f32 v19, v16 offset:8192
	ds_add_f32 v19, v17 offset:8196
	s_branch .LBB226_21
.LBB226_32:
	s_or_b32 exec_lo, exec_lo, s8
.LBB226_33:
	s_delay_alu instid0(SALU_CYCLE_1)
	s_and_not1_b32 vcc_lo, exec_lo, s14
	s_cbranch_vccnz .LBB226_36
; %bb.34:
	s_waitcnt lgkmcnt(0)
	s_ashr_i32 s49, s48, 31
	s_mov_b32 s3, exec_lo
	s_lshl_b64 s[0:1], s[48:49], 3
	s_delay_alu instid0(SALU_CYCLE_1) | instskip(SKIP_3) | instid1(VALU_DEP_1)
	s_add_u32 s0, s10, s0
	s_addc_u32 s1, s11, s1
	s_load_b128 s[4:7], s[0:1], 0x0
	v_sub_co_u32 v1, s0, v0, s47
	v_sub_co_ci_u32_e64 v2, null, 0, 0, s0
	s_waitcnt lgkmcnt(0)
	s_delay_alu instid0(VALU_DEP_2) | instskip(NEXT) | instid1(VALU_DEP_2)
	v_add_co_u32 v1, vcc_lo, s4, v1
	v_add_co_ci_u32_e32 v2, vcc_lo, s5, v2, vcc_lo
	s_sub_u32 s0, s6, s47
	s_subb_u32 s1, s7, 0
	s_mov_b32 s4, 0
	s_delay_alu instid0(VALU_DEP_1)
	v_cmpx_gt_i64_e64 s[0:1], v[1:2]
	s_cbranch_execnz .LBB226_105
.LBB226_35:
	s_or_b32 exec_lo, exec_lo, s3
.LBB226_36:
	v_mbcnt_lo_u32_b32 v1, -1, 0
	v_lshl_add_u32 v4, v10, 2, 0
	v_cmp_eq_u32_e32 vcc_lo, 0x3ff, v0
	v_cmp_lt_u32_e64 s0, 31, v0
	v_cmp_lt_u32_e64 s1, 63, v0
	v_xor_b32_e32 v1, 63, v1
	v_cmp_lt_u32_e64 s2, 0x5f, v0
	v_cmp_lt_u32_e64 s3, 0x7f, v0
	;; [unrolled: 1-line block ×4, first 2 shown]
	v_lshrrev_b64 v[1:2], v1, -1
	v_cmp_lt_u32_e64 s6, 0xdf, v0
	v_cmp_lt_u32_e64 s7, 0xff, v0
	;; [unrolled: 1-line block ×25, first 2 shown]
	v_dual_mov_b32 v5, 0 :: v_dual_mov_b32 v6, 0
	s_mov_b32 s36, 0
	s_waitcnt lgkmcnt(0)
	s_barrier
	buffer_gl0_inv
	s_branch .LBB226_38
.LBB226_37:                             ;   in Loop: Header=BB226_38 Depth=1
	s_or_b32 exec_lo, exec_lo, s31
	s_waitcnt lgkmcnt(0)
	s_barrier
	buffer_gl0_inv
	ds_load_b32 v2, v5 offset:24700
	v_add_co_u32 v8, s31, 0x400, v8
	s_delay_alu instid0(VALU_DEP_1) | instskip(SKIP_3) | instid1(SALU_CYCLE_1)
	s_xor_b32 s31, s31, -1
	v_add_nc_u32_e32 v9, 0x2000, v9
	v_add_nc_u32_e32 v7, 0x1000, v7
	s_and_b32 s31, exec_lo, s31
	s_or_b32 s36, s31, s36
	s_waitcnt lgkmcnt(0)
	v_add_nc_u32_e32 v6, v2, v6
	s_and_not1_b32 exec_lo, exec_lo, s36
	s_cbranch_execz .LBB226_117
.LBB226_38:                             ; =>This Inner Loop Header: Depth=1
	ds_load_b32 v10, v7
	ds_load_2addr_b32 v[2:3], v9 offset1:1
	s_waitcnt lgkmcnt(0)
	s_barrier
	buffer_gl0_inv
	v_cmp_gt_i32_e64 s31, s33, v10
	s_delay_alu instid0(VALU_DEP_1) | instskip(NEXT) | instid1(SALU_CYCLE_1)
	s_bcnt1_i32_b32 s37, s31
	v_dual_mov_b32 v12, s37 :: v_dual_and_b32 v11, s31, v1
	s_delay_alu instid0(VALU_DEP_1)
	v_bcnt_u32_b32 v11, v11, 0
	ds_store_b32 v4, v12 offset:24576
	s_waitcnt lgkmcnt(0)
	s_barrier
	buffer_gl0_inv
	s_and_saveexec_b32 s37, s0
	s_cbranch_execnz .LBB226_71
; %bb.39:                               ;   in Loop: Header=BB226_38 Depth=1
	s_or_b32 exec_lo, exec_lo, s37
	s_and_saveexec_b32 s37, s1
	s_cbranch_execnz .LBB226_72
.LBB226_40:                             ;   in Loop: Header=BB226_38 Depth=1
	s_or_b32 exec_lo, exec_lo, s37
	s_and_saveexec_b32 s37, s2
	s_cbranch_execnz .LBB226_73
.LBB226_41:                             ;   in Loop: Header=BB226_38 Depth=1
	s_or_b32 exec_lo, exec_lo, s37
	s_and_saveexec_b32 s37, s3
	s_cbranch_execnz .LBB226_74
.LBB226_42:                             ;   in Loop: Header=BB226_38 Depth=1
	s_or_b32 exec_lo, exec_lo, s37
	s_and_saveexec_b32 s37, s4
	s_cbranch_execnz .LBB226_75
.LBB226_43:                             ;   in Loop: Header=BB226_38 Depth=1
	s_or_b32 exec_lo, exec_lo, s37
	s_and_saveexec_b32 s37, s5
	s_cbranch_execnz .LBB226_76
.LBB226_44:                             ;   in Loop: Header=BB226_38 Depth=1
	s_or_b32 exec_lo, exec_lo, s37
	s_and_saveexec_b32 s37, s6
	s_cbranch_execnz .LBB226_77
.LBB226_45:                             ;   in Loop: Header=BB226_38 Depth=1
	s_or_b32 exec_lo, exec_lo, s37
	s_and_saveexec_b32 s37, s7
	s_cbranch_execnz .LBB226_78
.LBB226_46:                             ;   in Loop: Header=BB226_38 Depth=1
	s_or_b32 exec_lo, exec_lo, s37
	s_and_saveexec_b32 s37, s8
	s_cbranch_execnz .LBB226_79
.LBB226_47:                             ;   in Loop: Header=BB226_38 Depth=1
	s_or_b32 exec_lo, exec_lo, s37
	s_and_saveexec_b32 s37, s9
	s_cbranch_execnz .LBB226_80
.LBB226_48:                             ;   in Loop: Header=BB226_38 Depth=1
	s_or_b32 exec_lo, exec_lo, s37
	s_and_saveexec_b32 s37, s10
	s_cbranch_execnz .LBB226_81
.LBB226_49:                             ;   in Loop: Header=BB226_38 Depth=1
	s_or_b32 exec_lo, exec_lo, s37
	s_and_saveexec_b32 s37, s11
	s_cbranch_execnz .LBB226_82
.LBB226_50:                             ;   in Loop: Header=BB226_38 Depth=1
	s_or_b32 exec_lo, exec_lo, s37
	s_and_saveexec_b32 s37, s12
	s_cbranch_execnz .LBB226_83
.LBB226_51:                             ;   in Loop: Header=BB226_38 Depth=1
	s_or_b32 exec_lo, exec_lo, s37
	s_and_saveexec_b32 s37, s13
	s_cbranch_execnz .LBB226_84
.LBB226_52:                             ;   in Loop: Header=BB226_38 Depth=1
	s_or_b32 exec_lo, exec_lo, s37
	s_and_saveexec_b32 s37, s14
	s_cbranch_execnz .LBB226_85
.LBB226_53:                             ;   in Loop: Header=BB226_38 Depth=1
	s_or_b32 exec_lo, exec_lo, s37
	s_and_saveexec_b32 s37, s15
	s_cbranch_execnz .LBB226_86
.LBB226_54:                             ;   in Loop: Header=BB226_38 Depth=1
	s_or_b32 exec_lo, exec_lo, s37
	s_and_saveexec_b32 s37, s16
	s_cbranch_execnz .LBB226_87
.LBB226_55:                             ;   in Loop: Header=BB226_38 Depth=1
	s_or_b32 exec_lo, exec_lo, s37
	s_and_saveexec_b32 s37, s17
	s_cbranch_execnz .LBB226_88
.LBB226_56:                             ;   in Loop: Header=BB226_38 Depth=1
	s_or_b32 exec_lo, exec_lo, s37
	s_and_saveexec_b32 s37, s18
	s_cbranch_execnz .LBB226_89
.LBB226_57:                             ;   in Loop: Header=BB226_38 Depth=1
	s_or_b32 exec_lo, exec_lo, s37
	s_and_saveexec_b32 s37, s19
	s_cbranch_execnz .LBB226_90
.LBB226_58:                             ;   in Loop: Header=BB226_38 Depth=1
	s_or_b32 exec_lo, exec_lo, s37
	s_and_saveexec_b32 s37, s20
	s_cbranch_execnz .LBB226_91
.LBB226_59:                             ;   in Loop: Header=BB226_38 Depth=1
	s_or_b32 exec_lo, exec_lo, s37
	s_and_saveexec_b32 s37, s21
	s_cbranch_execnz .LBB226_92
.LBB226_60:                             ;   in Loop: Header=BB226_38 Depth=1
	s_or_b32 exec_lo, exec_lo, s37
	s_and_saveexec_b32 s37, s22
	s_cbranch_execnz .LBB226_93
.LBB226_61:                             ;   in Loop: Header=BB226_38 Depth=1
	s_or_b32 exec_lo, exec_lo, s37
	s_and_saveexec_b32 s37, s23
	s_cbranch_execnz .LBB226_94
.LBB226_62:                             ;   in Loop: Header=BB226_38 Depth=1
	s_or_b32 exec_lo, exec_lo, s37
	s_and_saveexec_b32 s37, s24
	s_cbranch_execnz .LBB226_95
.LBB226_63:                             ;   in Loop: Header=BB226_38 Depth=1
	s_or_b32 exec_lo, exec_lo, s37
	s_and_saveexec_b32 s37, s25
	s_cbranch_execnz .LBB226_96
.LBB226_64:                             ;   in Loop: Header=BB226_38 Depth=1
	s_or_b32 exec_lo, exec_lo, s37
	s_and_saveexec_b32 s37, s26
	s_cbranch_execnz .LBB226_97
.LBB226_65:                             ;   in Loop: Header=BB226_38 Depth=1
	s_or_b32 exec_lo, exec_lo, s37
	s_and_saveexec_b32 s37, s27
	s_cbranch_execnz .LBB226_98
.LBB226_66:                             ;   in Loop: Header=BB226_38 Depth=1
	s_or_b32 exec_lo, exec_lo, s37
	s_and_saveexec_b32 s37, s28
	s_cbranch_execnz .LBB226_99
.LBB226_67:                             ;   in Loop: Header=BB226_38 Depth=1
	s_or_b32 exec_lo, exec_lo, s37
	s_and_saveexec_b32 s37, s29
	s_cbranch_execnz .LBB226_100
.LBB226_68:                             ;   in Loop: Header=BB226_38 Depth=1
	s_or_b32 exec_lo, exec_lo, s37
	s_and_saveexec_b32 s37, s30
	s_cbranch_execnz .LBB226_101
.LBB226_69:                             ;   in Loop: Header=BB226_38 Depth=1
	s_or_b32 exec_lo, exec_lo, s37
	s_and_saveexec_b32 s37, s31
	s_cbranch_execnz .LBB226_102
.LBB226_70:                             ;   in Loop: Header=BB226_38 Depth=1
	s_or_b32 exec_lo, exec_lo, s37
	s_and_saveexec_b32 s31, vcc_lo
	s_cbranch_execz .LBB226_37
	s_branch .LBB226_103
.LBB226_71:                             ;   in Loop: Header=BB226_38 Depth=1
	ds_load_b32 v12, v5 offset:24576
	s_waitcnt lgkmcnt(0)
	v_add_nc_u32_e32 v11, v12, v11
	s_or_b32 exec_lo, exec_lo, s37
	s_and_saveexec_b32 s37, s1
	s_cbranch_execz .LBB226_40
.LBB226_72:                             ;   in Loop: Header=BB226_38 Depth=1
	ds_load_b32 v12, v5 offset:24580
	s_waitcnt lgkmcnt(0)
	v_add_nc_u32_e32 v11, v12, v11
	s_or_b32 exec_lo, exec_lo, s37
	s_and_saveexec_b32 s37, s2
	s_cbranch_execz .LBB226_41
.LBB226_73:                             ;   in Loop: Header=BB226_38 Depth=1
	ds_load_b32 v12, v5 offset:24584
	s_waitcnt lgkmcnt(0)
	v_add_nc_u32_e32 v11, v12, v11
	s_or_b32 exec_lo, exec_lo, s37
	s_and_saveexec_b32 s37, s3
	s_cbranch_execz .LBB226_42
.LBB226_74:                             ;   in Loop: Header=BB226_38 Depth=1
	ds_load_b32 v12, v5 offset:24588
	s_waitcnt lgkmcnt(0)
	v_add_nc_u32_e32 v11, v12, v11
	s_or_b32 exec_lo, exec_lo, s37
	s_and_saveexec_b32 s37, s4
	s_cbranch_execz .LBB226_43
.LBB226_75:                             ;   in Loop: Header=BB226_38 Depth=1
	ds_load_b32 v12, v5 offset:24592
	s_waitcnt lgkmcnt(0)
	v_add_nc_u32_e32 v11, v12, v11
	s_or_b32 exec_lo, exec_lo, s37
	s_and_saveexec_b32 s37, s5
	s_cbranch_execz .LBB226_44
.LBB226_76:                             ;   in Loop: Header=BB226_38 Depth=1
	ds_load_b32 v12, v5 offset:24596
	s_waitcnt lgkmcnt(0)
	v_add_nc_u32_e32 v11, v12, v11
	s_or_b32 exec_lo, exec_lo, s37
	s_and_saveexec_b32 s37, s6
	s_cbranch_execz .LBB226_45
.LBB226_77:                             ;   in Loop: Header=BB226_38 Depth=1
	ds_load_b32 v12, v5 offset:24600
	s_waitcnt lgkmcnt(0)
	v_add_nc_u32_e32 v11, v12, v11
	s_or_b32 exec_lo, exec_lo, s37
	s_and_saveexec_b32 s37, s7
	s_cbranch_execz .LBB226_46
.LBB226_78:                             ;   in Loop: Header=BB226_38 Depth=1
	ds_load_b32 v12, v5 offset:24604
	s_waitcnt lgkmcnt(0)
	v_add_nc_u32_e32 v11, v12, v11
	s_or_b32 exec_lo, exec_lo, s37
	s_and_saveexec_b32 s37, s8
	s_cbranch_execz .LBB226_47
.LBB226_79:                             ;   in Loop: Header=BB226_38 Depth=1
	ds_load_b32 v12, v5 offset:24608
	s_waitcnt lgkmcnt(0)
	v_add_nc_u32_e32 v11, v12, v11
	s_or_b32 exec_lo, exec_lo, s37
	s_and_saveexec_b32 s37, s9
	s_cbranch_execz .LBB226_48
.LBB226_80:                             ;   in Loop: Header=BB226_38 Depth=1
	ds_load_b32 v12, v5 offset:24612
	s_waitcnt lgkmcnt(0)
	v_add_nc_u32_e32 v11, v12, v11
	s_or_b32 exec_lo, exec_lo, s37
	s_and_saveexec_b32 s37, s10
	s_cbranch_execz .LBB226_49
.LBB226_81:                             ;   in Loop: Header=BB226_38 Depth=1
	ds_load_b32 v12, v5 offset:24616
	s_waitcnt lgkmcnt(0)
	v_add_nc_u32_e32 v11, v12, v11
	s_or_b32 exec_lo, exec_lo, s37
	s_and_saveexec_b32 s37, s11
	s_cbranch_execz .LBB226_50
.LBB226_82:                             ;   in Loop: Header=BB226_38 Depth=1
	ds_load_b32 v12, v5 offset:24620
	s_waitcnt lgkmcnt(0)
	v_add_nc_u32_e32 v11, v12, v11
	s_or_b32 exec_lo, exec_lo, s37
	s_and_saveexec_b32 s37, s12
	s_cbranch_execz .LBB226_51
.LBB226_83:                             ;   in Loop: Header=BB226_38 Depth=1
	ds_load_b32 v12, v5 offset:24624
	s_waitcnt lgkmcnt(0)
	v_add_nc_u32_e32 v11, v12, v11
	s_or_b32 exec_lo, exec_lo, s37
	s_and_saveexec_b32 s37, s13
	s_cbranch_execz .LBB226_52
.LBB226_84:                             ;   in Loop: Header=BB226_38 Depth=1
	ds_load_b32 v12, v5 offset:24628
	s_waitcnt lgkmcnt(0)
	v_add_nc_u32_e32 v11, v12, v11
	s_or_b32 exec_lo, exec_lo, s37
	s_and_saveexec_b32 s37, s14
	s_cbranch_execz .LBB226_53
.LBB226_85:                             ;   in Loop: Header=BB226_38 Depth=1
	ds_load_b32 v12, v5 offset:24632
	s_waitcnt lgkmcnt(0)
	v_add_nc_u32_e32 v11, v12, v11
	s_or_b32 exec_lo, exec_lo, s37
	s_and_saveexec_b32 s37, s15
	s_cbranch_execz .LBB226_54
.LBB226_86:                             ;   in Loop: Header=BB226_38 Depth=1
	ds_load_b32 v12, v5 offset:24636
	s_waitcnt lgkmcnt(0)
	v_add_nc_u32_e32 v11, v12, v11
	s_or_b32 exec_lo, exec_lo, s37
	s_and_saveexec_b32 s37, s16
	s_cbranch_execz .LBB226_55
.LBB226_87:                             ;   in Loop: Header=BB226_38 Depth=1
	ds_load_b32 v12, v5 offset:24640
	s_waitcnt lgkmcnt(0)
	v_add_nc_u32_e32 v11, v12, v11
	s_or_b32 exec_lo, exec_lo, s37
	s_and_saveexec_b32 s37, s17
	s_cbranch_execz .LBB226_56
.LBB226_88:                             ;   in Loop: Header=BB226_38 Depth=1
	ds_load_b32 v12, v5 offset:24644
	s_waitcnt lgkmcnt(0)
	v_add_nc_u32_e32 v11, v12, v11
	s_or_b32 exec_lo, exec_lo, s37
	s_and_saveexec_b32 s37, s18
	s_cbranch_execz .LBB226_57
.LBB226_89:                             ;   in Loop: Header=BB226_38 Depth=1
	ds_load_b32 v12, v5 offset:24648
	s_waitcnt lgkmcnt(0)
	v_add_nc_u32_e32 v11, v12, v11
	s_or_b32 exec_lo, exec_lo, s37
	s_and_saveexec_b32 s37, s19
	s_cbranch_execz .LBB226_58
.LBB226_90:                             ;   in Loop: Header=BB226_38 Depth=1
	ds_load_b32 v12, v5 offset:24652
	s_waitcnt lgkmcnt(0)
	v_add_nc_u32_e32 v11, v12, v11
	s_or_b32 exec_lo, exec_lo, s37
	s_and_saveexec_b32 s37, s20
	s_cbranch_execz .LBB226_59
.LBB226_91:                             ;   in Loop: Header=BB226_38 Depth=1
	ds_load_b32 v12, v5 offset:24656
	s_waitcnt lgkmcnt(0)
	v_add_nc_u32_e32 v11, v12, v11
	s_or_b32 exec_lo, exec_lo, s37
	s_and_saveexec_b32 s37, s21
	s_cbranch_execz .LBB226_60
.LBB226_92:                             ;   in Loop: Header=BB226_38 Depth=1
	ds_load_b32 v12, v5 offset:24660
	s_waitcnt lgkmcnt(0)
	v_add_nc_u32_e32 v11, v12, v11
	s_or_b32 exec_lo, exec_lo, s37
	s_and_saveexec_b32 s37, s22
	s_cbranch_execz .LBB226_61
.LBB226_93:                             ;   in Loop: Header=BB226_38 Depth=1
	ds_load_b32 v12, v5 offset:24664
	s_waitcnt lgkmcnt(0)
	v_add_nc_u32_e32 v11, v12, v11
	s_or_b32 exec_lo, exec_lo, s37
	s_and_saveexec_b32 s37, s23
	s_cbranch_execz .LBB226_62
.LBB226_94:                             ;   in Loop: Header=BB226_38 Depth=1
	ds_load_b32 v12, v5 offset:24668
	s_waitcnt lgkmcnt(0)
	v_add_nc_u32_e32 v11, v12, v11
	s_or_b32 exec_lo, exec_lo, s37
	s_and_saveexec_b32 s37, s24
	s_cbranch_execz .LBB226_63
.LBB226_95:                             ;   in Loop: Header=BB226_38 Depth=1
	ds_load_b32 v12, v5 offset:24672
	s_waitcnt lgkmcnt(0)
	v_add_nc_u32_e32 v11, v12, v11
	s_or_b32 exec_lo, exec_lo, s37
	s_and_saveexec_b32 s37, s25
	s_cbranch_execz .LBB226_64
.LBB226_96:                             ;   in Loop: Header=BB226_38 Depth=1
	ds_load_b32 v12, v5 offset:24676
	s_waitcnt lgkmcnt(0)
	v_add_nc_u32_e32 v11, v12, v11
	s_or_b32 exec_lo, exec_lo, s37
	s_and_saveexec_b32 s37, s26
	s_cbranch_execz .LBB226_65
.LBB226_97:                             ;   in Loop: Header=BB226_38 Depth=1
	ds_load_b32 v12, v5 offset:24680
	s_waitcnt lgkmcnt(0)
	v_add_nc_u32_e32 v11, v12, v11
	s_or_b32 exec_lo, exec_lo, s37
	s_and_saveexec_b32 s37, s27
	s_cbranch_execz .LBB226_66
.LBB226_98:                             ;   in Loop: Header=BB226_38 Depth=1
	ds_load_b32 v12, v5 offset:24684
	s_waitcnt lgkmcnt(0)
	v_add_nc_u32_e32 v11, v12, v11
	s_or_b32 exec_lo, exec_lo, s37
	s_and_saveexec_b32 s37, s28
	s_cbranch_execz .LBB226_67
.LBB226_99:                             ;   in Loop: Header=BB226_38 Depth=1
	ds_load_b32 v12, v5 offset:24688
	s_waitcnt lgkmcnt(0)
	v_add_nc_u32_e32 v11, v12, v11
	s_or_b32 exec_lo, exec_lo, s37
	s_and_saveexec_b32 s37, s29
	s_cbranch_execz .LBB226_68
.LBB226_100:                            ;   in Loop: Header=BB226_38 Depth=1
	ds_load_b32 v12, v5 offset:24692
	s_waitcnt lgkmcnt(0)
	v_add_nc_u32_e32 v11, v12, v11
	s_or_b32 exec_lo, exec_lo, s37
	s_and_saveexec_b32 s37, s30
	s_cbranch_execz .LBB226_69
.LBB226_101:                            ;   in Loop: Header=BB226_38 Depth=1
	ds_load_b32 v12, v5 offset:24696
	s_waitcnt lgkmcnt(0)
	v_add_nc_u32_e32 v11, v12, v11
	s_or_b32 exec_lo, exec_lo, s37
	s_and_saveexec_b32 s37, s31
	s_cbranch_execz .LBB226_70
.LBB226_102:                            ;   in Loop: Header=BB226_38 Depth=1
	s_delay_alu instid0(VALU_DEP_1) | instskip(NEXT) | instid1(VALU_DEP_1)
	v_add3_u32 v12, v6, -1, v11
	v_lshlrev_b32_e32 v13, 3, v12
	v_lshl_add_u32 v12, v12, 2, 0
	s_delay_alu instid0(VALU_DEP_2)
	v_add3_u32 v13, 0, v13, 0x2000
	ds_store_b32 v12, v10
	ds_store_2addr_b32 v13, v2, v3 offset1:1
	s_or_b32 exec_lo, exec_lo, s37
	s_and_saveexec_b32 s31, vcc_lo
	s_cbranch_execz .LBB226_37
.LBB226_103:                            ;   in Loop: Header=BB226_38 Depth=1
	ds_store_b32 v5, v11 offset:24700
	s_branch .LBB226_37
.LBB226_104:                            ;   in Loop: Header=BB226_105 Depth=1
	s_or_b32 exec_lo, exec_lo, s5
	v_add_co_u32 v1, vcc_lo, 0x400, v1
	v_add_co_ci_u32_e32 v2, vcc_lo, 0, v2, vcc_lo
	s_delay_alu instid0(VALU_DEP_1) | instskip(SKIP_1) | instid1(SALU_CYCLE_1)
	v_cmp_le_i64_e32 vcc_lo, s[0:1], v[1:2]
	s_or_b32 s4, vcc_lo, s4
	s_and_not1_b32 exec_lo, exec_lo, s4
	s_cbranch_execz .LBB226_35
.LBB226_105:                            ; =>This Loop Header: Depth=1
                                        ;     Child Loop BB226_107 Depth 2
	v_lshlrev_b64 v[3:4], 2, v[1:2]
	v_lshlrev_b64 v[5:6], 3, v[1:2]
	s_mov_b32 s5, 0
	s_delay_alu instid0(VALU_DEP_2) | instskip(NEXT) | instid1(VALU_DEP_3)
	v_add_co_u32 v3, vcc_lo, s36, v3
	v_add_co_ci_u32_e32 v4, vcc_lo, s37, v4, vcc_lo
	global_load_b32 v13, v[3:4], off
	v_add_co_u32 v3, vcc_lo, s38, v5
	v_add_co_ci_u32_e32 v4, vcc_lo, s39, v6, vcc_lo
	global_load_b64 v[11:12], v[3:4], off
	s_waitcnt vmcnt(1)
	v_subrev_nc_u32_e32 v3, s47, v13
	s_delay_alu instid0(VALU_DEP_1) | instskip(SKIP_2) | instid1(VALU_DEP_1)
	v_mul_lo_u32 v6, 0x89, v3
	s_waitcnt vmcnt(0)
	v_mul_f32_e64 v4, v12, -s12
	v_dual_mul_f32 v5, s2, v12 :: v_dual_fmac_f32 v4, s2, v11
	s_delay_alu instid0(VALU_DEP_1)
	v_dual_fmac_f32 v5, s12, v11 :: v_dual_and_b32 v6, 0x7ff, v6
	s_branch .LBB226_107
.LBB226_106:                            ;   in Loop: Header=BB226_107 Depth=2
	s_or_b32 exec_lo, exec_lo, s6
	s_xor_b32 s6, s7, -1
	s_delay_alu instid0(SALU_CYCLE_1) | instskip(NEXT) | instid1(SALU_CYCLE_1)
	s_and_b32 s6, exec_lo, s6
	s_or_b32 s5, s6, s5
	s_delay_alu instid0(SALU_CYCLE_1)
	s_and_not1_b32 exec_lo, exec_lo, s5
	s_cbranch_execz .LBB226_104
.LBB226_107:                            ;   Parent Loop BB226_105 Depth=1
                                        ; =>  This Inner Loop Header: Depth=2
	s_delay_alu instid0(VALU_DEP_1)
	v_lshl_add_u32 v11, v6, 2, 0
	s_mov_b32 s6, exec_lo
                                        ; implicit-def: $sgpr7
	ds_load_b32 v12, v11
	s_waitcnt lgkmcnt(0)
	v_cmpx_ne_u32_e64 v12, v3
	s_xor_b32 s6, exec_lo, s6
	s_cbranch_execz .LBB226_115
; %bb.108:                              ;   in Loop: Header=BB226_107 Depth=2
	s_mov_b32 s8, exec_lo
                                        ; implicit-def: $sgpr7
	v_cmpx_ne_u32_e64 s33, v12
	s_xor_b32 s8, exec_lo, s8
; %bb.109:                              ;   in Loop: Header=BB226_107 Depth=2
	v_add_nc_u32_e32 v6, 1, v6
	s_mov_b32 s7, -1
                                        ; implicit-def: $vgpr11
	s_delay_alu instid0(VALU_DEP_1)
	v_and_b32_e32 v6, 0x7ff, v6
; %bb.110:                              ;   in Loop: Header=BB226_107 Depth=2
	s_and_not1_saveexec_b32 s8, s8
	s_cbranch_execz .LBB226_114
; %bb.111:                              ;   in Loop: Header=BB226_107 Depth=2
	v_mov_b32_e32 v12, s33
	s_mov_b32 s9, -1
	s_mov_b32 s10, exec_lo
	ds_cmpstore_rtn_b32 v12, v11, v3, v12
	s_waitcnt lgkmcnt(0)
	v_cmpx_eq_u32_e64 s33, v12
	s_cbranch_execz .LBB226_113
; %bb.112:                              ;   in Loop: Header=BB226_107 Depth=2
	v_lshl_add_u32 v11, v6, 2, v11
	s_xor_b32 s9, exec_lo, -1
	ds_add_f32 v11, v4 offset:8192
	ds_add_f32 v11, v5 offset:8196
.LBB226_113:                            ;   in Loop: Header=BB226_107 Depth=2
	s_or_b32 exec_lo, exec_lo, s10
	s_delay_alu instid0(SALU_CYCLE_1) | instskip(SKIP_1) | instid1(SALU_CYCLE_1)
	s_and_not1_b32 s7, s7, exec_lo
	s_and_b32 s9, s9, exec_lo
	s_or_b32 s7, s7, s9
.LBB226_114:                            ;   in Loop: Header=BB226_107 Depth=2
	s_or_b32 exec_lo, exec_lo, s8
	s_delay_alu instid0(SALU_CYCLE_1)
	s_and_b32 s7, s7, exec_lo
                                        ; implicit-def: $vgpr11
.LBB226_115:                            ;   in Loop: Header=BB226_107 Depth=2
	s_and_not1_saveexec_b32 s6, s6
	s_cbranch_execz .LBB226_106
; %bb.116:                              ;   in Loop: Header=BB226_107 Depth=2
	v_lshl_add_u32 v11, v6, 2, v11
	s_and_not1_b32 s7, s7, exec_lo
	ds_add_f32 v11, v4 offset:8192
	ds_add_f32 v11, v5 offset:8196
	s_branch .LBB226_106
.LBB226_117:
	s_or_b32 exec_lo, exec_lo, s36
	s_ashr_i32 s49, s48, 31
	s_mov_b32 s4, exec_lo
	s_lshl_b64 s[0:1], s[48:49], 3
	s_delay_alu instid0(SALU_CYCLE_1) | instskip(SKIP_4) | instid1(SALU_CYCLE_1)
	s_add_u32 s0, s40, s0
	s_addc_u32 s1, s41, s1
	s_load_b128 s[0:3], s[0:1], 0x0
	s_waitcnt lgkmcnt(0)
	s_sub_i32 s3, s2, s0
	v_cmpx_gt_i32_e64 s3, v0
	s_cbranch_execz .LBB226_127
; %bb.118:
	s_sub_u32 s4, s0, s46
	s_subb_u32 s5, s1, 0
	s_sub_i32 s0, s0, s2
	s_and_b32 s1, s3, 7
	s_cmp_lt_u32 s0, -7
	s_mov_b32 s8, 0
	s_cselect_b32 s2, -1, 0
	s_and_b32 s6, s3, -8
	s_cmp_lg_u32 s1, 0
	s_cselect_b32 s7, -1, 0
	s_branch .LBB226_120
.LBB226_119:                            ;   in Loop: Header=BB226_120 Depth=1
	s_delay_alu instid0(VALU_DEP_1) | instskip(SKIP_4) | instid1(VALU_DEP_4)
	v_lshlrev_b64 v[6:7], 2, v[3:4]
	v_lshlrev_b64 v[3:4], 3, v[3:4]
	v_add_nc_u32_e32 v0, 0x400, v0
	s_waitcnt lgkmcnt(1)
	v_add_nc_u32_e32 v8, s46, v5
	v_add_co_u32 v5, vcc_lo, s42, v6
	v_add_co_ci_u32_e32 v6, vcc_lo, s43, v7, vcc_lo
	v_cmp_le_i32_e32 vcc_lo, s3, v0
	v_add_co_u32 v3, s0, s34, v3
	s_delay_alu instid0(VALU_DEP_1)
	v_add_co_ci_u32_e64 v4, s0, s35, v4, s0
	s_or_b32 s8, vcc_lo, s8
	global_store_b32 v[5:6], v8, off
	s_waitcnt lgkmcnt(0)
	global_store_b64 v[3:4], v[1:2], off
	s_and_not1_b32 exec_lo, exec_lo, s8
	s_cbranch_execz .LBB226_127
.LBB226_120:                            ; =>This Loop Header: Depth=1
                                        ;     Child Loop BB226_122 Depth 2
                                        ;     Child Loop BB226_126 Depth 2
	v_lshlrev_b32_e32 v1, 2, v0
	v_dual_mov_b32 v3, s4 :: v_dual_mov_b32 v4, s5
	s_and_not1_b32 vcc_lo, exec_lo, s2
	s_mov_b32 s0, 0
	s_delay_alu instid0(VALU_DEP_2) | instskip(NEXT) | instid1(VALU_DEP_1)
	v_add_nc_u32_e32 v2, 0, v1
	v_add3_u32 v1, v2, v1, 0x2000
	ds_load_b32 v5, v2
	ds_load_2addr_b32 v[1:2], v1 offset1:1
	s_cbranch_vccnz .LBB226_124
; %bb.121:                              ;   in Loop: Header=BB226_120 Depth=1
	v_dual_mov_b32 v3, s4 :: v_dual_mov_b32 v4, s5
	s_mov_b32 s9, 0
	s_mov_b32 s10, 0
.LBB226_122:                            ;   Parent Loop BB226_120 Depth=1
                                        ; =>  This Inner Loop Header: Depth=2
	s_delay_alu instid0(SALU_CYCLE_1)
	v_mov_b32_e32 v12, s10
	s_add_i32 s9, s9, 8
	s_add_i32 s10, s10, 32
	s_cmp_eq_u32 s6, s9
	ds_load_2addr_b32 v[6:7], v12 offset1:1
	ds_load_2addr_b32 v[8:9], v12 offset0:2 offset1:3
	ds_load_2addr_b32 v[10:11], v12 offset0:4 offset1:5
	;; [unrolled: 1-line block ×3, first 2 shown]
	s_waitcnt lgkmcnt(3)
	v_cmp_gt_i32_e32 vcc_lo, v5, v6
	v_cndmask_b32_e64 v6, 0, 1, vcc_lo
	v_cmp_gt_i32_e32 vcc_lo, v5, v7
	v_cndmask_b32_e64 v7, 0, 1, vcc_lo
	s_waitcnt lgkmcnt(2)
	v_cmp_gt_i32_e32 vcc_lo, v5, v8
	v_cndmask_b32_e64 v8, 0, 1, vcc_lo
	v_cmp_gt_i32_e32 vcc_lo, v5, v9
	v_cndmask_b32_e64 v9, 0, 1, vcc_lo
	s_waitcnt lgkmcnt(1)
	v_cmp_gt_i32_e32 vcc_lo, v5, v10
	v_cndmask_b32_e64 v10, 0, 1, vcc_lo
	v_add_co_u32 v3, vcc_lo, v3, v6
	v_add_co_ci_u32_e32 v4, vcc_lo, 0, v4, vcc_lo
	v_cmp_gt_i32_e32 vcc_lo, v5, v11
	s_delay_alu instid0(VALU_DEP_3) | instskip(NEXT) | instid1(VALU_DEP_1)
	v_add_co_u32 v3, s0, v3, v7
	v_add_co_ci_u32_e64 v4, s0, 0, v4, s0
	v_cndmask_b32_e64 v6, 0, 1, vcc_lo
	s_delay_alu instid0(VALU_DEP_3) | instskip(NEXT) | instid1(VALU_DEP_3)
	v_add_co_u32 v3, vcc_lo, v3, v8
	v_add_co_ci_u32_e32 v4, vcc_lo, 0, v4, vcc_lo
	s_waitcnt lgkmcnt(0)
	v_cmp_gt_i32_e32 vcc_lo, v5, v12
	s_delay_alu instid0(VALU_DEP_3) | instskip(NEXT) | instid1(VALU_DEP_1)
	v_add_co_u32 v3, s0, v3, v9
	v_add_co_ci_u32_e64 v4, s0, 0, v4, s0
	v_cndmask_b32_e64 v7, 0, 1, vcc_lo
	s_delay_alu instid0(VALU_DEP_3) | instskip(NEXT) | instid1(VALU_DEP_3)
	v_add_co_u32 v3, vcc_lo, v3, v10
	v_add_co_ci_u32_e32 v4, vcc_lo, 0, v4, vcc_lo
	v_cmp_gt_i32_e32 vcc_lo, v5, v13
	s_delay_alu instid0(VALU_DEP_3) | instskip(NEXT) | instid1(VALU_DEP_1)
	v_add_co_u32 v3, s0, v3, v6
	v_add_co_ci_u32_e64 v4, s0, 0, v4, s0
	v_cndmask_b32_e64 v6, 0, 1, vcc_lo
	s_delay_alu instid0(VALU_DEP_3) | instskip(NEXT) | instid1(VALU_DEP_3)
	v_add_co_u32 v3, vcc_lo, v3, v7
	v_add_co_ci_u32_e32 v4, vcc_lo, 0, v4, vcc_lo
	s_delay_alu instid0(VALU_DEP_2) | instskip(NEXT) | instid1(VALU_DEP_2)
	v_add_co_u32 v3, vcc_lo, v3, v6
	v_add_co_ci_u32_e32 v4, vcc_lo, 0, v4, vcc_lo
	s_cbranch_scc0 .LBB226_122
; %bb.123:                              ;   in Loop: Header=BB226_120 Depth=1
	s_mov_b32 s0, s6
.LBB226_124:                            ;   in Loop: Header=BB226_120 Depth=1
	s_and_not1_b32 vcc_lo, exec_lo, s7
	s_cbranch_vccnz .LBB226_119
; %bb.125:                              ;   in Loop: Header=BB226_120 Depth=1
	s_lshl_b32 s0, s0, 2
	s_mov_b32 s9, s1
	s_add_i32 s0, s0, 0
.LBB226_126:                            ;   Parent Loop BB226_120 Depth=1
                                        ; =>  This Inner Loop Header: Depth=2
	s_delay_alu instid0(SALU_CYCLE_1)
	v_mov_b32_e32 v6, s0
	s_add_i32 s9, s9, -1
	s_add_i32 s0, s0, 4
	s_cmp_lg_u32 s9, 0
	ds_load_b32 v6, v6
	s_waitcnt lgkmcnt(0)
	v_cmp_gt_i32_e32 vcc_lo, v5, v6
	v_cndmask_b32_e64 v6, 0, 1, vcc_lo
	s_delay_alu instid0(VALU_DEP_1)
	v_add_co_u32 v3, vcc_lo, v3, v6
	v_add_co_ci_u32_e32 v4, vcc_lo, 0, v4, vcc_lo
	s_cbranch_scc1 .LBB226_126
	s_branch .LBB226_119
.LBB226_127:
	s_nop 0
	s_sendmsg sendmsg(MSG_DEALLOC_VGPRS)
	s_endpgm
	.section	.rodata,"a",@progbits
	.p2align	6, 0x0
	.amdhsa_kernel _ZN9rocsparseL26csrgemm_fill_block_per_rowILj1024ELj32ELj2048ELj137ELj32Eli21rocsparse_complex_numIfEEEvT5_PKS3_S5_NS_24const_host_device_scalarIT6_EEPKT4_S5_PKS7_SB_S5_SD_S8_SB_S5_SD_SB_PS3_PS7_21rocsparse_index_base_SG_SG_SG_bbb
		.amdhsa_group_segment_fixed_size 0
		.amdhsa_private_segment_fixed_size 0
		.amdhsa_kernarg_size 156
		.amdhsa_user_sgpr_count 15
		.amdhsa_user_sgpr_dispatch_ptr 0
		.amdhsa_user_sgpr_queue_ptr 0
		.amdhsa_user_sgpr_kernarg_segment_ptr 1
		.amdhsa_user_sgpr_dispatch_id 0
		.amdhsa_user_sgpr_private_segment_size 0
		.amdhsa_wavefront_size32 1
		.amdhsa_uses_dynamic_stack 0
		.amdhsa_enable_private_segment 0
		.amdhsa_system_sgpr_workgroup_id_x 1
		.amdhsa_system_sgpr_workgroup_id_y 0
		.amdhsa_system_sgpr_workgroup_id_z 0
		.amdhsa_system_sgpr_workgroup_info 0
		.amdhsa_system_vgpr_workitem_id 0
		.amdhsa_next_free_vgpr 21
		.amdhsa_next_free_sgpr 50
		.amdhsa_reserve_vcc 1
		.amdhsa_float_round_mode_32 0
		.amdhsa_float_round_mode_16_64 0
		.amdhsa_float_denorm_mode_32 3
		.amdhsa_float_denorm_mode_16_64 3
		.amdhsa_dx10_clamp 1
		.amdhsa_ieee_mode 1
		.amdhsa_fp16_overflow 0
		.amdhsa_workgroup_processor_mode 1
		.amdhsa_memory_ordered 1
		.amdhsa_forward_progress 0
		.amdhsa_shared_vgpr_count 0
		.amdhsa_exception_fp_ieee_invalid_op 0
		.amdhsa_exception_fp_denorm_src 0
		.amdhsa_exception_fp_ieee_div_zero 0
		.amdhsa_exception_fp_ieee_overflow 0
		.amdhsa_exception_fp_ieee_underflow 0
		.amdhsa_exception_fp_ieee_inexact 0
		.amdhsa_exception_int_div_zero 0
	.end_amdhsa_kernel
	.section	.text._ZN9rocsparseL26csrgemm_fill_block_per_rowILj1024ELj32ELj2048ELj137ELj32Eli21rocsparse_complex_numIfEEEvT5_PKS3_S5_NS_24const_host_device_scalarIT6_EEPKT4_S5_PKS7_SB_S5_SD_S8_SB_S5_SD_SB_PS3_PS7_21rocsparse_index_base_SG_SG_SG_bbb,"axG",@progbits,_ZN9rocsparseL26csrgemm_fill_block_per_rowILj1024ELj32ELj2048ELj137ELj32Eli21rocsparse_complex_numIfEEEvT5_PKS3_S5_NS_24const_host_device_scalarIT6_EEPKT4_S5_PKS7_SB_S5_SD_S8_SB_S5_SD_SB_PS3_PS7_21rocsparse_index_base_SG_SG_SG_bbb,comdat
.Lfunc_end226:
	.size	_ZN9rocsparseL26csrgemm_fill_block_per_rowILj1024ELj32ELj2048ELj137ELj32Eli21rocsparse_complex_numIfEEEvT5_PKS3_S5_NS_24const_host_device_scalarIT6_EEPKT4_S5_PKS7_SB_S5_SD_S8_SB_S5_SD_SB_PS3_PS7_21rocsparse_index_base_SG_SG_SG_bbb, .Lfunc_end226-_ZN9rocsparseL26csrgemm_fill_block_per_rowILj1024ELj32ELj2048ELj137ELj32Eli21rocsparse_complex_numIfEEEvT5_PKS3_S5_NS_24const_host_device_scalarIT6_EEPKT4_S5_PKS7_SB_S5_SD_S8_SB_S5_SD_SB_PS3_PS7_21rocsparse_index_base_SG_SG_SG_bbb
                                        ; -- End function
	.section	.AMDGPU.csdata,"",@progbits
; Kernel info:
; codeLenInByte = 4436
; NumSgprs: 52
; NumVgprs: 21
; ScratchSize: 0
; MemoryBound: 0
; FloatMode: 240
; IeeeMode: 1
; LDSByteSize: 0 bytes/workgroup (compile time only)
; SGPRBlocks: 6
; VGPRBlocks: 2
; NumSGPRsForWavesPerEU: 52
; NumVGPRsForWavesPerEU: 21
; Occupancy: 16
; WaveLimiterHint : 1
; COMPUTE_PGM_RSRC2:SCRATCH_EN: 0
; COMPUTE_PGM_RSRC2:USER_SGPR: 15
; COMPUTE_PGM_RSRC2:TRAP_HANDLER: 0
; COMPUTE_PGM_RSRC2:TGID_X_EN: 1
; COMPUTE_PGM_RSRC2:TGID_Y_EN: 0
; COMPUTE_PGM_RSRC2:TGID_Z_EN: 0
; COMPUTE_PGM_RSRC2:TIDIG_COMP_CNT: 0
	.section	.text._ZN9rocsparseL26csrgemm_fill_block_per_rowILj1024ELj32ELj2048ELj137ELj64Eli21rocsparse_complex_numIfEEEvT5_PKS3_S5_NS_24const_host_device_scalarIT6_EEPKT4_S5_PKS7_SB_S5_SD_S8_SB_S5_SD_SB_PS3_PS7_21rocsparse_index_base_SG_SG_SG_bbb,"axG",@progbits,_ZN9rocsparseL26csrgemm_fill_block_per_rowILj1024ELj32ELj2048ELj137ELj64Eli21rocsparse_complex_numIfEEEvT5_PKS3_S5_NS_24const_host_device_scalarIT6_EEPKT4_S5_PKS7_SB_S5_SD_S8_SB_S5_SD_SB_PS3_PS7_21rocsparse_index_base_SG_SG_SG_bbb,comdat
	.globl	_ZN9rocsparseL26csrgemm_fill_block_per_rowILj1024ELj32ELj2048ELj137ELj64Eli21rocsparse_complex_numIfEEEvT5_PKS3_S5_NS_24const_host_device_scalarIT6_EEPKT4_S5_PKS7_SB_S5_SD_S8_SB_S5_SD_SB_PS3_PS7_21rocsparse_index_base_SG_SG_SG_bbb ; -- Begin function _ZN9rocsparseL26csrgemm_fill_block_per_rowILj1024ELj32ELj2048ELj137ELj64Eli21rocsparse_complex_numIfEEEvT5_PKS3_S5_NS_24const_host_device_scalarIT6_EEPKT4_S5_PKS7_SB_S5_SD_S8_SB_S5_SD_SB_PS3_PS7_21rocsparse_index_base_SG_SG_SG_bbb
	.p2align	8
	.type	_ZN9rocsparseL26csrgemm_fill_block_per_rowILj1024ELj32ELj2048ELj137ELj64Eli21rocsparse_complex_numIfEEEvT5_PKS3_S5_NS_24const_host_device_scalarIT6_EEPKT4_S5_PKS7_SB_S5_SD_S8_SB_S5_SD_SB_PS3_PS7_21rocsparse_index_base_SG_SG_SG_bbb,@function
_ZN9rocsparseL26csrgemm_fill_block_per_rowILj1024ELj32ELj2048ELj137ELj64Eli21rocsparse_complex_numIfEEEvT5_PKS3_S5_NS_24const_host_device_scalarIT6_EEPKT4_S5_PKS7_SB_S5_SD_S8_SB_S5_SD_SB_PS3_PS7_21rocsparse_index_base_SG_SG_SG_bbb: ; @_ZN9rocsparseL26csrgemm_fill_block_per_rowILj1024ELj32ELj2048ELj137ELj64Eli21rocsparse_complex_numIfEEEvT5_PKS3_S5_NS_24const_host_device_scalarIT6_EEPKT4_S5_PKS7_SB_S5_SD_S8_SB_S5_SD_SB_PS3_PS7_21rocsparse_index_base_SG_SG_SG_bbb
; %bb.0:
	s_clause 0x6
	s_load_b32 s12, s[0:1], 0x98
	s_load_b256 s[16:23], s[0:1], 0x60
	s_load_b256 s[4:11], s[0:1], 0x40
	s_load_b128 s[40:43], s[0:1], 0x8
	s_load_b256 s[24:31], s[0:1], 0x20
	s_load_b64 s[34:35], s[0:1], 0x80
	s_load_b128 s[36:39], s[0:1], 0x88
	s_mov_b32 s3, 0
	s_mov_b32 s13, 0
	s_waitcnt lgkmcnt(0)
	s_bitcmp1_b32 s12, 0
	s_cselect_b32 s44, -1, 0
	s_bitcmp1_b32 s12, 16
	s_cselect_b32 s2, -1, 0
	s_delay_alu instid0(SALU_CYCLE_1) | instskip(SKIP_2) | instid1(VALU_DEP_1)
	s_xor_b32 s14, s2, -1
	s_bitcmp0_b32 s12, 0
	v_cndmask_b32_e64 v1, 0, 1, s14
	v_cmp_ne_u32_e32 vcc_lo, 1, v1
	s_cbranch_scc1 .LBB227_5
; %bb.1:
	s_load_b64 s[2:3], s[0:1], 0x18
	s_and_b32 vcc_lo, exec_lo, vcc_lo
	s_waitcnt lgkmcnt(0)
	s_mov_b32 s13, s2
	s_cbranch_vccnz .LBB227_3
; %bb.2:
	s_load_b32 s13, s[2:3], 0x0
.LBB227_3:
	s_and_not1_b32 vcc_lo, exec_lo, s14
	s_cbranch_vccnz .LBB227_5
; %bb.4:
	s_load_b32 s3, s[2:3], 0x4
.LBB227_5:
	s_bitcmp1_b32 s12, 8
	s_cselect_b32 s14, -1, 0
	s_bfe_u32 s2, s12, 0x10008
	s_mov_b32 s12, 0
	s_cmp_eq_u32 s2, 0
	s_mov_b32 s2, 0
	s_cbranch_scc1 .LBB227_11
; %bb.6:
	v_cmp_ne_u32_e32 vcc_lo, 1, v1
	s_mov_b32 s2, s8
	s_cbranch_vccnz .LBB227_8
; %bb.7:
	s_load_b32 s2, s[8:9], 0x0
.LBB227_8:
	v_cmp_ne_u32_e32 vcc_lo, 1, v1
	s_cbranch_vccnz .LBB227_10
; %bb.9:
	s_load_b32 s9, s[8:9], 0x4
.LBB227_10:
	s_waitcnt lgkmcnt(0)
	s_mov_b32 s12, s9
.LBB227_11:
	s_load_b32 s33, s[0:1], 0x0
	v_lshl_add_u32 v7, v0, 2, 0
	v_lshlrev_b32_e32 v1, 3, v0
	v_or_b32_e32 v8, 0xfffffc00, v0
	s_mov_b32 s0, 0
	s_delay_alu instid0(VALU_DEP_3) | instskip(NEXT) | instid1(VALU_DEP_3)
	v_mov_b32_e32 v2, v7
	v_add3_u32 v9, v1, 0, 0x2000
	v_mov_b32_e32 v1, 0
	v_mov_b32_e32 v3, v8
	s_waitcnt lgkmcnt(0)
	s_delay_alu instid0(VALU_DEP_3)
	v_dual_mov_b32 v5, v9 :: v_dual_mov_b32 v4, s33
.LBB227_12:                             ; =>This Inner Loop Header: Depth=1
	s_delay_alu instid0(VALU_DEP_2) | instskip(NEXT) | instid1(VALU_DEP_1)
	v_add_co_u32 v3, s1, 0x400, v3
	s_xor_b32 s1, s1, -1
	ds_store_b32 v2, v4
	ds_store_2addr_b32 v5, v1, v1 offset1:1
	v_add_nc_u32_e32 v5, 0x2000, v5
	v_add_nc_u32_e32 v2, 0x1000, v2
	s_and_b32 s1, exec_lo, s1
	s_delay_alu instid0(SALU_CYCLE_1) | instskip(NEXT) | instid1(SALU_CYCLE_1)
	s_or_b32 s0, s1, s0
	s_and_not1_b32 exec_lo, exec_lo, s0
	s_cbranch_execnz .LBB227_12
; %bb.13:
	s_or_b32 exec_lo, exec_lo, s0
	s_waitcnt lgkmcnt(0)
	s_barrier
	buffer_gl0_inv
	s_load_b32 s0, s[40:41], 0x0
	s_mov_b32 s1, 0
	s_waitcnt lgkmcnt(0)
	s_add_i32 s0, s0, s15
	s_delay_alu instid0(SALU_CYCLE_1) | instskip(NEXT) | instid1(SALU_CYCLE_1)
	s_lshl_b64 s[0:1], s[0:1], 2
	s_add_u32 s0, s42, s0
	s_addc_u32 s1, s43, s1
	s_and_b32 vcc_lo, exec_lo, s44
	s_load_b32 s40, s[0:1], 0x0
	s_cbranch_vccz .LBB227_33
; %bb.14:
	s_waitcnt lgkmcnt(0)
	s_ashr_i32 s41, s40, 31
	v_lshrrev_b32_e32 v1, 5, v0
	s_lshl_b64 s[0:1], s[40:41], 3
	s_mov_b32 s8, exec_lo
	s_add_u32 s0, s24, s0
	s_addc_u32 s1, s25, s1
	s_load_b128 s[44:47], s[0:1], 0x0
	v_sub_co_u32 v1, s0, v1, s36
	s_delay_alu instid0(VALU_DEP_1) | instskip(SKIP_1) | instid1(VALU_DEP_2)
	v_sub_co_ci_u32_e64 v2, null, 0, 0, s0
	s_waitcnt lgkmcnt(0)
	v_add_co_u32 v1, vcc_lo, s44, v1
	s_delay_alu instid0(VALU_DEP_2)
	v_add_co_ci_u32_e32 v2, vcc_lo, s45, v2, vcc_lo
	s_sub_u32 s0, s46, s36
	s_subb_u32 s1, s47, 0
	s_delay_alu instid0(VALU_DEP_1) | instid1(SALU_CYCLE_1)
	v_cmpx_gt_i64_e64 s[0:1], v[1:2]
	s_cbranch_execz .LBB227_32
; %bb.15:
	v_and_b32_e32 v3, 31, v0
	s_mov_b32 s15, s37
	s_delay_alu instid0(VALU_DEP_1) | instskip(NEXT) | instid1(VALU_DEP_1)
	v_sub_co_u32 v10, s9, v3, s37
	v_sub_co_ci_u32_e64 v11, null, 0, 0, s9
	s_mov_b32 s9, 0
	s_branch .LBB227_17
.LBB227_16:                             ;   in Loop: Header=BB227_17 Depth=1
	s_or_b32 exec_lo, exec_lo, s24
	v_add_co_u32 v1, vcc_lo, v1, 32
	v_add_co_ci_u32_e32 v2, vcc_lo, 0, v2, vcc_lo
	s_delay_alu instid0(VALU_DEP_1) | instskip(SKIP_1) | instid1(SALU_CYCLE_1)
	v_cmp_le_i64_e32 vcc_lo, s[0:1], v[1:2]
	s_or_b32 s9, vcc_lo, s9
	s_and_not1_b32 exec_lo, exec_lo, s9
	s_cbranch_execz .LBB227_32
.LBB227_17:                             ; =>This Loop Header: Depth=1
                                        ;     Child Loop BB227_20 Depth 2
                                        ;       Child Loop BB227_22 Depth 3
	v_lshlrev_b64 v[3:4], 2, v[1:2]
	s_mov_b32 s24, exec_lo
	s_delay_alu instid0(VALU_DEP_1) | instskip(NEXT) | instid1(VALU_DEP_2)
	v_add_co_u32 v3, vcc_lo, s26, v3
	v_add_co_ci_u32_e32 v4, vcc_lo, s27, v4, vcc_lo
	global_load_b32 v3, v[3:4], off
	s_waitcnt vmcnt(0)
	v_subrev_nc_u32_e32 v3, s36, v3
	s_delay_alu instid0(VALU_DEP_1) | instskip(NEXT) | instid1(VALU_DEP_1)
	v_ashrrev_i32_e32 v4, 31, v3
	v_lshlrev_b64 v[3:4], 3, v[3:4]
	s_delay_alu instid0(VALU_DEP_1) | instskip(NEXT) | instid1(VALU_DEP_2)
	v_add_co_u32 v3, vcc_lo, s30, v3
	v_add_co_ci_u32_e32 v4, vcc_lo, s31, v4, vcc_lo
	global_load_b128 v[12:15], v[3:4], off
	s_waitcnt vmcnt(0)
	v_sub_co_u32 v3, vcc_lo, v14, s15
	v_subrev_co_ci_u32_e32 v4, vcc_lo, 0, v15, vcc_lo
	v_add_co_u32 v5, vcc_lo, v12, v10
	v_add_co_ci_u32_e32 v6, vcc_lo, v13, v11, vcc_lo
	s_delay_alu instid0(VALU_DEP_1)
	v_cmpx_lt_i64_e64 v[5:6], v[3:4]
	s_cbranch_execz .LBB227_16
; %bb.18:                               ;   in Loop: Header=BB227_17 Depth=1
	v_lshlrev_b64 v[12:13], 3, v[1:2]
	s_mov_b32 s25, 0
	s_delay_alu instid0(VALU_DEP_1) | instskip(NEXT) | instid1(VALU_DEP_2)
	v_add_co_u32 v12, vcc_lo, s28, v12
	v_add_co_ci_u32_e32 v13, vcc_lo, s29, v13, vcc_lo
	global_load_b64 v[14:15], v[12:13], off
	s_waitcnt vmcnt(0)
	v_mul_f32_e64 v12, v15, -s3
	s_delay_alu instid0(VALU_DEP_1) | instskip(NEXT) | instid1(VALU_DEP_1)
	v_dual_mul_f32 v13, s13, v15 :: v_dual_fmac_f32 v12, s13, v14
	v_fmac_f32_e32 v13, s3, v14
	s_branch .LBB227_20
.LBB227_19:                             ;   in Loop: Header=BB227_20 Depth=2
	s_or_b32 exec_lo, exec_lo, s41
	v_add_co_u32 v5, vcc_lo, v5, 32
	v_add_co_ci_u32_e32 v6, vcc_lo, 0, v6, vcc_lo
	s_delay_alu instid0(VALU_DEP_1) | instskip(SKIP_1) | instid1(SALU_CYCLE_1)
	v_cmp_ge_i64_e32 vcc_lo, v[5:6], v[3:4]
	s_or_b32 s25, vcc_lo, s25
	s_and_not1_b32 exec_lo, exec_lo, s25
	s_cbranch_execz .LBB227_16
.LBB227_20:                             ;   Parent Loop BB227_17 Depth=1
                                        ; =>  This Loop Header: Depth=2
                                        ;       Child Loop BB227_22 Depth 3
	v_lshlrev_b64 v[14:15], 2, v[5:6]
	v_lshlrev_b64 v[16:17], 3, v[5:6]
	s_mov_b32 s41, 0
	s_delay_alu instid0(VALU_DEP_2) | instskip(NEXT) | instid1(VALU_DEP_3)
	v_add_co_u32 v14, vcc_lo, s4, v14
	v_add_co_ci_u32_e32 v15, vcc_lo, s5, v15, vcc_lo
	global_load_b32 v19, v[14:15], off
	v_add_co_u32 v14, vcc_lo, s6, v16
	v_add_co_ci_u32_e32 v15, vcc_lo, s7, v17, vcc_lo
	global_load_b64 v[17:18], v[14:15], off
	s_waitcnt vmcnt(1)
	v_subrev_nc_u32_e32 v14, s37, v19
	s_delay_alu instid0(VALU_DEP_1) | instskip(SKIP_3) | instid1(VALU_DEP_2)
	v_mul_lo_u32 v19, 0x89, v14
	s_waitcnt vmcnt(0)
	v_mul_f32_e64 v15, v18, -v13
	v_mul_f32_e32 v16, v12, v18
	v_fmac_f32_e32 v15, v12, v17
	s_delay_alu instid0(VALU_DEP_2)
	v_dual_fmac_f32 v16, v13, v17 :: v_dual_and_b32 v17, 0x7ff, v19
	s_branch .LBB227_22
.LBB227_21:                             ;   in Loop: Header=BB227_22 Depth=3
	s_or_b32 exec_lo, exec_lo, s42
	s_xor_b32 s42, s43, -1
	s_delay_alu instid0(SALU_CYCLE_1) | instskip(NEXT) | instid1(SALU_CYCLE_1)
	s_and_b32 s42, exec_lo, s42
	s_or_b32 s41, s42, s41
	s_delay_alu instid0(SALU_CYCLE_1)
	s_and_not1_b32 exec_lo, exec_lo, s41
	s_cbranch_execz .LBB227_19
.LBB227_22:                             ;   Parent Loop BB227_17 Depth=1
                                        ;     Parent Loop BB227_20 Depth=2
                                        ; =>    This Inner Loop Header: Depth=3
	s_delay_alu instid0(VALU_DEP_1)
	v_lshl_add_u32 v18, v17, 2, 0
	s_mov_b32 s42, exec_lo
                                        ; implicit-def: $sgpr43
	ds_load_b32 v19, v18
	s_waitcnt lgkmcnt(0)
	v_cmpx_ne_u32_e64 v19, v14
	s_xor_b32 s42, exec_lo, s42
	s_cbranch_execz .LBB227_30
; %bb.23:                               ;   in Loop: Header=BB227_22 Depth=3
	s_mov_b32 s44, exec_lo
                                        ; implicit-def: $sgpr43
	v_cmpx_ne_u32_e64 s33, v19
	s_xor_b32 s44, exec_lo, s44
; %bb.24:                               ;   in Loop: Header=BB227_22 Depth=3
	v_add_nc_u32_e32 v17, 1, v17
	s_mov_b32 s43, -1
                                        ; implicit-def: $vgpr18
	s_delay_alu instid0(VALU_DEP_1)
	v_and_b32_e32 v17, 0x7ff, v17
; %bb.25:                               ;   in Loop: Header=BB227_22 Depth=3
	s_and_not1_saveexec_b32 s44, s44
	s_cbranch_execz .LBB227_29
; %bb.26:                               ;   in Loop: Header=BB227_22 Depth=3
	v_mov_b32_e32 v19, s33
	s_mov_b32 s45, -1
	s_mov_b32 s46, exec_lo
	ds_cmpstore_rtn_b32 v19, v18, v14, v19
	s_waitcnt lgkmcnt(0)
	v_cmpx_eq_u32_e64 s33, v19
	s_cbranch_execz .LBB227_28
; %bb.27:                               ;   in Loop: Header=BB227_22 Depth=3
	v_lshl_add_u32 v18, v17, 2, v18
	s_xor_b32 s45, exec_lo, -1
	ds_add_f32 v18, v15 offset:8192
	ds_add_f32 v18, v16 offset:8196
.LBB227_28:                             ;   in Loop: Header=BB227_22 Depth=3
	s_or_b32 exec_lo, exec_lo, s46
	s_delay_alu instid0(SALU_CYCLE_1) | instskip(SKIP_1) | instid1(SALU_CYCLE_1)
	s_and_not1_b32 s43, s43, exec_lo
	s_and_b32 s45, s45, exec_lo
	s_or_b32 s43, s43, s45
.LBB227_29:                             ;   in Loop: Header=BB227_22 Depth=3
	s_or_b32 exec_lo, exec_lo, s44
	s_delay_alu instid0(SALU_CYCLE_1)
	s_and_b32 s43, s43, exec_lo
                                        ; implicit-def: $vgpr18
.LBB227_30:                             ;   in Loop: Header=BB227_22 Depth=3
	s_and_not1_saveexec_b32 s42, s42
	s_cbranch_execz .LBB227_21
; %bb.31:                               ;   in Loop: Header=BB227_22 Depth=3
	v_lshl_add_u32 v18, v17, 2, v18
	s_and_not1_b32 s43, s43, exec_lo
	ds_add_f32 v18, v15 offset:8192
	ds_add_f32 v18, v16 offset:8196
	s_branch .LBB227_21
.LBB227_32:
	s_or_b32 exec_lo, exec_lo, s8
.LBB227_33:
	s_delay_alu instid0(SALU_CYCLE_1)
	s_and_not1_b32 vcc_lo, exec_lo, s14
	s_cbranch_vccnz .LBB227_36
; %bb.34:
	s_waitcnt lgkmcnt(0)
	s_ashr_i32 s41, s40, 31
	s_mov_b32 s3, exec_lo
	s_lshl_b64 s[0:1], s[40:41], 3
	s_delay_alu instid0(SALU_CYCLE_1) | instskip(SKIP_3) | instid1(VALU_DEP_1)
	s_add_u32 s0, s10, s0
	s_addc_u32 s1, s11, s1
	s_load_b128 s[4:7], s[0:1], 0x0
	v_sub_co_u32 v1, s0, v0, s39
	v_sub_co_ci_u32_e64 v2, null, 0, 0, s0
	s_waitcnt lgkmcnt(0)
	s_delay_alu instid0(VALU_DEP_2) | instskip(NEXT) | instid1(VALU_DEP_2)
	v_add_co_u32 v1, vcc_lo, s4, v1
	v_add_co_ci_u32_e32 v2, vcc_lo, s5, v2, vcc_lo
	s_sub_u32 s0, s6, s39
	s_subb_u32 s1, s7, 0
	s_mov_b32 s4, 0
	s_delay_alu instid0(VALU_DEP_1)
	v_cmpx_gt_i64_e64 s[0:1], v[1:2]
	s_cbranch_execnz .LBB227_73
.LBB227_35:
	s_or_b32 exec_lo, exec_lo, s3
.LBB227_36:
	v_mbcnt_lo_u32_b32 v1, -1, 0
	v_lshrrev_b32_e32 v2, 4, v0
	v_cmp_eq_u32_e32 vcc_lo, 0x3ff, v0
	v_cmp_lt_u32_e64 s0, 63, v0
	v_cmp_lt_u32_e64 s1, 0x7f, v0
	v_xor_b32_e32 v1, 63, v1
	v_dual_mov_b32 v6, 0 :: v_dual_and_b32 v3, 60, v2
	v_cmp_lt_u32_e64 s2, 0xbf, v0
	v_cmp_lt_u32_e64 s3, 0xff, v0
	s_delay_alu instid0(VALU_DEP_4) | instskip(NEXT) | instid1(VALU_DEP_4)
	v_lshrrev_b64 v[1:2], v1, -1
	v_dual_mov_b32 v5, 0 :: v_dual_add_nc_u32 v4, 0, v3
	v_cmp_lt_u32_e64 s4, 0x13f, v0
	v_cmp_lt_u32_e64 s5, 0x17f, v0
	;; [unrolled: 1-line block ×11, first 2 shown]
	s_mov_b32 s16, 0
	s_waitcnt lgkmcnt(0)
	s_barrier
	buffer_gl0_inv
	s_branch .LBB227_38
.LBB227_37:                             ;   in Loop: Header=BB227_38 Depth=1
	s_or_b32 exec_lo, exec_lo, s15
	s_waitcnt lgkmcnt(0)
	s_barrier
	buffer_gl0_inv
	ds_load_b32 v2, v5 offset:24636
	v_add_co_u32 v8, s15, 0x400, v8
	s_delay_alu instid0(VALU_DEP_1) | instskip(SKIP_3) | instid1(SALU_CYCLE_1)
	s_xor_b32 s15, s15, -1
	v_add_nc_u32_e32 v9, 0x2000, v9
	v_add_nc_u32_e32 v7, 0x1000, v7
	s_and_b32 s15, exec_lo, s15
	s_or_b32 s16, s15, s16
	s_waitcnt lgkmcnt(0)
	v_add_nc_u32_e32 v6, v2, v6
	s_and_not1_b32 exec_lo, exec_lo, s16
	s_cbranch_execz .LBB227_85
.LBB227_38:                             ; =>This Inner Loop Header: Depth=1
	ds_load_b32 v10, v7
	ds_load_2addr_b32 v[2:3], v9 offset1:1
	s_waitcnt lgkmcnt(0)
	s_barrier
	buffer_gl0_inv
	v_cmp_gt_i32_e64 s15, s33, v10
	s_delay_alu instid0(VALU_DEP_1) | instskip(NEXT) | instid1(SALU_CYCLE_1)
	s_bcnt1_i32_b32 s17, s15
	v_dual_mov_b32 v12, s17 :: v_dual_and_b32 v11, s15, v1
	s_delay_alu instid0(VALU_DEP_1)
	v_bcnt_u32_b32 v11, v11, 0
	ds_store_b32 v4, v12 offset:24576
	s_waitcnt lgkmcnt(0)
	s_barrier
	buffer_gl0_inv
	s_and_saveexec_b32 s17, s0
	s_cbranch_execnz .LBB227_55
; %bb.39:                               ;   in Loop: Header=BB227_38 Depth=1
	s_or_b32 exec_lo, exec_lo, s17
	s_and_saveexec_b32 s17, s1
	s_cbranch_execnz .LBB227_56
.LBB227_40:                             ;   in Loop: Header=BB227_38 Depth=1
	s_or_b32 exec_lo, exec_lo, s17
	s_and_saveexec_b32 s17, s2
	s_cbranch_execnz .LBB227_57
.LBB227_41:                             ;   in Loop: Header=BB227_38 Depth=1
	s_or_b32 exec_lo, exec_lo, s17
	s_and_saveexec_b32 s17, s3
	s_cbranch_execnz .LBB227_58
.LBB227_42:                             ;   in Loop: Header=BB227_38 Depth=1
	s_or_b32 exec_lo, exec_lo, s17
	s_and_saveexec_b32 s17, s4
	s_cbranch_execnz .LBB227_59
.LBB227_43:                             ;   in Loop: Header=BB227_38 Depth=1
	s_or_b32 exec_lo, exec_lo, s17
	s_and_saveexec_b32 s17, s5
	s_cbranch_execnz .LBB227_60
.LBB227_44:                             ;   in Loop: Header=BB227_38 Depth=1
	s_or_b32 exec_lo, exec_lo, s17
	s_and_saveexec_b32 s17, s6
	s_cbranch_execnz .LBB227_61
.LBB227_45:                             ;   in Loop: Header=BB227_38 Depth=1
	s_or_b32 exec_lo, exec_lo, s17
	s_and_saveexec_b32 s17, s7
	s_cbranch_execnz .LBB227_62
.LBB227_46:                             ;   in Loop: Header=BB227_38 Depth=1
	s_or_b32 exec_lo, exec_lo, s17
	s_and_saveexec_b32 s17, s8
	s_cbranch_execnz .LBB227_63
.LBB227_47:                             ;   in Loop: Header=BB227_38 Depth=1
	s_or_b32 exec_lo, exec_lo, s17
	s_and_saveexec_b32 s17, s9
	s_cbranch_execnz .LBB227_64
.LBB227_48:                             ;   in Loop: Header=BB227_38 Depth=1
	s_or_b32 exec_lo, exec_lo, s17
	s_and_saveexec_b32 s17, s10
	s_cbranch_execnz .LBB227_65
.LBB227_49:                             ;   in Loop: Header=BB227_38 Depth=1
	s_or_b32 exec_lo, exec_lo, s17
	s_and_saveexec_b32 s17, s11
	s_cbranch_execnz .LBB227_66
.LBB227_50:                             ;   in Loop: Header=BB227_38 Depth=1
	s_or_b32 exec_lo, exec_lo, s17
	s_and_saveexec_b32 s17, s12
	s_cbranch_execnz .LBB227_67
.LBB227_51:                             ;   in Loop: Header=BB227_38 Depth=1
	s_or_b32 exec_lo, exec_lo, s17
	s_and_saveexec_b32 s17, s13
	s_cbranch_execnz .LBB227_68
.LBB227_52:                             ;   in Loop: Header=BB227_38 Depth=1
	s_or_b32 exec_lo, exec_lo, s17
	s_and_saveexec_b32 s17, s14
	s_cbranch_execnz .LBB227_69
.LBB227_53:                             ;   in Loop: Header=BB227_38 Depth=1
	s_or_b32 exec_lo, exec_lo, s17
	s_and_saveexec_b32 s17, s15
	s_cbranch_execnz .LBB227_70
.LBB227_54:                             ;   in Loop: Header=BB227_38 Depth=1
	s_or_b32 exec_lo, exec_lo, s17
	s_and_saveexec_b32 s15, vcc_lo
	s_cbranch_execz .LBB227_37
	s_branch .LBB227_71
.LBB227_55:                             ;   in Loop: Header=BB227_38 Depth=1
	ds_load_b32 v12, v5 offset:24576
	s_waitcnt lgkmcnt(0)
	v_add_nc_u32_e32 v11, v12, v11
	s_or_b32 exec_lo, exec_lo, s17
	s_and_saveexec_b32 s17, s1
	s_cbranch_execz .LBB227_40
.LBB227_56:                             ;   in Loop: Header=BB227_38 Depth=1
	ds_load_b32 v12, v5 offset:24580
	s_waitcnt lgkmcnt(0)
	v_add_nc_u32_e32 v11, v12, v11
	s_or_b32 exec_lo, exec_lo, s17
	s_and_saveexec_b32 s17, s2
	s_cbranch_execz .LBB227_41
.LBB227_57:                             ;   in Loop: Header=BB227_38 Depth=1
	ds_load_b32 v12, v5 offset:24584
	s_waitcnt lgkmcnt(0)
	v_add_nc_u32_e32 v11, v12, v11
	s_or_b32 exec_lo, exec_lo, s17
	s_and_saveexec_b32 s17, s3
	s_cbranch_execz .LBB227_42
.LBB227_58:                             ;   in Loop: Header=BB227_38 Depth=1
	ds_load_b32 v12, v5 offset:24588
	s_waitcnt lgkmcnt(0)
	v_add_nc_u32_e32 v11, v12, v11
	s_or_b32 exec_lo, exec_lo, s17
	s_and_saveexec_b32 s17, s4
	s_cbranch_execz .LBB227_43
.LBB227_59:                             ;   in Loop: Header=BB227_38 Depth=1
	ds_load_b32 v12, v5 offset:24592
	s_waitcnt lgkmcnt(0)
	v_add_nc_u32_e32 v11, v12, v11
	s_or_b32 exec_lo, exec_lo, s17
	s_and_saveexec_b32 s17, s5
	s_cbranch_execz .LBB227_44
.LBB227_60:                             ;   in Loop: Header=BB227_38 Depth=1
	ds_load_b32 v12, v5 offset:24596
	s_waitcnt lgkmcnt(0)
	v_add_nc_u32_e32 v11, v12, v11
	s_or_b32 exec_lo, exec_lo, s17
	s_and_saveexec_b32 s17, s6
	s_cbranch_execz .LBB227_45
.LBB227_61:                             ;   in Loop: Header=BB227_38 Depth=1
	ds_load_b32 v12, v5 offset:24600
	s_waitcnt lgkmcnt(0)
	v_add_nc_u32_e32 v11, v12, v11
	s_or_b32 exec_lo, exec_lo, s17
	s_and_saveexec_b32 s17, s7
	s_cbranch_execz .LBB227_46
.LBB227_62:                             ;   in Loop: Header=BB227_38 Depth=1
	ds_load_b32 v12, v5 offset:24604
	s_waitcnt lgkmcnt(0)
	v_add_nc_u32_e32 v11, v12, v11
	s_or_b32 exec_lo, exec_lo, s17
	s_and_saveexec_b32 s17, s8
	s_cbranch_execz .LBB227_47
.LBB227_63:                             ;   in Loop: Header=BB227_38 Depth=1
	ds_load_b32 v12, v5 offset:24608
	s_waitcnt lgkmcnt(0)
	v_add_nc_u32_e32 v11, v12, v11
	s_or_b32 exec_lo, exec_lo, s17
	s_and_saveexec_b32 s17, s9
	s_cbranch_execz .LBB227_48
.LBB227_64:                             ;   in Loop: Header=BB227_38 Depth=1
	ds_load_b32 v12, v5 offset:24612
	s_waitcnt lgkmcnt(0)
	v_add_nc_u32_e32 v11, v12, v11
	s_or_b32 exec_lo, exec_lo, s17
	s_and_saveexec_b32 s17, s10
	s_cbranch_execz .LBB227_49
.LBB227_65:                             ;   in Loop: Header=BB227_38 Depth=1
	ds_load_b32 v12, v5 offset:24616
	s_waitcnt lgkmcnt(0)
	v_add_nc_u32_e32 v11, v12, v11
	s_or_b32 exec_lo, exec_lo, s17
	s_and_saveexec_b32 s17, s11
	s_cbranch_execz .LBB227_50
.LBB227_66:                             ;   in Loop: Header=BB227_38 Depth=1
	ds_load_b32 v12, v5 offset:24620
	s_waitcnt lgkmcnt(0)
	v_add_nc_u32_e32 v11, v12, v11
	s_or_b32 exec_lo, exec_lo, s17
	s_and_saveexec_b32 s17, s12
	s_cbranch_execz .LBB227_51
.LBB227_67:                             ;   in Loop: Header=BB227_38 Depth=1
	ds_load_b32 v12, v5 offset:24624
	s_waitcnt lgkmcnt(0)
	v_add_nc_u32_e32 v11, v12, v11
	s_or_b32 exec_lo, exec_lo, s17
	s_and_saveexec_b32 s17, s13
	s_cbranch_execz .LBB227_52
.LBB227_68:                             ;   in Loop: Header=BB227_38 Depth=1
	ds_load_b32 v12, v5 offset:24628
	s_waitcnt lgkmcnt(0)
	v_add_nc_u32_e32 v11, v12, v11
	s_or_b32 exec_lo, exec_lo, s17
	s_and_saveexec_b32 s17, s14
	s_cbranch_execz .LBB227_53
.LBB227_69:                             ;   in Loop: Header=BB227_38 Depth=1
	ds_load_b32 v12, v5 offset:24632
	s_waitcnt lgkmcnt(0)
	v_add_nc_u32_e32 v11, v12, v11
	s_or_b32 exec_lo, exec_lo, s17
	s_and_saveexec_b32 s17, s15
	s_cbranch_execz .LBB227_54
.LBB227_70:                             ;   in Loop: Header=BB227_38 Depth=1
	s_delay_alu instid0(VALU_DEP_1) | instskip(NEXT) | instid1(VALU_DEP_1)
	v_add3_u32 v12, v6, -1, v11
	v_lshlrev_b32_e32 v13, 3, v12
	v_lshl_add_u32 v12, v12, 2, 0
	s_delay_alu instid0(VALU_DEP_2)
	v_add3_u32 v13, 0, v13, 0x2000
	ds_store_b32 v12, v10
	ds_store_2addr_b32 v13, v2, v3 offset1:1
	s_or_b32 exec_lo, exec_lo, s17
	s_and_saveexec_b32 s15, vcc_lo
	s_cbranch_execz .LBB227_37
.LBB227_71:                             ;   in Loop: Header=BB227_38 Depth=1
	ds_store_b32 v5, v11 offset:24636
	s_branch .LBB227_37
.LBB227_72:                             ;   in Loop: Header=BB227_73 Depth=1
	s_or_b32 exec_lo, exec_lo, s5
	v_add_co_u32 v1, vcc_lo, 0x400, v1
	v_add_co_ci_u32_e32 v2, vcc_lo, 0, v2, vcc_lo
	s_delay_alu instid0(VALU_DEP_1) | instskip(SKIP_1) | instid1(SALU_CYCLE_1)
	v_cmp_le_i64_e32 vcc_lo, s[0:1], v[1:2]
	s_or_b32 s4, vcc_lo, s4
	s_and_not1_b32 exec_lo, exec_lo, s4
	s_cbranch_execz .LBB227_35
.LBB227_73:                             ; =>This Loop Header: Depth=1
                                        ;     Child Loop BB227_75 Depth 2
	v_lshlrev_b64 v[3:4], 2, v[1:2]
	v_lshlrev_b64 v[5:6], 3, v[1:2]
	s_mov_b32 s5, 0
	s_delay_alu instid0(VALU_DEP_2) | instskip(NEXT) | instid1(VALU_DEP_3)
	v_add_co_u32 v3, vcc_lo, s16, v3
	v_add_co_ci_u32_e32 v4, vcc_lo, s17, v4, vcc_lo
	global_load_b32 v12, v[3:4], off
	v_add_co_u32 v3, vcc_lo, s18, v5
	v_add_co_ci_u32_e32 v4, vcc_lo, s19, v6, vcc_lo
	global_load_b64 v[10:11], v[3:4], off
	s_waitcnt vmcnt(1)
	v_subrev_nc_u32_e32 v3, s39, v12
	s_delay_alu instid0(VALU_DEP_1) | instskip(SKIP_2) | instid1(VALU_DEP_1)
	v_mul_lo_u32 v6, 0x89, v3
	s_waitcnt vmcnt(0)
	v_mul_f32_e64 v4, v11, -s12
	v_dual_mul_f32 v5, s2, v11 :: v_dual_fmac_f32 v4, s2, v10
	s_delay_alu instid0(VALU_DEP_1) | instskip(NEXT) | instid1(VALU_DEP_4)
	v_fmac_f32_e32 v5, s12, v10
	v_and_b32_e32 v6, 0x7ff, v6
	s_branch .LBB227_75
.LBB227_74:                             ;   in Loop: Header=BB227_75 Depth=2
	s_or_b32 exec_lo, exec_lo, s6
	s_xor_b32 s6, s7, -1
	s_delay_alu instid0(SALU_CYCLE_1) | instskip(NEXT) | instid1(SALU_CYCLE_1)
	s_and_b32 s6, exec_lo, s6
	s_or_b32 s5, s6, s5
	s_delay_alu instid0(SALU_CYCLE_1)
	s_and_not1_b32 exec_lo, exec_lo, s5
	s_cbranch_execz .LBB227_72
.LBB227_75:                             ;   Parent Loop BB227_73 Depth=1
                                        ; =>  This Inner Loop Header: Depth=2
	s_delay_alu instid0(VALU_DEP_1)
	v_lshl_add_u32 v10, v6, 2, 0
	s_mov_b32 s6, exec_lo
                                        ; implicit-def: $sgpr7
	ds_load_b32 v11, v10
	s_waitcnt lgkmcnt(0)
	v_cmpx_ne_u32_e64 v11, v3
	s_xor_b32 s6, exec_lo, s6
	s_cbranch_execz .LBB227_83
; %bb.76:                               ;   in Loop: Header=BB227_75 Depth=2
	s_mov_b32 s8, exec_lo
                                        ; implicit-def: $sgpr7
	v_cmpx_ne_u32_e64 s33, v11
	s_xor_b32 s8, exec_lo, s8
; %bb.77:                               ;   in Loop: Header=BB227_75 Depth=2
	v_add_nc_u32_e32 v6, 1, v6
	s_mov_b32 s7, -1
                                        ; implicit-def: $vgpr10
	s_delay_alu instid0(VALU_DEP_1)
	v_and_b32_e32 v6, 0x7ff, v6
; %bb.78:                               ;   in Loop: Header=BB227_75 Depth=2
	s_and_not1_saveexec_b32 s8, s8
	s_cbranch_execz .LBB227_82
; %bb.79:                               ;   in Loop: Header=BB227_75 Depth=2
	v_mov_b32_e32 v11, s33
	s_mov_b32 s9, -1
	s_mov_b32 s10, exec_lo
	ds_cmpstore_rtn_b32 v11, v10, v3, v11
	s_waitcnt lgkmcnt(0)
	v_cmpx_eq_u32_e64 s33, v11
	s_cbranch_execz .LBB227_81
; %bb.80:                               ;   in Loop: Header=BB227_75 Depth=2
	v_lshl_add_u32 v10, v6, 2, v10
	s_xor_b32 s9, exec_lo, -1
	ds_add_f32 v10, v4 offset:8192
	ds_add_f32 v10, v5 offset:8196
.LBB227_81:                             ;   in Loop: Header=BB227_75 Depth=2
	s_or_b32 exec_lo, exec_lo, s10
	s_delay_alu instid0(SALU_CYCLE_1) | instskip(SKIP_1) | instid1(SALU_CYCLE_1)
	s_and_not1_b32 s7, s7, exec_lo
	s_and_b32 s9, s9, exec_lo
	s_or_b32 s7, s7, s9
.LBB227_82:                             ;   in Loop: Header=BB227_75 Depth=2
	s_or_b32 exec_lo, exec_lo, s8
	s_delay_alu instid0(SALU_CYCLE_1)
	s_and_b32 s7, s7, exec_lo
                                        ; implicit-def: $vgpr10
.LBB227_83:                             ;   in Loop: Header=BB227_75 Depth=2
	s_and_not1_saveexec_b32 s6, s6
	s_cbranch_execz .LBB227_74
; %bb.84:                               ;   in Loop: Header=BB227_75 Depth=2
	v_lshl_add_u32 v10, v6, 2, v10
	s_and_not1_b32 s7, s7, exec_lo
	ds_add_f32 v10, v4 offset:8192
	ds_add_f32 v10, v5 offset:8196
	s_branch .LBB227_74
.LBB227_85:
	s_or_b32 exec_lo, exec_lo, s16
	s_ashr_i32 s41, s40, 31
	s_mov_b32 s4, exec_lo
	s_lshl_b64 s[0:1], s[40:41], 3
	s_delay_alu instid0(SALU_CYCLE_1) | instskip(SKIP_4) | instid1(SALU_CYCLE_1)
	s_add_u32 s0, s20, s0
	s_addc_u32 s1, s21, s1
	s_load_b128 s[0:3], s[0:1], 0x0
	s_waitcnt lgkmcnt(0)
	s_sub_i32 s3, s2, s0
	v_cmpx_gt_i32_e64 s3, v0
	s_cbranch_execz .LBB227_95
; %bb.86:
	s_sub_u32 s4, s0, s38
	s_subb_u32 s5, s1, 0
	s_sub_i32 s0, s0, s2
	s_and_b32 s1, s3, 7
	s_cmp_lt_u32 s0, -7
	s_mov_b32 s8, 0
	s_cselect_b32 s2, -1, 0
	s_and_b32 s6, s3, -8
	s_cmp_lg_u32 s1, 0
	s_cselect_b32 s7, -1, 0
	s_branch .LBB227_88
.LBB227_87:                             ;   in Loop: Header=BB227_88 Depth=1
	s_delay_alu instid0(VALU_DEP_1) | instskip(SKIP_4) | instid1(VALU_DEP_4)
	v_lshlrev_b64 v[6:7], 2, v[3:4]
	v_lshlrev_b64 v[3:4], 3, v[3:4]
	v_add_nc_u32_e32 v0, 0x400, v0
	s_waitcnt lgkmcnt(1)
	v_add_nc_u32_e32 v8, s38, v5
	v_add_co_u32 v5, vcc_lo, s22, v6
	v_add_co_ci_u32_e32 v6, vcc_lo, s23, v7, vcc_lo
	v_cmp_le_i32_e32 vcc_lo, s3, v0
	v_add_co_u32 v3, s0, s34, v3
	s_delay_alu instid0(VALU_DEP_1)
	v_add_co_ci_u32_e64 v4, s0, s35, v4, s0
	s_or_b32 s8, vcc_lo, s8
	global_store_b32 v[5:6], v8, off
	s_waitcnt lgkmcnt(0)
	global_store_b64 v[3:4], v[1:2], off
	s_and_not1_b32 exec_lo, exec_lo, s8
	s_cbranch_execz .LBB227_95
.LBB227_88:                             ; =>This Loop Header: Depth=1
                                        ;     Child Loop BB227_90 Depth 2
                                        ;     Child Loop BB227_94 Depth 2
	v_lshlrev_b32_e32 v1, 2, v0
	v_dual_mov_b32 v3, s4 :: v_dual_mov_b32 v4, s5
	s_and_not1_b32 vcc_lo, exec_lo, s2
	s_mov_b32 s0, 0
	s_delay_alu instid0(VALU_DEP_2) | instskip(NEXT) | instid1(VALU_DEP_1)
	v_add_nc_u32_e32 v2, 0, v1
	v_add3_u32 v1, v2, v1, 0x2000
	ds_load_b32 v5, v2
	ds_load_2addr_b32 v[1:2], v1 offset1:1
	s_cbranch_vccnz .LBB227_92
; %bb.89:                               ;   in Loop: Header=BB227_88 Depth=1
	v_dual_mov_b32 v3, s4 :: v_dual_mov_b32 v4, s5
	s_mov_b32 s9, 0
	s_mov_b32 s10, 0
.LBB227_90:                             ;   Parent Loop BB227_88 Depth=1
                                        ; =>  This Inner Loop Header: Depth=2
	s_delay_alu instid0(SALU_CYCLE_1)
	v_mov_b32_e32 v12, s10
	s_add_i32 s9, s9, 8
	s_add_i32 s10, s10, 32
	s_cmp_eq_u32 s6, s9
	ds_load_2addr_b32 v[6:7], v12 offset1:1
	ds_load_2addr_b32 v[8:9], v12 offset0:2 offset1:3
	ds_load_2addr_b32 v[10:11], v12 offset0:4 offset1:5
	;; [unrolled: 1-line block ×3, first 2 shown]
	s_waitcnt lgkmcnt(3)
	v_cmp_gt_i32_e32 vcc_lo, v5, v6
	v_cndmask_b32_e64 v6, 0, 1, vcc_lo
	v_cmp_gt_i32_e32 vcc_lo, v5, v7
	v_cndmask_b32_e64 v7, 0, 1, vcc_lo
	s_waitcnt lgkmcnt(2)
	v_cmp_gt_i32_e32 vcc_lo, v5, v8
	v_cndmask_b32_e64 v8, 0, 1, vcc_lo
	v_cmp_gt_i32_e32 vcc_lo, v5, v9
	v_cndmask_b32_e64 v9, 0, 1, vcc_lo
	s_waitcnt lgkmcnt(1)
	v_cmp_gt_i32_e32 vcc_lo, v5, v10
	v_cndmask_b32_e64 v10, 0, 1, vcc_lo
	v_add_co_u32 v3, vcc_lo, v3, v6
	v_add_co_ci_u32_e32 v4, vcc_lo, 0, v4, vcc_lo
	v_cmp_gt_i32_e32 vcc_lo, v5, v11
	s_delay_alu instid0(VALU_DEP_3) | instskip(NEXT) | instid1(VALU_DEP_1)
	v_add_co_u32 v3, s0, v3, v7
	v_add_co_ci_u32_e64 v4, s0, 0, v4, s0
	v_cndmask_b32_e64 v6, 0, 1, vcc_lo
	s_delay_alu instid0(VALU_DEP_3) | instskip(NEXT) | instid1(VALU_DEP_3)
	v_add_co_u32 v3, vcc_lo, v3, v8
	v_add_co_ci_u32_e32 v4, vcc_lo, 0, v4, vcc_lo
	s_waitcnt lgkmcnt(0)
	v_cmp_gt_i32_e32 vcc_lo, v5, v12
	s_delay_alu instid0(VALU_DEP_3) | instskip(NEXT) | instid1(VALU_DEP_1)
	v_add_co_u32 v3, s0, v3, v9
	v_add_co_ci_u32_e64 v4, s0, 0, v4, s0
	v_cndmask_b32_e64 v7, 0, 1, vcc_lo
	s_delay_alu instid0(VALU_DEP_3) | instskip(NEXT) | instid1(VALU_DEP_3)
	v_add_co_u32 v3, vcc_lo, v3, v10
	v_add_co_ci_u32_e32 v4, vcc_lo, 0, v4, vcc_lo
	v_cmp_gt_i32_e32 vcc_lo, v5, v13
	s_delay_alu instid0(VALU_DEP_3) | instskip(NEXT) | instid1(VALU_DEP_1)
	v_add_co_u32 v3, s0, v3, v6
	v_add_co_ci_u32_e64 v4, s0, 0, v4, s0
	v_cndmask_b32_e64 v6, 0, 1, vcc_lo
	s_delay_alu instid0(VALU_DEP_3) | instskip(NEXT) | instid1(VALU_DEP_3)
	v_add_co_u32 v3, vcc_lo, v3, v7
	v_add_co_ci_u32_e32 v4, vcc_lo, 0, v4, vcc_lo
	s_delay_alu instid0(VALU_DEP_2) | instskip(NEXT) | instid1(VALU_DEP_2)
	v_add_co_u32 v3, vcc_lo, v3, v6
	v_add_co_ci_u32_e32 v4, vcc_lo, 0, v4, vcc_lo
	s_cbranch_scc0 .LBB227_90
; %bb.91:                               ;   in Loop: Header=BB227_88 Depth=1
	s_mov_b32 s0, s6
.LBB227_92:                             ;   in Loop: Header=BB227_88 Depth=1
	s_and_not1_b32 vcc_lo, exec_lo, s7
	s_cbranch_vccnz .LBB227_87
; %bb.93:                               ;   in Loop: Header=BB227_88 Depth=1
	s_lshl_b32 s0, s0, 2
	s_mov_b32 s9, s1
	s_add_i32 s0, s0, 0
.LBB227_94:                             ;   Parent Loop BB227_88 Depth=1
                                        ; =>  This Inner Loop Header: Depth=2
	s_delay_alu instid0(SALU_CYCLE_1)
	v_mov_b32_e32 v6, s0
	s_add_i32 s9, s9, -1
	s_add_i32 s0, s0, 4
	s_cmp_lg_u32 s9, 0
	ds_load_b32 v6, v6
	s_waitcnt lgkmcnt(0)
	v_cmp_gt_i32_e32 vcc_lo, v5, v6
	v_cndmask_b32_e64 v6, 0, 1, vcc_lo
	s_delay_alu instid0(VALU_DEP_1)
	v_add_co_u32 v3, vcc_lo, v3, v6
	v_add_co_ci_u32_e32 v4, vcc_lo, 0, v4, vcc_lo
	s_cbranch_scc1 .LBB227_94
	s_branch .LBB227_87
.LBB227_95:
	s_nop 0
	s_sendmsg sendmsg(MSG_DEALLOC_VGPRS)
	s_endpgm
	.section	.rodata,"a",@progbits
	.p2align	6, 0x0
	.amdhsa_kernel _ZN9rocsparseL26csrgemm_fill_block_per_rowILj1024ELj32ELj2048ELj137ELj64Eli21rocsparse_complex_numIfEEEvT5_PKS3_S5_NS_24const_host_device_scalarIT6_EEPKT4_S5_PKS7_SB_S5_SD_S8_SB_S5_SD_SB_PS3_PS7_21rocsparse_index_base_SG_SG_SG_bbb
		.amdhsa_group_segment_fixed_size 0
		.amdhsa_private_segment_fixed_size 0
		.amdhsa_kernarg_size 156
		.amdhsa_user_sgpr_count 15
		.amdhsa_user_sgpr_dispatch_ptr 0
		.amdhsa_user_sgpr_queue_ptr 0
		.amdhsa_user_sgpr_kernarg_segment_ptr 1
		.amdhsa_user_sgpr_dispatch_id 0
		.amdhsa_user_sgpr_private_segment_size 0
		.amdhsa_wavefront_size32 1
		.amdhsa_uses_dynamic_stack 0
		.amdhsa_enable_private_segment 0
		.amdhsa_system_sgpr_workgroup_id_x 1
		.amdhsa_system_sgpr_workgroup_id_y 0
		.amdhsa_system_sgpr_workgroup_id_z 0
		.amdhsa_system_sgpr_workgroup_info 0
		.amdhsa_system_vgpr_workitem_id 0
		.amdhsa_next_free_vgpr 20
		.amdhsa_next_free_sgpr 48
		.amdhsa_reserve_vcc 1
		.amdhsa_float_round_mode_32 0
		.amdhsa_float_round_mode_16_64 0
		.amdhsa_float_denorm_mode_32 3
		.amdhsa_float_denorm_mode_16_64 3
		.amdhsa_dx10_clamp 1
		.amdhsa_ieee_mode 1
		.amdhsa_fp16_overflow 0
		.amdhsa_workgroup_processor_mode 1
		.amdhsa_memory_ordered 1
		.amdhsa_forward_progress 0
		.amdhsa_shared_vgpr_count 0
		.amdhsa_exception_fp_ieee_invalid_op 0
		.amdhsa_exception_fp_denorm_src 0
		.amdhsa_exception_fp_ieee_div_zero 0
		.amdhsa_exception_fp_ieee_overflow 0
		.amdhsa_exception_fp_ieee_underflow 0
		.amdhsa_exception_fp_ieee_inexact 0
		.amdhsa_exception_int_div_zero 0
	.end_amdhsa_kernel
	.section	.text._ZN9rocsparseL26csrgemm_fill_block_per_rowILj1024ELj32ELj2048ELj137ELj64Eli21rocsparse_complex_numIfEEEvT5_PKS3_S5_NS_24const_host_device_scalarIT6_EEPKT4_S5_PKS7_SB_S5_SD_S8_SB_S5_SD_SB_PS3_PS7_21rocsparse_index_base_SG_SG_SG_bbb,"axG",@progbits,_ZN9rocsparseL26csrgemm_fill_block_per_rowILj1024ELj32ELj2048ELj137ELj64Eli21rocsparse_complex_numIfEEEvT5_PKS3_S5_NS_24const_host_device_scalarIT6_EEPKT4_S5_PKS7_SB_S5_SD_S8_SB_S5_SD_SB_PS3_PS7_21rocsparse_index_base_SG_SG_SG_bbb,comdat
.Lfunc_end227:
	.size	_ZN9rocsparseL26csrgemm_fill_block_per_rowILj1024ELj32ELj2048ELj137ELj64Eli21rocsparse_complex_numIfEEEvT5_PKS3_S5_NS_24const_host_device_scalarIT6_EEPKT4_S5_PKS7_SB_S5_SD_S8_SB_S5_SD_SB_PS3_PS7_21rocsparse_index_base_SG_SG_SG_bbb, .Lfunc_end227-_ZN9rocsparseL26csrgemm_fill_block_per_rowILj1024ELj32ELj2048ELj137ELj64Eli21rocsparse_complex_numIfEEEvT5_PKS3_S5_NS_24const_host_device_scalarIT6_EEPKT4_S5_PKS7_SB_S5_SD_S8_SB_S5_SD_SB_PS3_PS7_21rocsparse_index_base_SG_SG_SG_bbb
                                        ; -- End function
	.section	.AMDGPU.csdata,"",@progbits
; Kernel info:
; codeLenInByte = 3616
; NumSgprs: 50
; NumVgprs: 20
; ScratchSize: 0
; MemoryBound: 0
; FloatMode: 240
; IeeeMode: 1
; LDSByteSize: 0 bytes/workgroup (compile time only)
; SGPRBlocks: 6
; VGPRBlocks: 2
; NumSGPRsForWavesPerEU: 50
; NumVGPRsForWavesPerEU: 20
; Occupancy: 16
; WaveLimiterHint : 1
; COMPUTE_PGM_RSRC2:SCRATCH_EN: 0
; COMPUTE_PGM_RSRC2:USER_SGPR: 15
; COMPUTE_PGM_RSRC2:TRAP_HANDLER: 0
; COMPUTE_PGM_RSRC2:TGID_X_EN: 1
; COMPUTE_PGM_RSRC2:TGID_Y_EN: 0
; COMPUTE_PGM_RSRC2:TGID_Z_EN: 0
; COMPUTE_PGM_RSRC2:TIDIG_COMP_CNT: 0
	.section	.text._ZN9rocsparseL26csrgemm_fill_block_per_rowILj1024ELj64ELj4096ELj137ELj32Eli21rocsparse_complex_numIfEEEvT5_PKS3_S5_NS_24const_host_device_scalarIT6_EEPKT4_S5_PKS7_SB_S5_SD_S8_SB_S5_SD_SB_PS3_PS7_21rocsparse_index_base_SG_SG_SG_bbb,"axG",@progbits,_ZN9rocsparseL26csrgemm_fill_block_per_rowILj1024ELj64ELj4096ELj137ELj32Eli21rocsparse_complex_numIfEEEvT5_PKS3_S5_NS_24const_host_device_scalarIT6_EEPKT4_S5_PKS7_SB_S5_SD_S8_SB_S5_SD_SB_PS3_PS7_21rocsparse_index_base_SG_SG_SG_bbb,comdat
	.globl	_ZN9rocsparseL26csrgemm_fill_block_per_rowILj1024ELj64ELj4096ELj137ELj32Eli21rocsparse_complex_numIfEEEvT5_PKS3_S5_NS_24const_host_device_scalarIT6_EEPKT4_S5_PKS7_SB_S5_SD_S8_SB_S5_SD_SB_PS3_PS7_21rocsparse_index_base_SG_SG_SG_bbb ; -- Begin function _ZN9rocsparseL26csrgemm_fill_block_per_rowILj1024ELj64ELj4096ELj137ELj32Eli21rocsparse_complex_numIfEEEvT5_PKS3_S5_NS_24const_host_device_scalarIT6_EEPKT4_S5_PKS7_SB_S5_SD_S8_SB_S5_SD_SB_PS3_PS7_21rocsparse_index_base_SG_SG_SG_bbb
	.p2align	8
	.type	_ZN9rocsparseL26csrgemm_fill_block_per_rowILj1024ELj64ELj4096ELj137ELj32Eli21rocsparse_complex_numIfEEEvT5_PKS3_S5_NS_24const_host_device_scalarIT6_EEPKT4_S5_PKS7_SB_S5_SD_S8_SB_S5_SD_SB_PS3_PS7_21rocsparse_index_base_SG_SG_SG_bbb,@function
_ZN9rocsparseL26csrgemm_fill_block_per_rowILj1024ELj64ELj4096ELj137ELj32Eli21rocsparse_complex_numIfEEEvT5_PKS3_S5_NS_24const_host_device_scalarIT6_EEPKT4_S5_PKS7_SB_S5_SD_S8_SB_S5_SD_SB_PS3_PS7_21rocsparse_index_base_SG_SG_SG_bbb: ; @_ZN9rocsparseL26csrgemm_fill_block_per_rowILj1024ELj64ELj4096ELj137ELj32Eli21rocsparse_complex_numIfEEEvT5_PKS3_S5_NS_24const_host_device_scalarIT6_EEPKT4_S5_PKS7_SB_S5_SD_S8_SB_S5_SD_SB_PS3_PS7_21rocsparse_index_base_SG_SG_SG_bbb
; %bb.0:
	s_clause 0x6
	s_load_b32 s12, s[0:1], 0x98
	s_load_b256 s[36:43], s[0:1], 0x60
	s_load_b256 s[4:11], s[0:1], 0x40
	s_load_b128 s[24:27], s[0:1], 0x8
	s_load_b256 s[16:23], s[0:1], 0x20
	s_load_b64 s[34:35], s[0:1], 0x80
	s_load_b128 s[44:47], s[0:1], 0x88
	s_mov_b32 s3, 0
	s_mov_b32 s13, 0
	s_waitcnt lgkmcnt(0)
	s_bitcmp1_b32 s12, 0
	s_cselect_b32 s28, -1, 0
	s_bitcmp1_b32 s12, 16
	s_cselect_b32 s2, -1, 0
	s_delay_alu instid0(SALU_CYCLE_1) | instskip(SKIP_2) | instid1(VALU_DEP_1)
	s_xor_b32 s14, s2, -1
	s_bitcmp0_b32 s12, 0
	v_cndmask_b32_e64 v1, 0, 1, s14
	v_cmp_ne_u32_e32 vcc_lo, 1, v1
	s_cbranch_scc1 .LBB228_5
; %bb.1:
	s_load_b64 s[2:3], s[0:1], 0x18
	s_and_b32 vcc_lo, exec_lo, vcc_lo
	s_waitcnt lgkmcnt(0)
	s_mov_b32 s13, s2
	s_cbranch_vccnz .LBB228_3
; %bb.2:
	s_load_b32 s13, s[2:3], 0x0
.LBB228_3:
	s_and_not1_b32 vcc_lo, exec_lo, s14
	s_cbranch_vccnz .LBB228_5
; %bb.4:
	s_load_b32 s3, s[2:3], 0x4
.LBB228_5:
	s_bitcmp1_b32 s12, 8
	s_cselect_b32 s14, -1, 0
	s_bfe_u32 s2, s12, 0x10008
	s_mov_b32 s12, 0
	s_cmp_eq_u32 s2, 0
	s_mov_b32 s2, 0
	s_cbranch_scc1 .LBB228_11
; %bb.6:
	v_cmp_ne_u32_e32 vcc_lo, 1, v1
	s_mov_b32 s2, s8
	s_cbranch_vccnz .LBB228_8
; %bb.7:
	s_load_b32 s2, s[8:9], 0x0
.LBB228_8:
	v_cmp_ne_u32_e32 vcc_lo, 1, v1
	s_cbranch_vccnz .LBB228_10
; %bb.9:
	s_load_b32 s9, s[8:9], 0x4
.LBB228_10:
	s_waitcnt lgkmcnt(0)
	s_mov_b32 s12, s9
.LBB228_11:
	s_load_b32 s33, s[0:1], 0x0
	v_lshl_add_u32 v7, v0, 2, 0
	v_lshlrev_b32_e32 v1, 3, v0
	v_or_b32_e32 v8, 0xfffffc00, v0
	s_mov_b32 s0, 0
	s_delay_alu instid0(VALU_DEP_3) | instskip(NEXT) | instid1(VALU_DEP_3)
	v_mov_b32_e32 v2, v7
	v_add3_u32 v9, v1, 0, 0x4000
	v_mov_b32_e32 v1, 0
	v_mov_b32_e32 v3, v8
	s_waitcnt lgkmcnt(0)
	s_delay_alu instid0(VALU_DEP_3)
	v_dual_mov_b32 v5, v9 :: v_dual_mov_b32 v4, s33
.LBB228_12:                             ; =>This Inner Loop Header: Depth=1
	s_delay_alu instid0(VALU_DEP_2)
	v_add_nc_u32_e32 v3, 0x400, v3
	ds_store_b32 v2, v4
	ds_store_2addr_b32 v5, v1, v1 offset1:1
	v_add_nc_u32_e32 v5, 0x2000, v5
	v_add_nc_u32_e32 v2, 0x1000, v2
	v_cmp_lt_u32_e32 vcc_lo, 0xbff, v3
	s_or_b32 s0, vcc_lo, s0
	s_delay_alu instid0(SALU_CYCLE_1)
	s_and_not1_b32 exec_lo, exec_lo, s0
	s_cbranch_execnz .LBB228_12
; %bb.13:
	s_or_b32 exec_lo, exec_lo, s0
	s_waitcnt lgkmcnt(0)
	s_barrier
	buffer_gl0_inv
	s_load_b32 s0, s[24:25], 0x0
	s_mov_b32 s1, 0
	s_waitcnt lgkmcnt(0)
	s_add_i32 s0, s0, s15
	s_delay_alu instid0(SALU_CYCLE_1) | instskip(NEXT) | instid1(SALU_CYCLE_1)
	s_lshl_b64 s[0:1], s[0:1], 2
	s_add_u32 s0, s26, s0
	s_addc_u32 s1, s27, s1
	s_and_b32 vcc_lo, exec_lo, s28
	s_load_b32 s48, s[0:1], 0x0
	s_cbranch_vccz .LBB228_33
; %bb.14:
	s_waitcnt lgkmcnt(0)
	s_ashr_i32 s49, s48, 31
	v_lshrrev_b32_e32 v1, 6, v0
	s_lshl_b64 s[0:1], s[48:49], 3
	s_mov_b32 s8, exec_lo
	s_add_u32 s0, s16, s0
	s_addc_u32 s1, s17, s1
	s_load_b128 s[24:27], s[0:1], 0x0
	v_sub_co_u32 v1, s0, v1, s44
	s_delay_alu instid0(VALU_DEP_1) | instskip(SKIP_1) | instid1(VALU_DEP_2)
	v_sub_co_ci_u32_e64 v2, null, 0, 0, s0
	s_waitcnt lgkmcnt(0)
	v_add_co_u32 v1, vcc_lo, s24, v1
	s_delay_alu instid0(VALU_DEP_2)
	v_add_co_ci_u32_e32 v2, vcc_lo, s25, v2, vcc_lo
	s_sub_u32 s0, s26, s44
	s_subb_u32 s1, s27, 0
	s_delay_alu instid0(VALU_DEP_1) | instid1(SALU_CYCLE_1)
	v_cmpx_gt_i64_e64 s[0:1], v[1:2]
	s_cbranch_execz .LBB228_32
; %bb.15:
	v_and_b32_e32 v3, 63, v0
	s_mov_b32 s15, s45
	s_delay_alu instid0(VALU_DEP_1) | instskip(NEXT) | instid1(VALU_DEP_1)
	v_sub_co_u32 v10, s9, v3, s45
	v_sub_co_ci_u32_e64 v11, null, 0, 0, s9
	s_mov_b32 s9, 0
	s_branch .LBB228_17
.LBB228_16:                             ;   in Loop: Header=BB228_17 Depth=1
	s_or_b32 exec_lo, exec_lo, s16
	v_add_co_u32 v1, vcc_lo, v1, 16
	v_add_co_ci_u32_e32 v2, vcc_lo, 0, v2, vcc_lo
	s_delay_alu instid0(VALU_DEP_1) | instskip(SKIP_1) | instid1(SALU_CYCLE_1)
	v_cmp_le_i64_e32 vcc_lo, s[0:1], v[1:2]
	s_or_b32 s9, vcc_lo, s9
	s_and_not1_b32 exec_lo, exec_lo, s9
	s_cbranch_execz .LBB228_32
.LBB228_17:                             ; =>This Loop Header: Depth=1
                                        ;     Child Loop BB228_20 Depth 2
                                        ;       Child Loop BB228_22 Depth 3
	v_lshlrev_b64 v[3:4], 2, v[1:2]
	s_mov_b32 s16, exec_lo
	s_delay_alu instid0(VALU_DEP_1) | instskip(NEXT) | instid1(VALU_DEP_2)
	v_add_co_u32 v3, vcc_lo, s18, v3
	v_add_co_ci_u32_e32 v4, vcc_lo, s19, v4, vcc_lo
	global_load_b32 v3, v[3:4], off
	s_waitcnt vmcnt(0)
	v_subrev_nc_u32_e32 v3, s44, v3
	s_delay_alu instid0(VALU_DEP_1) | instskip(NEXT) | instid1(VALU_DEP_1)
	v_ashrrev_i32_e32 v4, 31, v3
	v_lshlrev_b64 v[3:4], 3, v[3:4]
	s_delay_alu instid0(VALU_DEP_1) | instskip(NEXT) | instid1(VALU_DEP_2)
	v_add_co_u32 v3, vcc_lo, s22, v3
	v_add_co_ci_u32_e32 v4, vcc_lo, s23, v4, vcc_lo
	global_load_b128 v[12:15], v[3:4], off
	s_waitcnt vmcnt(0)
	v_sub_co_u32 v3, vcc_lo, v14, s15
	v_subrev_co_ci_u32_e32 v4, vcc_lo, 0, v15, vcc_lo
	v_add_co_u32 v5, vcc_lo, v12, v10
	v_add_co_ci_u32_e32 v6, vcc_lo, v13, v11, vcc_lo
	s_delay_alu instid0(VALU_DEP_1)
	v_cmpx_lt_i64_e64 v[5:6], v[3:4]
	s_cbranch_execz .LBB228_16
; %bb.18:                               ;   in Loop: Header=BB228_17 Depth=1
	v_lshlrev_b64 v[12:13], 3, v[1:2]
	s_mov_b32 s17, 0
	s_delay_alu instid0(VALU_DEP_1) | instskip(NEXT) | instid1(VALU_DEP_2)
	v_add_co_u32 v12, vcc_lo, s20, v12
	v_add_co_ci_u32_e32 v13, vcc_lo, s21, v13, vcc_lo
	global_load_b64 v[14:15], v[12:13], off
	s_waitcnt vmcnt(0)
	v_mul_f32_e64 v12, v15, -s3
	s_delay_alu instid0(VALU_DEP_1) | instskip(NEXT) | instid1(VALU_DEP_1)
	v_dual_mul_f32 v13, s13, v15 :: v_dual_fmac_f32 v12, s13, v14
	v_fmac_f32_e32 v13, s3, v14
	s_branch .LBB228_20
.LBB228_19:                             ;   in Loop: Header=BB228_20 Depth=2
	s_or_b32 exec_lo, exec_lo, s24
	v_add_co_u32 v5, vcc_lo, v5, 64
	v_add_co_ci_u32_e32 v6, vcc_lo, 0, v6, vcc_lo
	s_delay_alu instid0(VALU_DEP_1) | instskip(SKIP_1) | instid1(SALU_CYCLE_1)
	v_cmp_ge_i64_e32 vcc_lo, v[5:6], v[3:4]
	s_or_b32 s17, vcc_lo, s17
	s_and_not1_b32 exec_lo, exec_lo, s17
	s_cbranch_execz .LBB228_16
.LBB228_20:                             ;   Parent Loop BB228_17 Depth=1
                                        ; =>  This Loop Header: Depth=2
                                        ;       Child Loop BB228_22 Depth 3
	v_lshlrev_b64 v[14:15], 2, v[5:6]
	v_lshlrev_b64 v[16:17], 3, v[5:6]
	s_mov_b32 s24, 0
	s_delay_alu instid0(VALU_DEP_2) | instskip(NEXT) | instid1(VALU_DEP_3)
	v_add_co_u32 v14, vcc_lo, s4, v14
	v_add_co_ci_u32_e32 v15, vcc_lo, s5, v15, vcc_lo
	global_load_b32 v19, v[14:15], off
	v_add_co_u32 v14, vcc_lo, s6, v16
	v_add_co_ci_u32_e32 v15, vcc_lo, s7, v17, vcc_lo
	global_load_b64 v[17:18], v[14:15], off
	s_waitcnt vmcnt(1)
	v_subrev_nc_u32_e32 v14, s45, v19
	s_delay_alu instid0(VALU_DEP_1) | instskip(SKIP_3) | instid1(VALU_DEP_2)
	v_mul_lo_u32 v19, 0x89, v14
	s_waitcnt vmcnt(0)
	v_mul_f32_e64 v15, v18, -v13
	v_mul_f32_e32 v16, v12, v18
	v_fmac_f32_e32 v15, v12, v17
	s_delay_alu instid0(VALU_DEP_2)
	v_dual_fmac_f32 v16, v13, v17 :: v_dual_and_b32 v17, 0xfff, v19
	s_branch .LBB228_22
.LBB228_21:                             ;   in Loop: Header=BB228_22 Depth=3
	s_or_b32 exec_lo, exec_lo, s25
	s_xor_b32 s25, s26, -1
	s_delay_alu instid0(SALU_CYCLE_1) | instskip(NEXT) | instid1(SALU_CYCLE_1)
	s_and_b32 s25, exec_lo, s25
	s_or_b32 s24, s25, s24
	s_delay_alu instid0(SALU_CYCLE_1)
	s_and_not1_b32 exec_lo, exec_lo, s24
	s_cbranch_execz .LBB228_19
.LBB228_22:                             ;   Parent Loop BB228_17 Depth=1
                                        ;     Parent Loop BB228_20 Depth=2
                                        ; =>    This Inner Loop Header: Depth=3
	s_delay_alu instid0(VALU_DEP_1)
	v_lshl_add_u32 v18, v17, 2, 0
	s_mov_b32 s25, exec_lo
                                        ; implicit-def: $sgpr26
	ds_load_b32 v19, v18
	s_waitcnt lgkmcnt(0)
	v_cmpx_ne_u32_e64 v19, v14
	s_xor_b32 s25, exec_lo, s25
	s_cbranch_execz .LBB228_30
; %bb.23:                               ;   in Loop: Header=BB228_22 Depth=3
	s_mov_b32 s27, exec_lo
                                        ; implicit-def: $sgpr26
	v_cmpx_ne_u32_e64 s33, v19
	s_xor_b32 s27, exec_lo, s27
; %bb.24:                               ;   in Loop: Header=BB228_22 Depth=3
	v_add_nc_u32_e32 v17, 1, v17
	s_mov_b32 s26, -1
                                        ; implicit-def: $vgpr18
	s_delay_alu instid0(VALU_DEP_1)
	v_and_b32_e32 v17, 0xfff, v17
; %bb.25:                               ;   in Loop: Header=BB228_22 Depth=3
	s_and_not1_saveexec_b32 s27, s27
	s_cbranch_execz .LBB228_29
; %bb.26:                               ;   in Loop: Header=BB228_22 Depth=3
	v_mov_b32_e32 v19, s33
	s_mov_b32 s28, -1
	s_mov_b32 s29, exec_lo
	ds_cmpstore_rtn_b32 v19, v18, v14, v19
	s_waitcnt lgkmcnt(0)
	v_cmpx_eq_u32_e64 s33, v19
	s_cbranch_execz .LBB228_28
; %bb.27:                               ;   in Loop: Header=BB228_22 Depth=3
	v_lshl_add_u32 v18, v17, 2, v18
	s_xor_b32 s28, exec_lo, -1
	ds_add_f32 v18, v15 offset:16384
	ds_add_f32 v18, v16 offset:16388
.LBB228_28:                             ;   in Loop: Header=BB228_22 Depth=3
	s_or_b32 exec_lo, exec_lo, s29
	s_delay_alu instid0(SALU_CYCLE_1) | instskip(SKIP_1) | instid1(SALU_CYCLE_1)
	s_and_not1_b32 s26, s26, exec_lo
	s_and_b32 s28, s28, exec_lo
	s_or_b32 s26, s26, s28
.LBB228_29:                             ;   in Loop: Header=BB228_22 Depth=3
	s_or_b32 exec_lo, exec_lo, s27
	s_delay_alu instid0(SALU_CYCLE_1)
	s_and_b32 s26, s26, exec_lo
                                        ; implicit-def: $vgpr18
.LBB228_30:                             ;   in Loop: Header=BB228_22 Depth=3
	s_and_not1_saveexec_b32 s25, s25
	s_cbranch_execz .LBB228_21
; %bb.31:                               ;   in Loop: Header=BB228_22 Depth=3
	v_lshl_add_u32 v18, v17, 2, v18
	s_and_not1_b32 s26, s26, exec_lo
	ds_add_f32 v18, v15 offset:16384
	ds_add_f32 v18, v16 offset:16388
	s_branch .LBB228_21
.LBB228_32:
	s_or_b32 exec_lo, exec_lo, s8
.LBB228_33:
	s_delay_alu instid0(SALU_CYCLE_1)
	s_and_not1_b32 vcc_lo, exec_lo, s14
	s_cbranch_vccnz .LBB228_36
; %bb.34:
	s_waitcnt lgkmcnt(0)
	s_ashr_i32 s49, s48, 31
	s_mov_b32 s3, exec_lo
	s_lshl_b64 s[0:1], s[48:49], 3
	s_delay_alu instid0(SALU_CYCLE_1) | instskip(SKIP_3) | instid1(VALU_DEP_1)
	s_add_u32 s0, s10, s0
	s_addc_u32 s1, s11, s1
	s_load_b128 s[4:7], s[0:1], 0x0
	v_sub_co_u32 v1, s0, v0, s47
	v_sub_co_ci_u32_e64 v2, null, 0, 0, s0
	s_waitcnt lgkmcnt(0)
	s_delay_alu instid0(VALU_DEP_2) | instskip(NEXT) | instid1(VALU_DEP_2)
	v_add_co_u32 v1, vcc_lo, s4, v1
	v_add_co_ci_u32_e32 v2, vcc_lo, s5, v2, vcc_lo
	s_sub_u32 s0, s6, s47
	s_subb_u32 s1, s7, 0
	s_mov_b32 s4, 0
	s_delay_alu instid0(VALU_DEP_1)
	v_cmpx_gt_i64_e64 s[0:1], v[1:2]
	s_cbranch_execnz .LBB228_105
.LBB228_35:
	s_or_b32 exec_lo, exec_lo, s3
.LBB228_36:
	v_mbcnt_lo_u32_b32 v1, -1, 0
	v_lshrrev_b32_e32 v2, 3, v0
	v_cmp_eq_u32_e32 vcc_lo, 0x3ff, v0
	v_cmp_lt_u32_e64 s0, 31, v0
	v_cmp_lt_u32_e64 s1, 63, v0
	v_xor_b32_e32 v1, 63, v1
	v_dual_mov_b32 v6, 0 :: v_dual_and_b32 v3, 0x7c, v2
	v_cmp_lt_u32_e64 s2, 0x5f, v0
	v_cmp_lt_u32_e64 s3, 0x7f, v0
	s_delay_alu instid0(VALU_DEP_4) | instskip(NEXT) | instid1(VALU_DEP_4)
	v_lshrrev_b64 v[1:2], v1, -1
	v_dual_mov_b32 v5, 0 :: v_dual_add_nc_u32 v4, 0, v3
	v_cmp_lt_u32_e64 s4, 0x9f, v0
	v_cmp_lt_u32_e64 s5, 0xbf, v0
	;; [unrolled: 1-line block ×27, first 2 shown]
	s_mov_b32 s36, 0
	s_waitcnt lgkmcnt(0)
	s_barrier
	buffer_gl0_inv
	s_branch .LBB228_38
.LBB228_37:                             ;   in Loop: Header=BB228_38 Depth=1
	s_or_b32 exec_lo, exec_lo, s31
	s_waitcnt lgkmcnt(0)
	s_barrier
	buffer_gl0_inv
	ds_load_b32 v2, v5 offset:49276
	v_add_nc_u32_e32 v8, 0x400, v8
	v_add_nc_u32_e32 v9, 0x2000, v9
	;; [unrolled: 1-line block ×3, first 2 shown]
	s_delay_alu instid0(VALU_DEP_3) | instskip(NEXT) | instid1(VALU_DEP_1)
	v_cmp_lt_u32_e64 s31, 0xbff, v8
	s_or_b32 s36, s31, s36
	s_waitcnt lgkmcnt(0)
	v_add_nc_u32_e32 v6, v2, v6
	s_and_not1_b32 exec_lo, exec_lo, s36
	s_cbranch_execz .LBB228_117
.LBB228_38:                             ; =>This Inner Loop Header: Depth=1
	ds_load_b32 v10, v7
	ds_load_2addr_b32 v[2:3], v9 offset1:1
	s_waitcnt lgkmcnt(0)
	s_barrier
	buffer_gl0_inv
	v_cmp_gt_i32_e64 s31, s33, v10
	s_delay_alu instid0(VALU_DEP_1) | instskip(NEXT) | instid1(SALU_CYCLE_1)
	s_bcnt1_i32_b32 s37, s31
	v_dual_mov_b32 v12, s37 :: v_dual_and_b32 v11, s31, v1
	s_delay_alu instid0(VALU_DEP_1)
	v_bcnt_u32_b32 v11, v11, 0
	ds_store_b32 v4, v12 offset:49152
	s_waitcnt lgkmcnt(0)
	s_barrier
	buffer_gl0_inv
	s_and_saveexec_b32 s37, s0
	s_cbranch_execnz .LBB228_71
; %bb.39:                               ;   in Loop: Header=BB228_38 Depth=1
	s_or_b32 exec_lo, exec_lo, s37
	s_and_saveexec_b32 s37, s1
	s_cbranch_execnz .LBB228_72
.LBB228_40:                             ;   in Loop: Header=BB228_38 Depth=1
	s_or_b32 exec_lo, exec_lo, s37
	s_and_saveexec_b32 s37, s2
	s_cbranch_execnz .LBB228_73
.LBB228_41:                             ;   in Loop: Header=BB228_38 Depth=1
	s_or_b32 exec_lo, exec_lo, s37
	s_and_saveexec_b32 s37, s3
	s_cbranch_execnz .LBB228_74
.LBB228_42:                             ;   in Loop: Header=BB228_38 Depth=1
	s_or_b32 exec_lo, exec_lo, s37
	s_and_saveexec_b32 s37, s4
	s_cbranch_execnz .LBB228_75
.LBB228_43:                             ;   in Loop: Header=BB228_38 Depth=1
	s_or_b32 exec_lo, exec_lo, s37
	s_and_saveexec_b32 s37, s5
	s_cbranch_execnz .LBB228_76
.LBB228_44:                             ;   in Loop: Header=BB228_38 Depth=1
	s_or_b32 exec_lo, exec_lo, s37
	s_and_saveexec_b32 s37, s6
	s_cbranch_execnz .LBB228_77
.LBB228_45:                             ;   in Loop: Header=BB228_38 Depth=1
	s_or_b32 exec_lo, exec_lo, s37
	s_and_saveexec_b32 s37, s7
	s_cbranch_execnz .LBB228_78
.LBB228_46:                             ;   in Loop: Header=BB228_38 Depth=1
	s_or_b32 exec_lo, exec_lo, s37
	s_and_saveexec_b32 s37, s8
	s_cbranch_execnz .LBB228_79
.LBB228_47:                             ;   in Loop: Header=BB228_38 Depth=1
	s_or_b32 exec_lo, exec_lo, s37
	s_and_saveexec_b32 s37, s9
	s_cbranch_execnz .LBB228_80
.LBB228_48:                             ;   in Loop: Header=BB228_38 Depth=1
	s_or_b32 exec_lo, exec_lo, s37
	s_and_saveexec_b32 s37, s10
	s_cbranch_execnz .LBB228_81
.LBB228_49:                             ;   in Loop: Header=BB228_38 Depth=1
	s_or_b32 exec_lo, exec_lo, s37
	s_and_saveexec_b32 s37, s11
	s_cbranch_execnz .LBB228_82
.LBB228_50:                             ;   in Loop: Header=BB228_38 Depth=1
	s_or_b32 exec_lo, exec_lo, s37
	s_and_saveexec_b32 s37, s12
	s_cbranch_execnz .LBB228_83
.LBB228_51:                             ;   in Loop: Header=BB228_38 Depth=1
	s_or_b32 exec_lo, exec_lo, s37
	s_and_saveexec_b32 s37, s13
	s_cbranch_execnz .LBB228_84
.LBB228_52:                             ;   in Loop: Header=BB228_38 Depth=1
	s_or_b32 exec_lo, exec_lo, s37
	s_and_saveexec_b32 s37, s14
	s_cbranch_execnz .LBB228_85
.LBB228_53:                             ;   in Loop: Header=BB228_38 Depth=1
	s_or_b32 exec_lo, exec_lo, s37
	s_and_saveexec_b32 s37, s15
	s_cbranch_execnz .LBB228_86
.LBB228_54:                             ;   in Loop: Header=BB228_38 Depth=1
	s_or_b32 exec_lo, exec_lo, s37
	s_and_saveexec_b32 s37, s16
	s_cbranch_execnz .LBB228_87
.LBB228_55:                             ;   in Loop: Header=BB228_38 Depth=1
	s_or_b32 exec_lo, exec_lo, s37
	s_and_saveexec_b32 s37, s17
	s_cbranch_execnz .LBB228_88
.LBB228_56:                             ;   in Loop: Header=BB228_38 Depth=1
	s_or_b32 exec_lo, exec_lo, s37
	s_and_saveexec_b32 s37, s18
	s_cbranch_execnz .LBB228_89
.LBB228_57:                             ;   in Loop: Header=BB228_38 Depth=1
	s_or_b32 exec_lo, exec_lo, s37
	s_and_saveexec_b32 s37, s19
	s_cbranch_execnz .LBB228_90
.LBB228_58:                             ;   in Loop: Header=BB228_38 Depth=1
	s_or_b32 exec_lo, exec_lo, s37
	s_and_saveexec_b32 s37, s20
	s_cbranch_execnz .LBB228_91
.LBB228_59:                             ;   in Loop: Header=BB228_38 Depth=1
	s_or_b32 exec_lo, exec_lo, s37
	s_and_saveexec_b32 s37, s21
	s_cbranch_execnz .LBB228_92
.LBB228_60:                             ;   in Loop: Header=BB228_38 Depth=1
	s_or_b32 exec_lo, exec_lo, s37
	s_and_saveexec_b32 s37, s22
	s_cbranch_execnz .LBB228_93
.LBB228_61:                             ;   in Loop: Header=BB228_38 Depth=1
	s_or_b32 exec_lo, exec_lo, s37
	s_and_saveexec_b32 s37, s23
	s_cbranch_execnz .LBB228_94
.LBB228_62:                             ;   in Loop: Header=BB228_38 Depth=1
	s_or_b32 exec_lo, exec_lo, s37
	s_and_saveexec_b32 s37, s24
	s_cbranch_execnz .LBB228_95
.LBB228_63:                             ;   in Loop: Header=BB228_38 Depth=1
	s_or_b32 exec_lo, exec_lo, s37
	s_and_saveexec_b32 s37, s25
	s_cbranch_execnz .LBB228_96
.LBB228_64:                             ;   in Loop: Header=BB228_38 Depth=1
	s_or_b32 exec_lo, exec_lo, s37
	s_and_saveexec_b32 s37, s26
	s_cbranch_execnz .LBB228_97
.LBB228_65:                             ;   in Loop: Header=BB228_38 Depth=1
	s_or_b32 exec_lo, exec_lo, s37
	s_and_saveexec_b32 s37, s27
	s_cbranch_execnz .LBB228_98
.LBB228_66:                             ;   in Loop: Header=BB228_38 Depth=1
	s_or_b32 exec_lo, exec_lo, s37
	s_and_saveexec_b32 s37, s28
	s_cbranch_execnz .LBB228_99
.LBB228_67:                             ;   in Loop: Header=BB228_38 Depth=1
	s_or_b32 exec_lo, exec_lo, s37
	s_and_saveexec_b32 s37, s29
	s_cbranch_execnz .LBB228_100
.LBB228_68:                             ;   in Loop: Header=BB228_38 Depth=1
	s_or_b32 exec_lo, exec_lo, s37
	s_and_saveexec_b32 s37, s30
	s_cbranch_execnz .LBB228_101
.LBB228_69:                             ;   in Loop: Header=BB228_38 Depth=1
	s_or_b32 exec_lo, exec_lo, s37
	s_and_saveexec_b32 s37, s31
	s_cbranch_execnz .LBB228_102
.LBB228_70:                             ;   in Loop: Header=BB228_38 Depth=1
	s_or_b32 exec_lo, exec_lo, s37
	s_and_saveexec_b32 s31, vcc_lo
	s_cbranch_execz .LBB228_37
	s_branch .LBB228_103
.LBB228_71:                             ;   in Loop: Header=BB228_38 Depth=1
	ds_load_b32 v12, v5 offset:49152
	s_waitcnt lgkmcnt(0)
	v_add_nc_u32_e32 v11, v12, v11
	s_or_b32 exec_lo, exec_lo, s37
	s_and_saveexec_b32 s37, s1
	s_cbranch_execz .LBB228_40
.LBB228_72:                             ;   in Loop: Header=BB228_38 Depth=1
	ds_load_b32 v12, v5 offset:49156
	s_waitcnt lgkmcnt(0)
	v_add_nc_u32_e32 v11, v12, v11
	s_or_b32 exec_lo, exec_lo, s37
	s_and_saveexec_b32 s37, s2
	s_cbranch_execz .LBB228_41
.LBB228_73:                             ;   in Loop: Header=BB228_38 Depth=1
	ds_load_b32 v12, v5 offset:49160
	s_waitcnt lgkmcnt(0)
	v_add_nc_u32_e32 v11, v12, v11
	s_or_b32 exec_lo, exec_lo, s37
	s_and_saveexec_b32 s37, s3
	s_cbranch_execz .LBB228_42
.LBB228_74:                             ;   in Loop: Header=BB228_38 Depth=1
	ds_load_b32 v12, v5 offset:49164
	s_waitcnt lgkmcnt(0)
	v_add_nc_u32_e32 v11, v12, v11
	s_or_b32 exec_lo, exec_lo, s37
	s_and_saveexec_b32 s37, s4
	s_cbranch_execz .LBB228_43
.LBB228_75:                             ;   in Loop: Header=BB228_38 Depth=1
	ds_load_b32 v12, v5 offset:49168
	s_waitcnt lgkmcnt(0)
	v_add_nc_u32_e32 v11, v12, v11
	s_or_b32 exec_lo, exec_lo, s37
	s_and_saveexec_b32 s37, s5
	s_cbranch_execz .LBB228_44
.LBB228_76:                             ;   in Loop: Header=BB228_38 Depth=1
	ds_load_b32 v12, v5 offset:49172
	s_waitcnt lgkmcnt(0)
	v_add_nc_u32_e32 v11, v12, v11
	s_or_b32 exec_lo, exec_lo, s37
	s_and_saveexec_b32 s37, s6
	s_cbranch_execz .LBB228_45
.LBB228_77:                             ;   in Loop: Header=BB228_38 Depth=1
	ds_load_b32 v12, v5 offset:49176
	s_waitcnt lgkmcnt(0)
	v_add_nc_u32_e32 v11, v12, v11
	s_or_b32 exec_lo, exec_lo, s37
	s_and_saveexec_b32 s37, s7
	s_cbranch_execz .LBB228_46
.LBB228_78:                             ;   in Loop: Header=BB228_38 Depth=1
	ds_load_b32 v12, v5 offset:49180
	s_waitcnt lgkmcnt(0)
	v_add_nc_u32_e32 v11, v12, v11
	s_or_b32 exec_lo, exec_lo, s37
	s_and_saveexec_b32 s37, s8
	s_cbranch_execz .LBB228_47
.LBB228_79:                             ;   in Loop: Header=BB228_38 Depth=1
	ds_load_b32 v12, v5 offset:49184
	s_waitcnt lgkmcnt(0)
	v_add_nc_u32_e32 v11, v12, v11
	s_or_b32 exec_lo, exec_lo, s37
	s_and_saveexec_b32 s37, s9
	s_cbranch_execz .LBB228_48
.LBB228_80:                             ;   in Loop: Header=BB228_38 Depth=1
	ds_load_b32 v12, v5 offset:49188
	s_waitcnt lgkmcnt(0)
	v_add_nc_u32_e32 v11, v12, v11
	s_or_b32 exec_lo, exec_lo, s37
	s_and_saveexec_b32 s37, s10
	s_cbranch_execz .LBB228_49
.LBB228_81:                             ;   in Loop: Header=BB228_38 Depth=1
	ds_load_b32 v12, v5 offset:49192
	s_waitcnt lgkmcnt(0)
	v_add_nc_u32_e32 v11, v12, v11
	s_or_b32 exec_lo, exec_lo, s37
	s_and_saveexec_b32 s37, s11
	s_cbranch_execz .LBB228_50
.LBB228_82:                             ;   in Loop: Header=BB228_38 Depth=1
	ds_load_b32 v12, v5 offset:49196
	s_waitcnt lgkmcnt(0)
	v_add_nc_u32_e32 v11, v12, v11
	s_or_b32 exec_lo, exec_lo, s37
	s_and_saveexec_b32 s37, s12
	s_cbranch_execz .LBB228_51
.LBB228_83:                             ;   in Loop: Header=BB228_38 Depth=1
	ds_load_b32 v12, v5 offset:49200
	s_waitcnt lgkmcnt(0)
	v_add_nc_u32_e32 v11, v12, v11
	s_or_b32 exec_lo, exec_lo, s37
	s_and_saveexec_b32 s37, s13
	s_cbranch_execz .LBB228_52
.LBB228_84:                             ;   in Loop: Header=BB228_38 Depth=1
	ds_load_b32 v12, v5 offset:49204
	s_waitcnt lgkmcnt(0)
	v_add_nc_u32_e32 v11, v12, v11
	s_or_b32 exec_lo, exec_lo, s37
	s_and_saveexec_b32 s37, s14
	s_cbranch_execz .LBB228_53
.LBB228_85:                             ;   in Loop: Header=BB228_38 Depth=1
	ds_load_b32 v12, v5 offset:49208
	s_waitcnt lgkmcnt(0)
	v_add_nc_u32_e32 v11, v12, v11
	s_or_b32 exec_lo, exec_lo, s37
	s_and_saveexec_b32 s37, s15
	s_cbranch_execz .LBB228_54
.LBB228_86:                             ;   in Loop: Header=BB228_38 Depth=1
	ds_load_b32 v12, v5 offset:49212
	s_waitcnt lgkmcnt(0)
	v_add_nc_u32_e32 v11, v12, v11
	s_or_b32 exec_lo, exec_lo, s37
	s_and_saveexec_b32 s37, s16
	s_cbranch_execz .LBB228_55
.LBB228_87:                             ;   in Loop: Header=BB228_38 Depth=1
	ds_load_b32 v12, v5 offset:49216
	s_waitcnt lgkmcnt(0)
	v_add_nc_u32_e32 v11, v12, v11
	s_or_b32 exec_lo, exec_lo, s37
	s_and_saveexec_b32 s37, s17
	s_cbranch_execz .LBB228_56
.LBB228_88:                             ;   in Loop: Header=BB228_38 Depth=1
	ds_load_b32 v12, v5 offset:49220
	s_waitcnt lgkmcnt(0)
	v_add_nc_u32_e32 v11, v12, v11
	s_or_b32 exec_lo, exec_lo, s37
	s_and_saveexec_b32 s37, s18
	s_cbranch_execz .LBB228_57
.LBB228_89:                             ;   in Loop: Header=BB228_38 Depth=1
	ds_load_b32 v12, v5 offset:49224
	s_waitcnt lgkmcnt(0)
	v_add_nc_u32_e32 v11, v12, v11
	s_or_b32 exec_lo, exec_lo, s37
	s_and_saveexec_b32 s37, s19
	s_cbranch_execz .LBB228_58
.LBB228_90:                             ;   in Loop: Header=BB228_38 Depth=1
	ds_load_b32 v12, v5 offset:49228
	s_waitcnt lgkmcnt(0)
	v_add_nc_u32_e32 v11, v12, v11
	s_or_b32 exec_lo, exec_lo, s37
	s_and_saveexec_b32 s37, s20
	s_cbranch_execz .LBB228_59
.LBB228_91:                             ;   in Loop: Header=BB228_38 Depth=1
	ds_load_b32 v12, v5 offset:49232
	s_waitcnt lgkmcnt(0)
	v_add_nc_u32_e32 v11, v12, v11
	s_or_b32 exec_lo, exec_lo, s37
	s_and_saveexec_b32 s37, s21
	s_cbranch_execz .LBB228_60
.LBB228_92:                             ;   in Loop: Header=BB228_38 Depth=1
	ds_load_b32 v12, v5 offset:49236
	s_waitcnt lgkmcnt(0)
	v_add_nc_u32_e32 v11, v12, v11
	s_or_b32 exec_lo, exec_lo, s37
	s_and_saveexec_b32 s37, s22
	s_cbranch_execz .LBB228_61
.LBB228_93:                             ;   in Loop: Header=BB228_38 Depth=1
	ds_load_b32 v12, v5 offset:49240
	s_waitcnt lgkmcnt(0)
	v_add_nc_u32_e32 v11, v12, v11
	s_or_b32 exec_lo, exec_lo, s37
	s_and_saveexec_b32 s37, s23
	s_cbranch_execz .LBB228_62
.LBB228_94:                             ;   in Loop: Header=BB228_38 Depth=1
	ds_load_b32 v12, v5 offset:49244
	s_waitcnt lgkmcnt(0)
	v_add_nc_u32_e32 v11, v12, v11
	s_or_b32 exec_lo, exec_lo, s37
	s_and_saveexec_b32 s37, s24
	s_cbranch_execz .LBB228_63
.LBB228_95:                             ;   in Loop: Header=BB228_38 Depth=1
	ds_load_b32 v12, v5 offset:49248
	s_waitcnt lgkmcnt(0)
	v_add_nc_u32_e32 v11, v12, v11
	s_or_b32 exec_lo, exec_lo, s37
	s_and_saveexec_b32 s37, s25
	s_cbranch_execz .LBB228_64
.LBB228_96:                             ;   in Loop: Header=BB228_38 Depth=1
	ds_load_b32 v12, v5 offset:49252
	s_waitcnt lgkmcnt(0)
	v_add_nc_u32_e32 v11, v12, v11
	s_or_b32 exec_lo, exec_lo, s37
	s_and_saveexec_b32 s37, s26
	s_cbranch_execz .LBB228_65
.LBB228_97:                             ;   in Loop: Header=BB228_38 Depth=1
	ds_load_b32 v12, v5 offset:49256
	s_waitcnt lgkmcnt(0)
	v_add_nc_u32_e32 v11, v12, v11
	s_or_b32 exec_lo, exec_lo, s37
	s_and_saveexec_b32 s37, s27
	s_cbranch_execz .LBB228_66
.LBB228_98:                             ;   in Loop: Header=BB228_38 Depth=1
	ds_load_b32 v12, v5 offset:49260
	s_waitcnt lgkmcnt(0)
	v_add_nc_u32_e32 v11, v12, v11
	s_or_b32 exec_lo, exec_lo, s37
	s_and_saveexec_b32 s37, s28
	s_cbranch_execz .LBB228_67
.LBB228_99:                             ;   in Loop: Header=BB228_38 Depth=1
	ds_load_b32 v12, v5 offset:49264
	s_waitcnt lgkmcnt(0)
	v_add_nc_u32_e32 v11, v12, v11
	s_or_b32 exec_lo, exec_lo, s37
	s_and_saveexec_b32 s37, s29
	s_cbranch_execz .LBB228_68
.LBB228_100:                            ;   in Loop: Header=BB228_38 Depth=1
	ds_load_b32 v12, v5 offset:49268
	s_waitcnt lgkmcnt(0)
	v_add_nc_u32_e32 v11, v12, v11
	s_or_b32 exec_lo, exec_lo, s37
	s_and_saveexec_b32 s37, s30
	s_cbranch_execz .LBB228_69
.LBB228_101:                            ;   in Loop: Header=BB228_38 Depth=1
	ds_load_b32 v12, v5 offset:49272
	s_waitcnt lgkmcnt(0)
	v_add_nc_u32_e32 v11, v12, v11
	s_or_b32 exec_lo, exec_lo, s37
	s_and_saveexec_b32 s37, s31
	s_cbranch_execz .LBB228_70
.LBB228_102:                            ;   in Loop: Header=BB228_38 Depth=1
	s_delay_alu instid0(VALU_DEP_1) | instskip(NEXT) | instid1(VALU_DEP_1)
	v_add3_u32 v12, v6, -1, v11
	v_lshlrev_b32_e32 v13, 3, v12
	v_lshl_add_u32 v12, v12, 2, 0
	s_delay_alu instid0(VALU_DEP_2)
	v_add3_u32 v13, 0, v13, 0x4000
	ds_store_b32 v12, v10
	ds_store_2addr_b32 v13, v2, v3 offset1:1
	s_or_b32 exec_lo, exec_lo, s37
	s_and_saveexec_b32 s31, vcc_lo
	s_cbranch_execz .LBB228_37
.LBB228_103:                            ;   in Loop: Header=BB228_38 Depth=1
	ds_store_b32 v5, v11 offset:49276
	s_branch .LBB228_37
.LBB228_104:                            ;   in Loop: Header=BB228_105 Depth=1
	s_or_b32 exec_lo, exec_lo, s5
	v_add_co_u32 v1, vcc_lo, 0x400, v1
	v_add_co_ci_u32_e32 v2, vcc_lo, 0, v2, vcc_lo
	s_delay_alu instid0(VALU_DEP_1) | instskip(SKIP_1) | instid1(SALU_CYCLE_1)
	v_cmp_le_i64_e32 vcc_lo, s[0:1], v[1:2]
	s_or_b32 s4, vcc_lo, s4
	s_and_not1_b32 exec_lo, exec_lo, s4
	s_cbranch_execz .LBB228_35
.LBB228_105:                            ; =>This Loop Header: Depth=1
                                        ;     Child Loop BB228_107 Depth 2
	v_lshlrev_b64 v[3:4], 2, v[1:2]
	v_lshlrev_b64 v[5:6], 3, v[1:2]
	s_mov_b32 s5, 0
	s_delay_alu instid0(VALU_DEP_2) | instskip(NEXT) | instid1(VALU_DEP_3)
	v_add_co_u32 v3, vcc_lo, s36, v3
	v_add_co_ci_u32_e32 v4, vcc_lo, s37, v4, vcc_lo
	global_load_b32 v12, v[3:4], off
	v_add_co_u32 v3, vcc_lo, s38, v5
	v_add_co_ci_u32_e32 v4, vcc_lo, s39, v6, vcc_lo
	global_load_b64 v[10:11], v[3:4], off
	s_waitcnt vmcnt(1)
	v_subrev_nc_u32_e32 v3, s47, v12
	s_delay_alu instid0(VALU_DEP_1) | instskip(SKIP_2) | instid1(VALU_DEP_1)
	v_mul_lo_u32 v6, 0x89, v3
	s_waitcnt vmcnt(0)
	v_mul_f32_e64 v4, v11, -s12
	v_dual_mul_f32 v5, s2, v11 :: v_dual_fmac_f32 v4, s2, v10
	s_delay_alu instid0(VALU_DEP_1) | instskip(NEXT) | instid1(VALU_DEP_4)
	v_fmac_f32_e32 v5, s12, v10
	v_and_b32_e32 v6, 0xfff, v6
	s_branch .LBB228_107
.LBB228_106:                            ;   in Loop: Header=BB228_107 Depth=2
	s_or_b32 exec_lo, exec_lo, s6
	s_xor_b32 s6, s7, -1
	s_delay_alu instid0(SALU_CYCLE_1) | instskip(NEXT) | instid1(SALU_CYCLE_1)
	s_and_b32 s6, exec_lo, s6
	s_or_b32 s5, s6, s5
	s_delay_alu instid0(SALU_CYCLE_1)
	s_and_not1_b32 exec_lo, exec_lo, s5
	s_cbranch_execz .LBB228_104
.LBB228_107:                            ;   Parent Loop BB228_105 Depth=1
                                        ; =>  This Inner Loop Header: Depth=2
	s_delay_alu instid0(VALU_DEP_1)
	v_lshl_add_u32 v10, v6, 2, 0
	s_mov_b32 s6, exec_lo
                                        ; implicit-def: $sgpr7
	ds_load_b32 v11, v10
	s_waitcnt lgkmcnt(0)
	v_cmpx_ne_u32_e64 v11, v3
	s_xor_b32 s6, exec_lo, s6
	s_cbranch_execz .LBB228_115
; %bb.108:                              ;   in Loop: Header=BB228_107 Depth=2
	s_mov_b32 s8, exec_lo
                                        ; implicit-def: $sgpr7
	v_cmpx_ne_u32_e64 s33, v11
	s_xor_b32 s8, exec_lo, s8
; %bb.109:                              ;   in Loop: Header=BB228_107 Depth=2
	v_add_nc_u32_e32 v6, 1, v6
	s_mov_b32 s7, -1
                                        ; implicit-def: $vgpr10
	s_delay_alu instid0(VALU_DEP_1)
	v_and_b32_e32 v6, 0xfff, v6
; %bb.110:                              ;   in Loop: Header=BB228_107 Depth=2
	s_and_not1_saveexec_b32 s8, s8
	s_cbranch_execz .LBB228_114
; %bb.111:                              ;   in Loop: Header=BB228_107 Depth=2
	v_mov_b32_e32 v11, s33
	s_mov_b32 s9, -1
	s_mov_b32 s10, exec_lo
	ds_cmpstore_rtn_b32 v11, v10, v3, v11
	s_waitcnt lgkmcnt(0)
	v_cmpx_eq_u32_e64 s33, v11
	s_cbranch_execz .LBB228_113
; %bb.112:                              ;   in Loop: Header=BB228_107 Depth=2
	v_lshl_add_u32 v10, v6, 2, v10
	s_xor_b32 s9, exec_lo, -1
	ds_add_f32 v10, v4 offset:16384
	ds_add_f32 v10, v5 offset:16388
.LBB228_113:                            ;   in Loop: Header=BB228_107 Depth=2
	s_or_b32 exec_lo, exec_lo, s10
	s_delay_alu instid0(SALU_CYCLE_1) | instskip(SKIP_1) | instid1(SALU_CYCLE_1)
	s_and_not1_b32 s7, s7, exec_lo
	s_and_b32 s9, s9, exec_lo
	s_or_b32 s7, s7, s9
.LBB228_114:                            ;   in Loop: Header=BB228_107 Depth=2
	s_or_b32 exec_lo, exec_lo, s8
	s_delay_alu instid0(SALU_CYCLE_1)
	s_and_b32 s7, s7, exec_lo
                                        ; implicit-def: $vgpr10
.LBB228_115:                            ;   in Loop: Header=BB228_107 Depth=2
	s_and_not1_saveexec_b32 s6, s6
	s_cbranch_execz .LBB228_106
; %bb.116:                              ;   in Loop: Header=BB228_107 Depth=2
	v_lshl_add_u32 v10, v6, 2, v10
	s_and_not1_b32 s7, s7, exec_lo
	ds_add_f32 v10, v4 offset:16384
	ds_add_f32 v10, v5 offset:16388
	s_branch .LBB228_106
.LBB228_117:
	s_or_b32 exec_lo, exec_lo, s36
	s_ashr_i32 s49, s48, 31
	s_mov_b32 s4, exec_lo
	s_lshl_b64 s[0:1], s[48:49], 3
	s_delay_alu instid0(SALU_CYCLE_1) | instskip(SKIP_4) | instid1(SALU_CYCLE_1)
	s_add_u32 s0, s40, s0
	s_addc_u32 s1, s41, s1
	s_load_b128 s[0:3], s[0:1], 0x0
	s_waitcnt lgkmcnt(0)
	s_sub_i32 s3, s2, s0
	v_cmpx_gt_i32_e64 s3, v0
	s_cbranch_execz .LBB228_127
; %bb.118:
	s_sub_u32 s4, s0, s46
	s_subb_u32 s5, s1, 0
	s_sub_i32 s0, s0, s2
	s_and_b32 s1, s3, 7
	s_cmp_lt_u32 s0, -7
	s_mov_b32 s8, 0
	s_cselect_b32 s2, -1, 0
	s_and_b32 s6, s3, -8
	s_cmp_lg_u32 s1, 0
	s_cselect_b32 s7, -1, 0
	s_branch .LBB228_120
.LBB228_119:                            ;   in Loop: Header=BB228_120 Depth=1
	s_delay_alu instid0(VALU_DEP_1) | instskip(SKIP_4) | instid1(VALU_DEP_4)
	v_lshlrev_b64 v[6:7], 2, v[3:4]
	v_lshlrev_b64 v[3:4], 3, v[3:4]
	v_add_nc_u32_e32 v0, 0x400, v0
	s_waitcnt lgkmcnt(1)
	v_add_nc_u32_e32 v8, s46, v5
	v_add_co_u32 v5, vcc_lo, s42, v6
	v_add_co_ci_u32_e32 v6, vcc_lo, s43, v7, vcc_lo
	v_cmp_le_i32_e32 vcc_lo, s3, v0
	v_add_co_u32 v3, s0, s34, v3
	s_delay_alu instid0(VALU_DEP_1)
	v_add_co_ci_u32_e64 v4, s0, s35, v4, s0
	s_or_b32 s8, vcc_lo, s8
	global_store_b32 v[5:6], v8, off
	s_waitcnt lgkmcnt(0)
	global_store_b64 v[3:4], v[1:2], off
	s_and_not1_b32 exec_lo, exec_lo, s8
	s_cbranch_execz .LBB228_127
.LBB228_120:                            ; =>This Loop Header: Depth=1
                                        ;     Child Loop BB228_122 Depth 2
                                        ;     Child Loop BB228_126 Depth 2
	v_lshlrev_b32_e32 v1, 2, v0
	v_dual_mov_b32 v3, s4 :: v_dual_mov_b32 v4, s5
	s_and_not1_b32 vcc_lo, exec_lo, s2
	s_mov_b32 s0, 0
	s_delay_alu instid0(VALU_DEP_2) | instskip(NEXT) | instid1(VALU_DEP_1)
	v_add_nc_u32_e32 v2, 0, v1
	v_add3_u32 v1, v2, v1, 0x4000
	ds_load_b32 v5, v2
	ds_load_2addr_b32 v[1:2], v1 offset1:1
	s_cbranch_vccnz .LBB228_124
; %bb.121:                              ;   in Loop: Header=BB228_120 Depth=1
	v_dual_mov_b32 v3, s4 :: v_dual_mov_b32 v4, s5
	s_mov_b32 s9, 0
	s_mov_b32 s10, 0
.LBB228_122:                            ;   Parent Loop BB228_120 Depth=1
                                        ; =>  This Inner Loop Header: Depth=2
	s_delay_alu instid0(SALU_CYCLE_1)
	v_mov_b32_e32 v12, s10
	s_add_i32 s9, s9, 8
	s_add_i32 s10, s10, 32
	s_cmp_eq_u32 s6, s9
	ds_load_2addr_b32 v[6:7], v12 offset1:1
	ds_load_2addr_b32 v[8:9], v12 offset0:2 offset1:3
	ds_load_2addr_b32 v[10:11], v12 offset0:4 offset1:5
	;; [unrolled: 1-line block ×3, first 2 shown]
	s_waitcnt lgkmcnt(3)
	v_cmp_gt_i32_e32 vcc_lo, v5, v6
	v_cndmask_b32_e64 v6, 0, 1, vcc_lo
	v_cmp_gt_i32_e32 vcc_lo, v5, v7
	v_cndmask_b32_e64 v7, 0, 1, vcc_lo
	s_waitcnt lgkmcnt(2)
	v_cmp_gt_i32_e32 vcc_lo, v5, v8
	v_cndmask_b32_e64 v8, 0, 1, vcc_lo
	v_cmp_gt_i32_e32 vcc_lo, v5, v9
	v_cndmask_b32_e64 v9, 0, 1, vcc_lo
	s_waitcnt lgkmcnt(1)
	v_cmp_gt_i32_e32 vcc_lo, v5, v10
	v_cndmask_b32_e64 v10, 0, 1, vcc_lo
	v_add_co_u32 v3, vcc_lo, v3, v6
	v_add_co_ci_u32_e32 v4, vcc_lo, 0, v4, vcc_lo
	v_cmp_gt_i32_e32 vcc_lo, v5, v11
	s_delay_alu instid0(VALU_DEP_3) | instskip(NEXT) | instid1(VALU_DEP_1)
	v_add_co_u32 v3, s0, v3, v7
	v_add_co_ci_u32_e64 v4, s0, 0, v4, s0
	v_cndmask_b32_e64 v6, 0, 1, vcc_lo
	s_delay_alu instid0(VALU_DEP_3) | instskip(NEXT) | instid1(VALU_DEP_3)
	v_add_co_u32 v3, vcc_lo, v3, v8
	v_add_co_ci_u32_e32 v4, vcc_lo, 0, v4, vcc_lo
	s_waitcnt lgkmcnt(0)
	v_cmp_gt_i32_e32 vcc_lo, v5, v12
	s_delay_alu instid0(VALU_DEP_3) | instskip(NEXT) | instid1(VALU_DEP_1)
	v_add_co_u32 v3, s0, v3, v9
	v_add_co_ci_u32_e64 v4, s0, 0, v4, s0
	v_cndmask_b32_e64 v7, 0, 1, vcc_lo
	s_delay_alu instid0(VALU_DEP_3) | instskip(NEXT) | instid1(VALU_DEP_3)
	v_add_co_u32 v3, vcc_lo, v3, v10
	v_add_co_ci_u32_e32 v4, vcc_lo, 0, v4, vcc_lo
	v_cmp_gt_i32_e32 vcc_lo, v5, v13
	s_delay_alu instid0(VALU_DEP_3) | instskip(NEXT) | instid1(VALU_DEP_1)
	v_add_co_u32 v3, s0, v3, v6
	v_add_co_ci_u32_e64 v4, s0, 0, v4, s0
	v_cndmask_b32_e64 v6, 0, 1, vcc_lo
	s_delay_alu instid0(VALU_DEP_3) | instskip(NEXT) | instid1(VALU_DEP_3)
	v_add_co_u32 v3, vcc_lo, v3, v7
	v_add_co_ci_u32_e32 v4, vcc_lo, 0, v4, vcc_lo
	s_delay_alu instid0(VALU_DEP_2) | instskip(NEXT) | instid1(VALU_DEP_2)
	v_add_co_u32 v3, vcc_lo, v3, v6
	v_add_co_ci_u32_e32 v4, vcc_lo, 0, v4, vcc_lo
	s_cbranch_scc0 .LBB228_122
; %bb.123:                              ;   in Loop: Header=BB228_120 Depth=1
	s_mov_b32 s0, s6
.LBB228_124:                            ;   in Loop: Header=BB228_120 Depth=1
	s_and_not1_b32 vcc_lo, exec_lo, s7
	s_cbranch_vccnz .LBB228_119
; %bb.125:                              ;   in Loop: Header=BB228_120 Depth=1
	s_lshl_b32 s0, s0, 2
	s_mov_b32 s9, s1
	s_add_i32 s0, s0, 0
.LBB228_126:                            ;   Parent Loop BB228_120 Depth=1
                                        ; =>  This Inner Loop Header: Depth=2
	s_delay_alu instid0(SALU_CYCLE_1)
	v_mov_b32_e32 v6, s0
	s_add_i32 s9, s9, -1
	s_add_i32 s0, s0, 4
	s_cmp_lg_u32 s9, 0
	ds_load_b32 v6, v6
	s_waitcnt lgkmcnt(0)
	v_cmp_gt_i32_e32 vcc_lo, v5, v6
	v_cndmask_b32_e64 v6, 0, 1, vcc_lo
	s_delay_alu instid0(VALU_DEP_1)
	v_add_co_u32 v3, vcc_lo, v3, v6
	v_add_co_ci_u32_e32 v4, vcc_lo, 0, v4, vcc_lo
	s_cbranch_scc1 .LBB228_126
	s_branch .LBB228_119
.LBB228_127:
	s_nop 0
	s_sendmsg sendmsg(MSG_DEALLOC_VGPRS)
	s_endpgm
	.section	.rodata,"a",@progbits
	.p2align	6, 0x0
	.amdhsa_kernel _ZN9rocsparseL26csrgemm_fill_block_per_rowILj1024ELj64ELj4096ELj137ELj32Eli21rocsparse_complex_numIfEEEvT5_PKS3_S5_NS_24const_host_device_scalarIT6_EEPKT4_S5_PKS7_SB_S5_SD_S8_SB_S5_SD_SB_PS3_PS7_21rocsparse_index_base_SG_SG_SG_bbb
		.amdhsa_group_segment_fixed_size 0
		.amdhsa_private_segment_fixed_size 0
		.amdhsa_kernarg_size 156
		.amdhsa_user_sgpr_count 15
		.amdhsa_user_sgpr_dispatch_ptr 0
		.amdhsa_user_sgpr_queue_ptr 0
		.amdhsa_user_sgpr_kernarg_segment_ptr 1
		.amdhsa_user_sgpr_dispatch_id 0
		.amdhsa_user_sgpr_private_segment_size 0
		.amdhsa_wavefront_size32 1
		.amdhsa_uses_dynamic_stack 0
		.amdhsa_enable_private_segment 0
		.amdhsa_system_sgpr_workgroup_id_x 1
		.amdhsa_system_sgpr_workgroup_id_y 0
		.amdhsa_system_sgpr_workgroup_id_z 0
		.amdhsa_system_sgpr_workgroup_info 0
		.amdhsa_system_vgpr_workitem_id 0
		.amdhsa_next_free_vgpr 20
		.amdhsa_next_free_sgpr 50
		.amdhsa_reserve_vcc 1
		.amdhsa_float_round_mode_32 0
		.amdhsa_float_round_mode_16_64 0
		.amdhsa_float_denorm_mode_32 3
		.amdhsa_float_denorm_mode_16_64 3
		.amdhsa_dx10_clamp 1
		.amdhsa_ieee_mode 1
		.amdhsa_fp16_overflow 0
		.amdhsa_workgroup_processor_mode 1
		.amdhsa_memory_ordered 1
		.amdhsa_forward_progress 0
		.amdhsa_shared_vgpr_count 0
		.amdhsa_exception_fp_ieee_invalid_op 0
		.amdhsa_exception_fp_denorm_src 0
		.amdhsa_exception_fp_ieee_div_zero 0
		.amdhsa_exception_fp_ieee_overflow 0
		.amdhsa_exception_fp_ieee_underflow 0
		.amdhsa_exception_fp_ieee_inexact 0
		.amdhsa_exception_int_div_zero 0
	.end_amdhsa_kernel
	.section	.text._ZN9rocsparseL26csrgemm_fill_block_per_rowILj1024ELj64ELj4096ELj137ELj32Eli21rocsparse_complex_numIfEEEvT5_PKS3_S5_NS_24const_host_device_scalarIT6_EEPKT4_S5_PKS7_SB_S5_SD_S8_SB_S5_SD_SB_PS3_PS7_21rocsparse_index_base_SG_SG_SG_bbb,"axG",@progbits,_ZN9rocsparseL26csrgemm_fill_block_per_rowILj1024ELj64ELj4096ELj137ELj32Eli21rocsparse_complex_numIfEEEvT5_PKS3_S5_NS_24const_host_device_scalarIT6_EEPKT4_S5_PKS7_SB_S5_SD_S8_SB_S5_SD_SB_PS3_PS7_21rocsparse_index_base_SG_SG_SG_bbb,comdat
.Lfunc_end228:
	.size	_ZN9rocsparseL26csrgemm_fill_block_per_rowILj1024ELj64ELj4096ELj137ELj32Eli21rocsparse_complex_numIfEEEvT5_PKS3_S5_NS_24const_host_device_scalarIT6_EEPKT4_S5_PKS7_SB_S5_SD_S8_SB_S5_SD_SB_PS3_PS7_21rocsparse_index_base_SG_SG_SG_bbb, .Lfunc_end228-_ZN9rocsparseL26csrgemm_fill_block_per_rowILj1024ELj64ELj4096ELj137ELj32Eli21rocsparse_complex_numIfEEEvT5_PKS3_S5_NS_24const_host_device_scalarIT6_EEPKT4_S5_PKS7_SB_S5_SD_S8_SB_S5_SD_SB_PS3_PS7_21rocsparse_index_base_SG_SG_SG_bbb
                                        ; -- End function
	.section	.AMDGPU.csdata,"",@progbits
; Kernel info:
; codeLenInByte = 4444
; NumSgprs: 52
; NumVgprs: 20
; ScratchSize: 0
; MemoryBound: 0
; FloatMode: 240
; IeeeMode: 1
; LDSByteSize: 0 bytes/workgroup (compile time only)
; SGPRBlocks: 6
; VGPRBlocks: 2
; NumSGPRsForWavesPerEU: 52
; NumVGPRsForWavesPerEU: 20
; Occupancy: 16
; WaveLimiterHint : 1
; COMPUTE_PGM_RSRC2:SCRATCH_EN: 0
; COMPUTE_PGM_RSRC2:USER_SGPR: 15
; COMPUTE_PGM_RSRC2:TRAP_HANDLER: 0
; COMPUTE_PGM_RSRC2:TGID_X_EN: 1
; COMPUTE_PGM_RSRC2:TGID_Y_EN: 0
; COMPUTE_PGM_RSRC2:TGID_Z_EN: 0
; COMPUTE_PGM_RSRC2:TIDIG_COMP_CNT: 0
	.section	.text._ZN9rocsparseL26csrgemm_fill_block_per_rowILj1024ELj64ELj4096ELj137ELj64Eli21rocsparse_complex_numIfEEEvT5_PKS3_S5_NS_24const_host_device_scalarIT6_EEPKT4_S5_PKS7_SB_S5_SD_S8_SB_S5_SD_SB_PS3_PS7_21rocsparse_index_base_SG_SG_SG_bbb,"axG",@progbits,_ZN9rocsparseL26csrgemm_fill_block_per_rowILj1024ELj64ELj4096ELj137ELj64Eli21rocsparse_complex_numIfEEEvT5_PKS3_S5_NS_24const_host_device_scalarIT6_EEPKT4_S5_PKS7_SB_S5_SD_S8_SB_S5_SD_SB_PS3_PS7_21rocsparse_index_base_SG_SG_SG_bbb,comdat
	.globl	_ZN9rocsparseL26csrgemm_fill_block_per_rowILj1024ELj64ELj4096ELj137ELj64Eli21rocsparse_complex_numIfEEEvT5_PKS3_S5_NS_24const_host_device_scalarIT6_EEPKT4_S5_PKS7_SB_S5_SD_S8_SB_S5_SD_SB_PS3_PS7_21rocsparse_index_base_SG_SG_SG_bbb ; -- Begin function _ZN9rocsparseL26csrgemm_fill_block_per_rowILj1024ELj64ELj4096ELj137ELj64Eli21rocsparse_complex_numIfEEEvT5_PKS3_S5_NS_24const_host_device_scalarIT6_EEPKT4_S5_PKS7_SB_S5_SD_S8_SB_S5_SD_SB_PS3_PS7_21rocsparse_index_base_SG_SG_SG_bbb
	.p2align	8
	.type	_ZN9rocsparseL26csrgemm_fill_block_per_rowILj1024ELj64ELj4096ELj137ELj64Eli21rocsparse_complex_numIfEEEvT5_PKS3_S5_NS_24const_host_device_scalarIT6_EEPKT4_S5_PKS7_SB_S5_SD_S8_SB_S5_SD_SB_PS3_PS7_21rocsparse_index_base_SG_SG_SG_bbb,@function
_ZN9rocsparseL26csrgemm_fill_block_per_rowILj1024ELj64ELj4096ELj137ELj64Eli21rocsparse_complex_numIfEEEvT5_PKS3_S5_NS_24const_host_device_scalarIT6_EEPKT4_S5_PKS7_SB_S5_SD_S8_SB_S5_SD_SB_PS3_PS7_21rocsparse_index_base_SG_SG_SG_bbb: ; @_ZN9rocsparseL26csrgemm_fill_block_per_rowILj1024ELj64ELj4096ELj137ELj64Eli21rocsparse_complex_numIfEEEvT5_PKS3_S5_NS_24const_host_device_scalarIT6_EEPKT4_S5_PKS7_SB_S5_SD_S8_SB_S5_SD_SB_PS3_PS7_21rocsparse_index_base_SG_SG_SG_bbb
; %bb.0:
	s_clause 0x6
	s_load_b32 s12, s[0:1], 0x98
	s_load_b256 s[16:23], s[0:1], 0x60
	s_load_b256 s[4:11], s[0:1], 0x40
	s_load_b128 s[40:43], s[0:1], 0x8
	s_load_b256 s[24:31], s[0:1], 0x20
	s_load_b64 s[34:35], s[0:1], 0x80
	s_load_b128 s[36:39], s[0:1], 0x88
	s_mov_b32 s3, 0
	s_mov_b32 s13, 0
	s_waitcnt lgkmcnt(0)
	s_bitcmp1_b32 s12, 0
	s_cselect_b32 s44, -1, 0
	s_bitcmp1_b32 s12, 16
	s_cselect_b32 s2, -1, 0
	s_delay_alu instid0(SALU_CYCLE_1) | instskip(SKIP_2) | instid1(VALU_DEP_1)
	s_xor_b32 s14, s2, -1
	s_bitcmp0_b32 s12, 0
	v_cndmask_b32_e64 v1, 0, 1, s14
	v_cmp_ne_u32_e32 vcc_lo, 1, v1
	s_cbranch_scc1 .LBB229_5
; %bb.1:
	s_load_b64 s[2:3], s[0:1], 0x18
	s_and_b32 vcc_lo, exec_lo, vcc_lo
	s_waitcnt lgkmcnt(0)
	s_mov_b32 s13, s2
	s_cbranch_vccnz .LBB229_3
; %bb.2:
	s_load_b32 s13, s[2:3], 0x0
.LBB229_3:
	s_and_not1_b32 vcc_lo, exec_lo, s14
	s_cbranch_vccnz .LBB229_5
; %bb.4:
	s_load_b32 s3, s[2:3], 0x4
.LBB229_5:
	s_bitcmp1_b32 s12, 8
	s_cselect_b32 s14, -1, 0
	s_bfe_u32 s2, s12, 0x10008
	s_mov_b32 s12, 0
	s_cmp_eq_u32 s2, 0
	s_mov_b32 s2, 0
	s_cbranch_scc1 .LBB229_11
; %bb.6:
	v_cmp_ne_u32_e32 vcc_lo, 1, v1
	s_mov_b32 s2, s8
	s_cbranch_vccnz .LBB229_8
; %bb.7:
	s_load_b32 s2, s[8:9], 0x0
.LBB229_8:
	v_cmp_ne_u32_e32 vcc_lo, 1, v1
	s_cbranch_vccnz .LBB229_10
; %bb.9:
	s_load_b32 s9, s[8:9], 0x4
.LBB229_10:
	s_waitcnt lgkmcnt(0)
	s_mov_b32 s12, s9
.LBB229_11:
	s_load_b32 s33, s[0:1], 0x0
	v_lshl_add_u32 v7, v0, 2, 0
	v_lshlrev_b32_e32 v1, 3, v0
	v_or_b32_e32 v8, 0xfffffc00, v0
	s_mov_b32 s0, 0
	s_delay_alu instid0(VALU_DEP_3) | instskip(NEXT) | instid1(VALU_DEP_3)
	v_mov_b32_e32 v2, v7
	v_add3_u32 v9, v1, 0, 0x4000
	v_mov_b32_e32 v1, 0
	v_mov_b32_e32 v3, v8
	s_waitcnt lgkmcnt(0)
	s_delay_alu instid0(VALU_DEP_3)
	v_dual_mov_b32 v5, v9 :: v_dual_mov_b32 v4, s33
.LBB229_12:                             ; =>This Inner Loop Header: Depth=1
	s_delay_alu instid0(VALU_DEP_2)
	v_add_nc_u32_e32 v3, 0x400, v3
	ds_store_b32 v2, v4
	ds_store_2addr_b32 v5, v1, v1 offset1:1
	v_add_nc_u32_e32 v5, 0x2000, v5
	v_add_nc_u32_e32 v2, 0x1000, v2
	v_cmp_lt_u32_e32 vcc_lo, 0xbff, v3
	s_or_b32 s0, vcc_lo, s0
	s_delay_alu instid0(SALU_CYCLE_1)
	s_and_not1_b32 exec_lo, exec_lo, s0
	s_cbranch_execnz .LBB229_12
; %bb.13:
	s_or_b32 exec_lo, exec_lo, s0
	s_waitcnt lgkmcnt(0)
	s_barrier
	buffer_gl0_inv
	s_load_b32 s0, s[40:41], 0x0
	s_mov_b32 s1, 0
	v_lshrrev_b32_e32 v10, 6, v0
	s_waitcnt lgkmcnt(0)
	s_add_i32 s0, s0, s15
	s_delay_alu instid0(SALU_CYCLE_1) | instskip(NEXT) | instid1(SALU_CYCLE_1)
	s_lshl_b64 s[0:1], s[0:1], 2
	s_add_u32 s0, s42, s0
	s_addc_u32 s1, s43, s1
	s_and_b32 vcc_lo, exec_lo, s44
	s_load_b32 s40, s[0:1], 0x0
	s_cbranch_vccz .LBB229_33
; %bb.14:
	s_waitcnt lgkmcnt(0)
	s_ashr_i32 s41, s40, 31
	s_mov_b32 s8, exec_lo
	s_lshl_b64 s[0:1], s[40:41], 3
	s_delay_alu instid0(SALU_CYCLE_1) | instskip(SKIP_3) | instid1(VALU_DEP_1)
	s_add_u32 s0, s24, s0
	s_addc_u32 s1, s25, s1
	s_load_b128 s[44:47], s[0:1], 0x0
	v_sub_co_u32 v1, s0, v10, s36
	v_sub_co_ci_u32_e64 v2, null, 0, 0, s0
	s_waitcnt lgkmcnt(0)
	s_delay_alu instid0(VALU_DEP_2) | instskip(NEXT) | instid1(VALU_DEP_2)
	v_add_co_u32 v1, vcc_lo, s44, v1
	v_add_co_ci_u32_e32 v2, vcc_lo, s45, v2, vcc_lo
	s_sub_u32 s0, s46, s36
	s_subb_u32 s1, s47, 0
	s_delay_alu instid0(VALU_DEP_1) | instid1(SALU_CYCLE_1)
	v_cmpx_gt_i64_e64 s[0:1], v[1:2]
	s_cbranch_execz .LBB229_32
; %bb.15:
	v_and_b32_e32 v3, 63, v0
	s_mov_b32 s15, s37
	s_delay_alu instid0(VALU_DEP_1) | instskip(NEXT) | instid1(VALU_DEP_1)
	v_sub_co_u32 v11, s9, v3, s37
	v_sub_co_ci_u32_e64 v12, null, 0, 0, s9
	s_mov_b32 s9, 0
	s_branch .LBB229_17
.LBB229_16:                             ;   in Loop: Header=BB229_17 Depth=1
	s_or_b32 exec_lo, exec_lo, s24
	v_add_co_u32 v1, vcc_lo, v1, 16
	v_add_co_ci_u32_e32 v2, vcc_lo, 0, v2, vcc_lo
	s_delay_alu instid0(VALU_DEP_1) | instskip(SKIP_1) | instid1(SALU_CYCLE_1)
	v_cmp_le_i64_e32 vcc_lo, s[0:1], v[1:2]
	s_or_b32 s9, vcc_lo, s9
	s_and_not1_b32 exec_lo, exec_lo, s9
	s_cbranch_execz .LBB229_32
.LBB229_17:                             ; =>This Loop Header: Depth=1
                                        ;     Child Loop BB229_20 Depth 2
                                        ;       Child Loop BB229_22 Depth 3
	v_lshlrev_b64 v[3:4], 2, v[1:2]
	s_mov_b32 s24, exec_lo
	s_delay_alu instid0(VALU_DEP_1) | instskip(NEXT) | instid1(VALU_DEP_2)
	v_add_co_u32 v3, vcc_lo, s26, v3
	v_add_co_ci_u32_e32 v4, vcc_lo, s27, v4, vcc_lo
	global_load_b32 v3, v[3:4], off
	s_waitcnt vmcnt(0)
	v_subrev_nc_u32_e32 v3, s36, v3
	s_delay_alu instid0(VALU_DEP_1) | instskip(NEXT) | instid1(VALU_DEP_1)
	v_ashrrev_i32_e32 v4, 31, v3
	v_lshlrev_b64 v[3:4], 3, v[3:4]
	s_delay_alu instid0(VALU_DEP_1) | instskip(NEXT) | instid1(VALU_DEP_2)
	v_add_co_u32 v3, vcc_lo, s30, v3
	v_add_co_ci_u32_e32 v4, vcc_lo, s31, v4, vcc_lo
	global_load_b128 v[13:16], v[3:4], off
	s_waitcnt vmcnt(0)
	v_sub_co_u32 v3, vcc_lo, v15, s15
	v_subrev_co_ci_u32_e32 v4, vcc_lo, 0, v16, vcc_lo
	v_add_co_u32 v5, vcc_lo, v13, v11
	v_add_co_ci_u32_e32 v6, vcc_lo, v14, v12, vcc_lo
	s_delay_alu instid0(VALU_DEP_1)
	v_cmpx_lt_i64_e64 v[5:6], v[3:4]
	s_cbranch_execz .LBB229_16
; %bb.18:                               ;   in Loop: Header=BB229_17 Depth=1
	v_lshlrev_b64 v[13:14], 3, v[1:2]
	s_mov_b32 s25, 0
	s_delay_alu instid0(VALU_DEP_1) | instskip(NEXT) | instid1(VALU_DEP_2)
	v_add_co_u32 v13, vcc_lo, s28, v13
	v_add_co_ci_u32_e32 v14, vcc_lo, s29, v14, vcc_lo
	global_load_b64 v[15:16], v[13:14], off
	s_waitcnt vmcnt(0)
	v_mul_f32_e64 v13, v16, -s3
	s_delay_alu instid0(VALU_DEP_1) | instskip(NEXT) | instid1(VALU_DEP_1)
	v_dual_mul_f32 v14, s13, v16 :: v_dual_fmac_f32 v13, s13, v15
	v_fmac_f32_e32 v14, s3, v15
	s_branch .LBB229_20
.LBB229_19:                             ;   in Loop: Header=BB229_20 Depth=2
	s_or_b32 exec_lo, exec_lo, s41
	v_add_co_u32 v5, vcc_lo, v5, 64
	v_add_co_ci_u32_e32 v6, vcc_lo, 0, v6, vcc_lo
	s_delay_alu instid0(VALU_DEP_1) | instskip(SKIP_1) | instid1(SALU_CYCLE_1)
	v_cmp_ge_i64_e32 vcc_lo, v[5:6], v[3:4]
	s_or_b32 s25, vcc_lo, s25
	s_and_not1_b32 exec_lo, exec_lo, s25
	s_cbranch_execz .LBB229_16
.LBB229_20:                             ;   Parent Loop BB229_17 Depth=1
                                        ; =>  This Loop Header: Depth=2
                                        ;       Child Loop BB229_22 Depth 3
	v_lshlrev_b64 v[15:16], 2, v[5:6]
	v_lshlrev_b64 v[17:18], 3, v[5:6]
	s_mov_b32 s41, 0
	s_delay_alu instid0(VALU_DEP_2) | instskip(NEXT) | instid1(VALU_DEP_3)
	v_add_co_u32 v15, vcc_lo, s4, v15
	v_add_co_ci_u32_e32 v16, vcc_lo, s5, v16, vcc_lo
	global_load_b32 v20, v[15:16], off
	v_add_co_u32 v15, vcc_lo, s6, v17
	v_add_co_ci_u32_e32 v16, vcc_lo, s7, v18, vcc_lo
	global_load_b64 v[18:19], v[15:16], off
	s_waitcnt vmcnt(1)
	v_subrev_nc_u32_e32 v15, s37, v20
	s_delay_alu instid0(VALU_DEP_1) | instskip(SKIP_3) | instid1(VALU_DEP_2)
	v_mul_lo_u32 v20, 0x89, v15
	s_waitcnt vmcnt(0)
	v_mul_f32_e64 v16, v19, -v14
	v_mul_f32_e32 v17, v13, v19
	v_fmac_f32_e32 v16, v13, v18
	s_delay_alu instid0(VALU_DEP_2)
	v_dual_fmac_f32 v17, v14, v18 :: v_dual_and_b32 v18, 0xfff, v20
	s_branch .LBB229_22
.LBB229_21:                             ;   in Loop: Header=BB229_22 Depth=3
	s_or_b32 exec_lo, exec_lo, s42
	s_xor_b32 s42, s43, -1
	s_delay_alu instid0(SALU_CYCLE_1) | instskip(NEXT) | instid1(SALU_CYCLE_1)
	s_and_b32 s42, exec_lo, s42
	s_or_b32 s41, s42, s41
	s_delay_alu instid0(SALU_CYCLE_1)
	s_and_not1_b32 exec_lo, exec_lo, s41
	s_cbranch_execz .LBB229_19
.LBB229_22:                             ;   Parent Loop BB229_17 Depth=1
                                        ;     Parent Loop BB229_20 Depth=2
                                        ; =>    This Inner Loop Header: Depth=3
	s_delay_alu instid0(VALU_DEP_1)
	v_lshl_add_u32 v19, v18, 2, 0
	s_mov_b32 s42, exec_lo
                                        ; implicit-def: $sgpr43
	ds_load_b32 v20, v19
	s_waitcnt lgkmcnt(0)
	v_cmpx_ne_u32_e64 v20, v15
	s_xor_b32 s42, exec_lo, s42
	s_cbranch_execz .LBB229_30
; %bb.23:                               ;   in Loop: Header=BB229_22 Depth=3
	s_mov_b32 s44, exec_lo
                                        ; implicit-def: $sgpr43
	v_cmpx_ne_u32_e64 s33, v20
	s_xor_b32 s44, exec_lo, s44
; %bb.24:                               ;   in Loop: Header=BB229_22 Depth=3
	v_add_nc_u32_e32 v18, 1, v18
	s_mov_b32 s43, -1
                                        ; implicit-def: $vgpr19
	s_delay_alu instid0(VALU_DEP_1)
	v_and_b32_e32 v18, 0xfff, v18
; %bb.25:                               ;   in Loop: Header=BB229_22 Depth=3
	s_and_not1_saveexec_b32 s44, s44
	s_cbranch_execz .LBB229_29
; %bb.26:                               ;   in Loop: Header=BB229_22 Depth=3
	v_mov_b32_e32 v20, s33
	s_mov_b32 s45, -1
	s_mov_b32 s46, exec_lo
	ds_cmpstore_rtn_b32 v20, v19, v15, v20
	s_waitcnt lgkmcnt(0)
	v_cmpx_eq_u32_e64 s33, v20
	s_cbranch_execz .LBB229_28
; %bb.27:                               ;   in Loop: Header=BB229_22 Depth=3
	v_lshl_add_u32 v19, v18, 2, v19
	s_xor_b32 s45, exec_lo, -1
	ds_add_f32 v19, v16 offset:16384
	ds_add_f32 v19, v17 offset:16388
.LBB229_28:                             ;   in Loop: Header=BB229_22 Depth=3
	s_or_b32 exec_lo, exec_lo, s46
	s_delay_alu instid0(SALU_CYCLE_1) | instskip(SKIP_1) | instid1(SALU_CYCLE_1)
	s_and_not1_b32 s43, s43, exec_lo
	s_and_b32 s45, s45, exec_lo
	s_or_b32 s43, s43, s45
.LBB229_29:                             ;   in Loop: Header=BB229_22 Depth=3
	s_or_b32 exec_lo, exec_lo, s44
	s_delay_alu instid0(SALU_CYCLE_1)
	s_and_b32 s43, s43, exec_lo
                                        ; implicit-def: $vgpr19
.LBB229_30:                             ;   in Loop: Header=BB229_22 Depth=3
	s_and_not1_saveexec_b32 s42, s42
	s_cbranch_execz .LBB229_21
; %bb.31:                               ;   in Loop: Header=BB229_22 Depth=3
	v_lshl_add_u32 v19, v18, 2, v19
	s_and_not1_b32 s43, s43, exec_lo
	ds_add_f32 v19, v16 offset:16384
	ds_add_f32 v19, v17 offset:16388
	s_branch .LBB229_21
.LBB229_32:
	s_or_b32 exec_lo, exec_lo, s8
.LBB229_33:
	s_delay_alu instid0(SALU_CYCLE_1)
	s_and_not1_b32 vcc_lo, exec_lo, s14
	s_cbranch_vccnz .LBB229_36
; %bb.34:
	s_waitcnt lgkmcnt(0)
	s_ashr_i32 s41, s40, 31
	s_mov_b32 s3, exec_lo
	s_lshl_b64 s[0:1], s[40:41], 3
	s_delay_alu instid0(SALU_CYCLE_1) | instskip(SKIP_3) | instid1(VALU_DEP_1)
	s_add_u32 s0, s10, s0
	s_addc_u32 s1, s11, s1
	s_load_b128 s[4:7], s[0:1], 0x0
	v_sub_co_u32 v1, s0, v0, s39
	v_sub_co_ci_u32_e64 v2, null, 0, 0, s0
	s_waitcnt lgkmcnt(0)
	s_delay_alu instid0(VALU_DEP_2) | instskip(NEXT) | instid1(VALU_DEP_2)
	v_add_co_u32 v1, vcc_lo, s4, v1
	v_add_co_ci_u32_e32 v2, vcc_lo, s5, v2, vcc_lo
	s_sub_u32 s0, s6, s39
	s_subb_u32 s1, s7, 0
	s_mov_b32 s4, 0
	s_delay_alu instid0(VALU_DEP_1)
	v_cmpx_gt_i64_e64 s[0:1], v[1:2]
	s_cbranch_execnz .LBB229_73
.LBB229_35:
	s_or_b32 exec_lo, exec_lo, s3
.LBB229_36:
	v_mbcnt_lo_u32_b32 v1, -1, 0
	v_lshl_add_u32 v4, v10, 2, 0
	v_cmp_eq_u32_e32 vcc_lo, 0x3ff, v0
	v_cmp_lt_u32_e64 s0, 63, v0
	v_cmp_lt_u32_e64 s1, 0x7f, v0
	v_xor_b32_e32 v1, 63, v1
	v_cmp_lt_u32_e64 s2, 0xbf, v0
	v_cmp_lt_u32_e64 s3, 0xff, v0
	;; [unrolled: 1-line block ×4, first 2 shown]
	v_lshrrev_b64 v[1:2], v1, -1
	v_cmp_lt_u32_e64 s6, 0x1bf, v0
	v_cmp_lt_u32_e64 s7, 0x1ff, v0
	;; [unrolled: 1-line block ×9, first 2 shown]
	v_dual_mov_b32 v5, 0 :: v_dual_mov_b32 v6, 0
	s_mov_b32 s16, 0
	s_waitcnt lgkmcnt(0)
	s_barrier
	buffer_gl0_inv
	s_branch .LBB229_38
.LBB229_37:                             ;   in Loop: Header=BB229_38 Depth=1
	s_or_b32 exec_lo, exec_lo, s15
	s_waitcnt lgkmcnt(0)
	s_barrier
	buffer_gl0_inv
	ds_load_b32 v2, v5 offset:49212
	v_add_nc_u32_e32 v8, 0x400, v8
	v_add_nc_u32_e32 v9, 0x2000, v9
	;; [unrolled: 1-line block ×3, first 2 shown]
	s_delay_alu instid0(VALU_DEP_3) | instskip(NEXT) | instid1(VALU_DEP_1)
	v_cmp_lt_u32_e64 s15, 0xbff, v8
	s_or_b32 s16, s15, s16
	s_waitcnt lgkmcnt(0)
	v_add_nc_u32_e32 v6, v2, v6
	s_and_not1_b32 exec_lo, exec_lo, s16
	s_cbranch_execz .LBB229_85
.LBB229_38:                             ; =>This Inner Loop Header: Depth=1
	ds_load_b32 v10, v7
	ds_load_2addr_b32 v[2:3], v9 offset1:1
	s_waitcnt lgkmcnt(0)
	s_barrier
	buffer_gl0_inv
	v_cmp_gt_i32_e64 s15, s33, v10
	s_delay_alu instid0(VALU_DEP_1) | instskip(NEXT) | instid1(SALU_CYCLE_1)
	s_bcnt1_i32_b32 s17, s15
	v_dual_mov_b32 v12, s17 :: v_dual_and_b32 v11, s15, v1
	s_delay_alu instid0(VALU_DEP_1)
	v_bcnt_u32_b32 v11, v11, 0
	ds_store_b32 v4, v12 offset:49152
	s_waitcnt lgkmcnt(0)
	s_barrier
	buffer_gl0_inv
	s_and_saveexec_b32 s17, s0
	s_cbranch_execnz .LBB229_55
; %bb.39:                               ;   in Loop: Header=BB229_38 Depth=1
	s_or_b32 exec_lo, exec_lo, s17
	s_and_saveexec_b32 s17, s1
	s_cbranch_execnz .LBB229_56
.LBB229_40:                             ;   in Loop: Header=BB229_38 Depth=1
	s_or_b32 exec_lo, exec_lo, s17
	s_and_saveexec_b32 s17, s2
	s_cbranch_execnz .LBB229_57
.LBB229_41:                             ;   in Loop: Header=BB229_38 Depth=1
	s_or_b32 exec_lo, exec_lo, s17
	s_and_saveexec_b32 s17, s3
	s_cbranch_execnz .LBB229_58
.LBB229_42:                             ;   in Loop: Header=BB229_38 Depth=1
	s_or_b32 exec_lo, exec_lo, s17
	s_and_saveexec_b32 s17, s4
	s_cbranch_execnz .LBB229_59
.LBB229_43:                             ;   in Loop: Header=BB229_38 Depth=1
	s_or_b32 exec_lo, exec_lo, s17
	s_and_saveexec_b32 s17, s5
	s_cbranch_execnz .LBB229_60
.LBB229_44:                             ;   in Loop: Header=BB229_38 Depth=1
	s_or_b32 exec_lo, exec_lo, s17
	s_and_saveexec_b32 s17, s6
	s_cbranch_execnz .LBB229_61
.LBB229_45:                             ;   in Loop: Header=BB229_38 Depth=1
	s_or_b32 exec_lo, exec_lo, s17
	s_and_saveexec_b32 s17, s7
	s_cbranch_execnz .LBB229_62
.LBB229_46:                             ;   in Loop: Header=BB229_38 Depth=1
	s_or_b32 exec_lo, exec_lo, s17
	s_and_saveexec_b32 s17, s8
	s_cbranch_execnz .LBB229_63
.LBB229_47:                             ;   in Loop: Header=BB229_38 Depth=1
	s_or_b32 exec_lo, exec_lo, s17
	s_and_saveexec_b32 s17, s9
	s_cbranch_execnz .LBB229_64
.LBB229_48:                             ;   in Loop: Header=BB229_38 Depth=1
	s_or_b32 exec_lo, exec_lo, s17
	s_and_saveexec_b32 s17, s10
	s_cbranch_execnz .LBB229_65
.LBB229_49:                             ;   in Loop: Header=BB229_38 Depth=1
	s_or_b32 exec_lo, exec_lo, s17
	s_and_saveexec_b32 s17, s11
	s_cbranch_execnz .LBB229_66
.LBB229_50:                             ;   in Loop: Header=BB229_38 Depth=1
	s_or_b32 exec_lo, exec_lo, s17
	s_and_saveexec_b32 s17, s12
	s_cbranch_execnz .LBB229_67
.LBB229_51:                             ;   in Loop: Header=BB229_38 Depth=1
	s_or_b32 exec_lo, exec_lo, s17
	s_and_saveexec_b32 s17, s13
	s_cbranch_execnz .LBB229_68
.LBB229_52:                             ;   in Loop: Header=BB229_38 Depth=1
	s_or_b32 exec_lo, exec_lo, s17
	s_and_saveexec_b32 s17, s14
	s_cbranch_execnz .LBB229_69
.LBB229_53:                             ;   in Loop: Header=BB229_38 Depth=1
	s_or_b32 exec_lo, exec_lo, s17
	s_and_saveexec_b32 s17, s15
	s_cbranch_execnz .LBB229_70
.LBB229_54:                             ;   in Loop: Header=BB229_38 Depth=1
	s_or_b32 exec_lo, exec_lo, s17
	s_and_saveexec_b32 s15, vcc_lo
	s_cbranch_execz .LBB229_37
	s_branch .LBB229_71
.LBB229_55:                             ;   in Loop: Header=BB229_38 Depth=1
	ds_load_b32 v12, v5 offset:49152
	s_waitcnt lgkmcnt(0)
	v_add_nc_u32_e32 v11, v12, v11
	s_or_b32 exec_lo, exec_lo, s17
	s_and_saveexec_b32 s17, s1
	s_cbranch_execz .LBB229_40
.LBB229_56:                             ;   in Loop: Header=BB229_38 Depth=1
	ds_load_b32 v12, v5 offset:49156
	s_waitcnt lgkmcnt(0)
	v_add_nc_u32_e32 v11, v12, v11
	s_or_b32 exec_lo, exec_lo, s17
	s_and_saveexec_b32 s17, s2
	s_cbranch_execz .LBB229_41
.LBB229_57:                             ;   in Loop: Header=BB229_38 Depth=1
	ds_load_b32 v12, v5 offset:49160
	s_waitcnt lgkmcnt(0)
	v_add_nc_u32_e32 v11, v12, v11
	s_or_b32 exec_lo, exec_lo, s17
	s_and_saveexec_b32 s17, s3
	s_cbranch_execz .LBB229_42
.LBB229_58:                             ;   in Loop: Header=BB229_38 Depth=1
	ds_load_b32 v12, v5 offset:49164
	s_waitcnt lgkmcnt(0)
	v_add_nc_u32_e32 v11, v12, v11
	s_or_b32 exec_lo, exec_lo, s17
	s_and_saveexec_b32 s17, s4
	s_cbranch_execz .LBB229_43
.LBB229_59:                             ;   in Loop: Header=BB229_38 Depth=1
	ds_load_b32 v12, v5 offset:49168
	s_waitcnt lgkmcnt(0)
	v_add_nc_u32_e32 v11, v12, v11
	s_or_b32 exec_lo, exec_lo, s17
	s_and_saveexec_b32 s17, s5
	s_cbranch_execz .LBB229_44
.LBB229_60:                             ;   in Loop: Header=BB229_38 Depth=1
	ds_load_b32 v12, v5 offset:49172
	s_waitcnt lgkmcnt(0)
	v_add_nc_u32_e32 v11, v12, v11
	s_or_b32 exec_lo, exec_lo, s17
	s_and_saveexec_b32 s17, s6
	s_cbranch_execz .LBB229_45
.LBB229_61:                             ;   in Loop: Header=BB229_38 Depth=1
	ds_load_b32 v12, v5 offset:49176
	s_waitcnt lgkmcnt(0)
	v_add_nc_u32_e32 v11, v12, v11
	s_or_b32 exec_lo, exec_lo, s17
	s_and_saveexec_b32 s17, s7
	s_cbranch_execz .LBB229_46
.LBB229_62:                             ;   in Loop: Header=BB229_38 Depth=1
	ds_load_b32 v12, v5 offset:49180
	s_waitcnt lgkmcnt(0)
	v_add_nc_u32_e32 v11, v12, v11
	s_or_b32 exec_lo, exec_lo, s17
	s_and_saveexec_b32 s17, s8
	s_cbranch_execz .LBB229_47
.LBB229_63:                             ;   in Loop: Header=BB229_38 Depth=1
	ds_load_b32 v12, v5 offset:49184
	s_waitcnt lgkmcnt(0)
	v_add_nc_u32_e32 v11, v12, v11
	s_or_b32 exec_lo, exec_lo, s17
	s_and_saveexec_b32 s17, s9
	s_cbranch_execz .LBB229_48
.LBB229_64:                             ;   in Loop: Header=BB229_38 Depth=1
	ds_load_b32 v12, v5 offset:49188
	s_waitcnt lgkmcnt(0)
	v_add_nc_u32_e32 v11, v12, v11
	s_or_b32 exec_lo, exec_lo, s17
	s_and_saveexec_b32 s17, s10
	s_cbranch_execz .LBB229_49
.LBB229_65:                             ;   in Loop: Header=BB229_38 Depth=1
	ds_load_b32 v12, v5 offset:49192
	s_waitcnt lgkmcnt(0)
	v_add_nc_u32_e32 v11, v12, v11
	s_or_b32 exec_lo, exec_lo, s17
	s_and_saveexec_b32 s17, s11
	s_cbranch_execz .LBB229_50
.LBB229_66:                             ;   in Loop: Header=BB229_38 Depth=1
	ds_load_b32 v12, v5 offset:49196
	s_waitcnt lgkmcnt(0)
	v_add_nc_u32_e32 v11, v12, v11
	s_or_b32 exec_lo, exec_lo, s17
	s_and_saveexec_b32 s17, s12
	s_cbranch_execz .LBB229_51
.LBB229_67:                             ;   in Loop: Header=BB229_38 Depth=1
	ds_load_b32 v12, v5 offset:49200
	s_waitcnt lgkmcnt(0)
	v_add_nc_u32_e32 v11, v12, v11
	s_or_b32 exec_lo, exec_lo, s17
	s_and_saveexec_b32 s17, s13
	s_cbranch_execz .LBB229_52
.LBB229_68:                             ;   in Loop: Header=BB229_38 Depth=1
	ds_load_b32 v12, v5 offset:49204
	s_waitcnt lgkmcnt(0)
	v_add_nc_u32_e32 v11, v12, v11
	s_or_b32 exec_lo, exec_lo, s17
	s_and_saveexec_b32 s17, s14
	s_cbranch_execz .LBB229_53
.LBB229_69:                             ;   in Loop: Header=BB229_38 Depth=1
	ds_load_b32 v12, v5 offset:49208
	s_waitcnt lgkmcnt(0)
	v_add_nc_u32_e32 v11, v12, v11
	s_or_b32 exec_lo, exec_lo, s17
	s_and_saveexec_b32 s17, s15
	s_cbranch_execz .LBB229_54
.LBB229_70:                             ;   in Loop: Header=BB229_38 Depth=1
	s_delay_alu instid0(VALU_DEP_1) | instskip(NEXT) | instid1(VALU_DEP_1)
	v_add3_u32 v12, v6, -1, v11
	v_lshlrev_b32_e32 v13, 3, v12
	v_lshl_add_u32 v12, v12, 2, 0
	s_delay_alu instid0(VALU_DEP_2)
	v_add3_u32 v13, 0, v13, 0x4000
	ds_store_b32 v12, v10
	ds_store_2addr_b32 v13, v2, v3 offset1:1
	s_or_b32 exec_lo, exec_lo, s17
	s_and_saveexec_b32 s15, vcc_lo
	s_cbranch_execz .LBB229_37
.LBB229_71:                             ;   in Loop: Header=BB229_38 Depth=1
	ds_store_b32 v5, v11 offset:49212
	s_branch .LBB229_37
.LBB229_72:                             ;   in Loop: Header=BB229_73 Depth=1
	s_or_b32 exec_lo, exec_lo, s5
	v_add_co_u32 v1, vcc_lo, 0x400, v1
	v_add_co_ci_u32_e32 v2, vcc_lo, 0, v2, vcc_lo
	s_delay_alu instid0(VALU_DEP_1) | instskip(SKIP_1) | instid1(SALU_CYCLE_1)
	v_cmp_le_i64_e32 vcc_lo, s[0:1], v[1:2]
	s_or_b32 s4, vcc_lo, s4
	s_and_not1_b32 exec_lo, exec_lo, s4
	s_cbranch_execz .LBB229_35
.LBB229_73:                             ; =>This Loop Header: Depth=1
                                        ;     Child Loop BB229_75 Depth 2
	v_lshlrev_b64 v[3:4], 2, v[1:2]
	v_lshlrev_b64 v[5:6], 3, v[1:2]
	s_mov_b32 s5, 0
	s_delay_alu instid0(VALU_DEP_2) | instskip(NEXT) | instid1(VALU_DEP_3)
	v_add_co_u32 v3, vcc_lo, s16, v3
	v_add_co_ci_u32_e32 v4, vcc_lo, s17, v4, vcc_lo
	global_load_b32 v13, v[3:4], off
	v_add_co_u32 v3, vcc_lo, s18, v5
	v_add_co_ci_u32_e32 v4, vcc_lo, s19, v6, vcc_lo
	global_load_b64 v[11:12], v[3:4], off
	s_waitcnt vmcnt(1)
	v_subrev_nc_u32_e32 v3, s39, v13
	s_delay_alu instid0(VALU_DEP_1) | instskip(SKIP_2) | instid1(VALU_DEP_1)
	v_mul_lo_u32 v6, 0x89, v3
	s_waitcnt vmcnt(0)
	v_mul_f32_e64 v4, v12, -s12
	v_dual_mul_f32 v5, s2, v12 :: v_dual_fmac_f32 v4, s2, v11
	s_delay_alu instid0(VALU_DEP_1)
	v_dual_fmac_f32 v5, s12, v11 :: v_dual_and_b32 v6, 0xfff, v6
	s_branch .LBB229_75
.LBB229_74:                             ;   in Loop: Header=BB229_75 Depth=2
	s_or_b32 exec_lo, exec_lo, s6
	s_xor_b32 s6, s7, -1
	s_delay_alu instid0(SALU_CYCLE_1) | instskip(NEXT) | instid1(SALU_CYCLE_1)
	s_and_b32 s6, exec_lo, s6
	s_or_b32 s5, s6, s5
	s_delay_alu instid0(SALU_CYCLE_1)
	s_and_not1_b32 exec_lo, exec_lo, s5
	s_cbranch_execz .LBB229_72
.LBB229_75:                             ;   Parent Loop BB229_73 Depth=1
                                        ; =>  This Inner Loop Header: Depth=2
	s_delay_alu instid0(VALU_DEP_1)
	v_lshl_add_u32 v11, v6, 2, 0
	s_mov_b32 s6, exec_lo
                                        ; implicit-def: $sgpr7
	ds_load_b32 v12, v11
	s_waitcnt lgkmcnt(0)
	v_cmpx_ne_u32_e64 v12, v3
	s_xor_b32 s6, exec_lo, s6
	s_cbranch_execz .LBB229_83
; %bb.76:                               ;   in Loop: Header=BB229_75 Depth=2
	s_mov_b32 s8, exec_lo
                                        ; implicit-def: $sgpr7
	v_cmpx_ne_u32_e64 s33, v12
	s_xor_b32 s8, exec_lo, s8
; %bb.77:                               ;   in Loop: Header=BB229_75 Depth=2
	v_add_nc_u32_e32 v6, 1, v6
	s_mov_b32 s7, -1
                                        ; implicit-def: $vgpr11
	s_delay_alu instid0(VALU_DEP_1)
	v_and_b32_e32 v6, 0xfff, v6
; %bb.78:                               ;   in Loop: Header=BB229_75 Depth=2
	s_and_not1_saveexec_b32 s8, s8
	s_cbranch_execz .LBB229_82
; %bb.79:                               ;   in Loop: Header=BB229_75 Depth=2
	v_mov_b32_e32 v12, s33
	s_mov_b32 s9, -1
	s_mov_b32 s10, exec_lo
	ds_cmpstore_rtn_b32 v12, v11, v3, v12
	s_waitcnt lgkmcnt(0)
	v_cmpx_eq_u32_e64 s33, v12
	s_cbranch_execz .LBB229_81
; %bb.80:                               ;   in Loop: Header=BB229_75 Depth=2
	v_lshl_add_u32 v11, v6, 2, v11
	s_xor_b32 s9, exec_lo, -1
	ds_add_f32 v11, v4 offset:16384
	ds_add_f32 v11, v5 offset:16388
.LBB229_81:                             ;   in Loop: Header=BB229_75 Depth=2
	s_or_b32 exec_lo, exec_lo, s10
	s_delay_alu instid0(SALU_CYCLE_1) | instskip(SKIP_1) | instid1(SALU_CYCLE_1)
	s_and_not1_b32 s7, s7, exec_lo
	s_and_b32 s9, s9, exec_lo
	s_or_b32 s7, s7, s9
.LBB229_82:                             ;   in Loop: Header=BB229_75 Depth=2
	s_or_b32 exec_lo, exec_lo, s8
	s_delay_alu instid0(SALU_CYCLE_1)
	s_and_b32 s7, s7, exec_lo
                                        ; implicit-def: $vgpr11
.LBB229_83:                             ;   in Loop: Header=BB229_75 Depth=2
	s_and_not1_saveexec_b32 s6, s6
	s_cbranch_execz .LBB229_74
; %bb.84:                               ;   in Loop: Header=BB229_75 Depth=2
	v_lshl_add_u32 v11, v6, 2, v11
	s_and_not1_b32 s7, s7, exec_lo
	ds_add_f32 v11, v4 offset:16384
	ds_add_f32 v11, v5 offset:16388
	s_branch .LBB229_74
.LBB229_85:
	s_or_b32 exec_lo, exec_lo, s16
	s_ashr_i32 s41, s40, 31
	s_mov_b32 s4, exec_lo
	s_lshl_b64 s[0:1], s[40:41], 3
	s_delay_alu instid0(SALU_CYCLE_1) | instskip(SKIP_4) | instid1(SALU_CYCLE_1)
	s_add_u32 s0, s20, s0
	s_addc_u32 s1, s21, s1
	s_load_b128 s[0:3], s[0:1], 0x0
	s_waitcnt lgkmcnt(0)
	s_sub_i32 s3, s2, s0
	v_cmpx_gt_i32_e64 s3, v0
	s_cbranch_execz .LBB229_95
; %bb.86:
	s_sub_u32 s4, s0, s38
	s_subb_u32 s5, s1, 0
	s_sub_i32 s0, s0, s2
	s_and_b32 s1, s3, 7
	s_cmp_lt_u32 s0, -7
	s_mov_b32 s8, 0
	s_cselect_b32 s2, -1, 0
	s_and_b32 s6, s3, -8
	s_cmp_lg_u32 s1, 0
	s_cselect_b32 s7, -1, 0
	s_branch .LBB229_88
.LBB229_87:                             ;   in Loop: Header=BB229_88 Depth=1
	s_delay_alu instid0(VALU_DEP_1) | instskip(SKIP_4) | instid1(VALU_DEP_4)
	v_lshlrev_b64 v[6:7], 2, v[3:4]
	v_lshlrev_b64 v[3:4], 3, v[3:4]
	v_add_nc_u32_e32 v0, 0x400, v0
	s_waitcnt lgkmcnt(1)
	v_add_nc_u32_e32 v8, s38, v5
	v_add_co_u32 v5, vcc_lo, s22, v6
	v_add_co_ci_u32_e32 v6, vcc_lo, s23, v7, vcc_lo
	v_cmp_le_i32_e32 vcc_lo, s3, v0
	v_add_co_u32 v3, s0, s34, v3
	s_delay_alu instid0(VALU_DEP_1)
	v_add_co_ci_u32_e64 v4, s0, s35, v4, s0
	s_or_b32 s8, vcc_lo, s8
	global_store_b32 v[5:6], v8, off
	s_waitcnt lgkmcnt(0)
	global_store_b64 v[3:4], v[1:2], off
	s_and_not1_b32 exec_lo, exec_lo, s8
	s_cbranch_execz .LBB229_95
.LBB229_88:                             ; =>This Loop Header: Depth=1
                                        ;     Child Loop BB229_90 Depth 2
                                        ;     Child Loop BB229_94 Depth 2
	v_lshlrev_b32_e32 v1, 2, v0
	v_dual_mov_b32 v3, s4 :: v_dual_mov_b32 v4, s5
	s_and_not1_b32 vcc_lo, exec_lo, s2
	s_mov_b32 s0, 0
	s_delay_alu instid0(VALU_DEP_2) | instskip(NEXT) | instid1(VALU_DEP_1)
	v_add_nc_u32_e32 v2, 0, v1
	v_add3_u32 v1, v2, v1, 0x4000
	ds_load_b32 v5, v2
	ds_load_2addr_b32 v[1:2], v1 offset1:1
	s_cbranch_vccnz .LBB229_92
; %bb.89:                               ;   in Loop: Header=BB229_88 Depth=1
	v_dual_mov_b32 v3, s4 :: v_dual_mov_b32 v4, s5
	s_mov_b32 s9, 0
	s_mov_b32 s10, 0
.LBB229_90:                             ;   Parent Loop BB229_88 Depth=1
                                        ; =>  This Inner Loop Header: Depth=2
	s_delay_alu instid0(SALU_CYCLE_1)
	v_mov_b32_e32 v12, s10
	s_add_i32 s9, s9, 8
	s_add_i32 s10, s10, 32
	s_cmp_eq_u32 s6, s9
	ds_load_2addr_b32 v[6:7], v12 offset1:1
	ds_load_2addr_b32 v[8:9], v12 offset0:2 offset1:3
	ds_load_2addr_b32 v[10:11], v12 offset0:4 offset1:5
	;; [unrolled: 1-line block ×3, first 2 shown]
	s_waitcnt lgkmcnt(3)
	v_cmp_gt_i32_e32 vcc_lo, v5, v6
	v_cndmask_b32_e64 v6, 0, 1, vcc_lo
	v_cmp_gt_i32_e32 vcc_lo, v5, v7
	v_cndmask_b32_e64 v7, 0, 1, vcc_lo
	s_waitcnt lgkmcnt(2)
	v_cmp_gt_i32_e32 vcc_lo, v5, v8
	v_cndmask_b32_e64 v8, 0, 1, vcc_lo
	v_cmp_gt_i32_e32 vcc_lo, v5, v9
	v_cndmask_b32_e64 v9, 0, 1, vcc_lo
	s_waitcnt lgkmcnt(1)
	v_cmp_gt_i32_e32 vcc_lo, v5, v10
	v_cndmask_b32_e64 v10, 0, 1, vcc_lo
	v_add_co_u32 v3, vcc_lo, v3, v6
	v_add_co_ci_u32_e32 v4, vcc_lo, 0, v4, vcc_lo
	v_cmp_gt_i32_e32 vcc_lo, v5, v11
	s_delay_alu instid0(VALU_DEP_3) | instskip(NEXT) | instid1(VALU_DEP_1)
	v_add_co_u32 v3, s0, v3, v7
	v_add_co_ci_u32_e64 v4, s0, 0, v4, s0
	v_cndmask_b32_e64 v6, 0, 1, vcc_lo
	s_delay_alu instid0(VALU_DEP_3) | instskip(NEXT) | instid1(VALU_DEP_3)
	v_add_co_u32 v3, vcc_lo, v3, v8
	v_add_co_ci_u32_e32 v4, vcc_lo, 0, v4, vcc_lo
	s_waitcnt lgkmcnt(0)
	v_cmp_gt_i32_e32 vcc_lo, v5, v12
	s_delay_alu instid0(VALU_DEP_3) | instskip(NEXT) | instid1(VALU_DEP_1)
	v_add_co_u32 v3, s0, v3, v9
	v_add_co_ci_u32_e64 v4, s0, 0, v4, s0
	v_cndmask_b32_e64 v7, 0, 1, vcc_lo
	s_delay_alu instid0(VALU_DEP_3) | instskip(NEXT) | instid1(VALU_DEP_3)
	v_add_co_u32 v3, vcc_lo, v3, v10
	v_add_co_ci_u32_e32 v4, vcc_lo, 0, v4, vcc_lo
	v_cmp_gt_i32_e32 vcc_lo, v5, v13
	s_delay_alu instid0(VALU_DEP_3) | instskip(NEXT) | instid1(VALU_DEP_1)
	v_add_co_u32 v3, s0, v3, v6
	v_add_co_ci_u32_e64 v4, s0, 0, v4, s0
	v_cndmask_b32_e64 v6, 0, 1, vcc_lo
	s_delay_alu instid0(VALU_DEP_3) | instskip(NEXT) | instid1(VALU_DEP_3)
	v_add_co_u32 v3, vcc_lo, v3, v7
	v_add_co_ci_u32_e32 v4, vcc_lo, 0, v4, vcc_lo
	s_delay_alu instid0(VALU_DEP_2) | instskip(NEXT) | instid1(VALU_DEP_2)
	v_add_co_u32 v3, vcc_lo, v3, v6
	v_add_co_ci_u32_e32 v4, vcc_lo, 0, v4, vcc_lo
	s_cbranch_scc0 .LBB229_90
; %bb.91:                               ;   in Loop: Header=BB229_88 Depth=1
	s_mov_b32 s0, s6
.LBB229_92:                             ;   in Loop: Header=BB229_88 Depth=1
	s_and_not1_b32 vcc_lo, exec_lo, s7
	s_cbranch_vccnz .LBB229_87
; %bb.93:                               ;   in Loop: Header=BB229_88 Depth=1
	s_lshl_b32 s0, s0, 2
	s_mov_b32 s9, s1
	s_add_i32 s0, s0, 0
.LBB229_94:                             ;   Parent Loop BB229_88 Depth=1
                                        ; =>  This Inner Loop Header: Depth=2
	s_delay_alu instid0(SALU_CYCLE_1)
	v_mov_b32_e32 v6, s0
	s_add_i32 s9, s9, -1
	s_add_i32 s0, s0, 4
	s_cmp_lg_u32 s9, 0
	ds_load_b32 v6, v6
	s_waitcnt lgkmcnt(0)
	v_cmp_gt_i32_e32 vcc_lo, v5, v6
	v_cndmask_b32_e64 v6, 0, 1, vcc_lo
	s_delay_alu instid0(VALU_DEP_1)
	v_add_co_u32 v3, vcc_lo, v3, v6
	v_add_co_ci_u32_e32 v4, vcc_lo, 0, v4, vcc_lo
	s_cbranch_scc1 .LBB229_94
	s_branch .LBB229_87
.LBB229_95:
	s_nop 0
	s_sendmsg sendmsg(MSG_DEALLOC_VGPRS)
	s_endpgm
	.section	.rodata,"a",@progbits
	.p2align	6, 0x0
	.amdhsa_kernel _ZN9rocsparseL26csrgemm_fill_block_per_rowILj1024ELj64ELj4096ELj137ELj64Eli21rocsparse_complex_numIfEEEvT5_PKS3_S5_NS_24const_host_device_scalarIT6_EEPKT4_S5_PKS7_SB_S5_SD_S8_SB_S5_SD_SB_PS3_PS7_21rocsparse_index_base_SG_SG_SG_bbb
		.amdhsa_group_segment_fixed_size 0
		.amdhsa_private_segment_fixed_size 0
		.amdhsa_kernarg_size 156
		.amdhsa_user_sgpr_count 15
		.amdhsa_user_sgpr_dispatch_ptr 0
		.amdhsa_user_sgpr_queue_ptr 0
		.amdhsa_user_sgpr_kernarg_segment_ptr 1
		.amdhsa_user_sgpr_dispatch_id 0
		.amdhsa_user_sgpr_private_segment_size 0
		.amdhsa_wavefront_size32 1
		.amdhsa_uses_dynamic_stack 0
		.amdhsa_enable_private_segment 0
		.amdhsa_system_sgpr_workgroup_id_x 1
		.amdhsa_system_sgpr_workgroup_id_y 0
		.amdhsa_system_sgpr_workgroup_id_z 0
		.amdhsa_system_sgpr_workgroup_info 0
		.amdhsa_system_vgpr_workitem_id 0
		.amdhsa_next_free_vgpr 21
		.amdhsa_next_free_sgpr 48
		.amdhsa_reserve_vcc 1
		.amdhsa_float_round_mode_32 0
		.amdhsa_float_round_mode_16_64 0
		.amdhsa_float_denorm_mode_32 3
		.amdhsa_float_denorm_mode_16_64 3
		.amdhsa_dx10_clamp 1
		.amdhsa_ieee_mode 1
		.amdhsa_fp16_overflow 0
		.amdhsa_workgroup_processor_mode 1
		.amdhsa_memory_ordered 1
		.amdhsa_forward_progress 0
		.amdhsa_shared_vgpr_count 0
		.amdhsa_exception_fp_ieee_invalid_op 0
		.amdhsa_exception_fp_denorm_src 0
		.amdhsa_exception_fp_ieee_div_zero 0
		.amdhsa_exception_fp_ieee_overflow 0
		.amdhsa_exception_fp_ieee_underflow 0
		.amdhsa_exception_fp_ieee_inexact 0
		.amdhsa_exception_int_div_zero 0
	.end_amdhsa_kernel
	.section	.text._ZN9rocsparseL26csrgemm_fill_block_per_rowILj1024ELj64ELj4096ELj137ELj64Eli21rocsparse_complex_numIfEEEvT5_PKS3_S5_NS_24const_host_device_scalarIT6_EEPKT4_S5_PKS7_SB_S5_SD_S8_SB_S5_SD_SB_PS3_PS7_21rocsparse_index_base_SG_SG_SG_bbb,"axG",@progbits,_ZN9rocsparseL26csrgemm_fill_block_per_rowILj1024ELj64ELj4096ELj137ELj64Eli21rocsparse_complex_numIfEEEvT5_PKS3_S5_NS_24const_host_device_scalarIT6_EEPKT4_S5_PKS7_SB_S5_SD_S8_SB_S5_SD_SB_PS3_PS7_21rocsparse_index_base_SG_SG_SG_bbb,comdat
.Lfunc_end229:
	.size	_ZN9rocsparseL26csrgemm_fill_block_per_rowILj1024ELj64ELj4096ELj137ELj64Eli21rocsparse_complex_numIfEEEvT5_PKS3_S5_NS_24const_host_device_scalarIT6_EEPKT4_S5_PKS7_SB_S5_SD_S8_SB_S5_SD_SB_PS3_PS7_21rocsparse_index_base_SG_SG_SG_bbb, .Lfunc_end229-_ZN9rocsparseL26csrgemm_fill_block_per_rowILj1024ELj64ELj4096ELj137ELj64Eli21rocsparse_complex_numIfEEEvT5_PKS3_S5_NS_24const_host_device_scalarIT6_EEPKT4_S5_PKS7_SB_S5_SD_S8_SB_S5_SD_SB_PS3_PS7_21rocsparse_index_base_SG_SG_SG_bbb
                                        ; -- End function
	.section	.AMDGPU.csdata,"",@progbits
; Kernel info:
; codeLenInByte = 3604
; NumSgprs: 50
; NumVgprs: 21
; ScratchSize: 0
; MemoryBound: 0
; FloatMode: 240
; IeeeMode: 1
; LDSByteSize: 0 bytes/workgroup (compile time only)
; SGPRBlocks: 6
; VGPRBlocks: 2
; NumSGPRsForWavesPerEU: 50
; NumVGPRsForWavesPerEU: 21
; Occupancy: 16
; WaveLimiterHint : 1
; COMPUTE_PGM_RSRC2:SCRATCH_EN: 0
; COMPUTE_PGM_RSRC2:USER_SGPR: 15
; COMPUTE_PGM_RSRC2:TRAP_HANDLER: 0
; COMPUTE_PGM_RSRC2:TGID_X_EN: 1
; COMPUTE_PGM_RSRC2:TGID_Y_EN: 0
; COMPUTE_PGM_RSRC2:TGID_Z_EN: 0
; COMPUTE_PGM_RSRC2:TIDIG_COMP_CNT: 0
	.section	.text._ZN9rocsparseL26csrgemm_fill_block_per_rowILj1024ELj64ELj8192ELj137ELj32Eli21rocsparse_complex_numIfEEEvT5_PKS3_S5_NS_24const_host_device_scalarIT6_EEPKT4_S5_PKS7_SB_S5_SD_S8_SB_S5_SD_SB_PS3_PS7_21rocsparse_index_base_SG_SG_SG_bbb,"axG",@progbits,_ZN9rocsparseL26csrgemm_fill_block_per_rowILj1024ELj64ELj8192ELj137ELj32Eli21rocsparse_complex_numIfEEEvT5_PKS3_S5_NS_24const_host_device_scalarIT6_EEPKT4_S5_PKS7_SB_S5_SD_S8_SB_S5_SD_SB_PS3_PS7_21rocsparse_index_base_SG_SG_SG_bbb,comdat
	.globl	_ZN9rocsparseL26csrgemm_fill_block_per_rowILj1024ELj64ELj8192ELj137ELj32Eli21rocsparse_complex_numIfEEEvT5_PKS3_S5_NS_24const_host_device_scalarIT6_EEPKT4_S5_PKS7_SB_S5_SD_S8_SB_S5_SD_SB_PS3_PS7_21rocsparse_index_base_SG_SG_SG_bbb ; -- Begin function _ZN9rocsparseL26csrgemm_fill_block_per_rowILj1024ELj64ELj8192ELj137ELj32Eli21rocsparse_complex_numIfEEEvT5_PKS3_S5_NS_24const_host_device_scalarIT6_EEPKT4_S5_PKS7_SB_S5_SD_S8_SB_S5_SD_SB_PS3_PS7_21rocsparse_index_base_SG_SG_SG_bbb
	.p2align	8
	.type	_ZN9rocsparseL26csrgemm_fill_block_per_rowILj1024ELj64ELj8192ELj137ELj32Eli21rocsparse_complex_numIfEEEvT5_PKS3_S5_NS_24const_host_device_scalarIT6_EEPKT4_S5_PKS7_SB_S5_SD_S8_SB_S5_SD_SB_PS3_PS7_21rocsparse_index_base_SG_SG_SG_bbb,@function
_ZN9rocsparseL26csrgemm_fill_block_per_rowILj1024ELj64ELj8192ELj137ELj32Eli21rocsparse_complex_numIfEEEvT5_PKS3_S5_NS_24const_host_device_scalarIT6_EEPKT4_S5_PKS7_SB_S5_SD_S8_SB_S5_SD_SB_PS3_PS7_21rocsparse_index_base_SG_SG_SG_bbb: ; @_ZN9rocsparseL26csrgemm_fill_block_per_rowILj1024ELj64ELj8192ELj137ELj32Eli21rocsparse_complex_numIfEEEvT5_PKS3_S5_NS_24const_host_device_scalarIT6_EEPKT4_S5_PKS7_SB_S5_SD_S8_SB_S5_SD_SB_PS3_PS7_21rocsparse_index_base_SG_SG_SG_bbb
; %bb.0:
	s_clause 0x6
	s_load_b32 s12, s[0:1], 0x98
	s_load_b256 s[36:43], s[0:1], 0x60
	s_load_b256 s[4:11], s[0:1], 0x40
	s_load_b128 s[24:27], s[0:1], 0x8
	s_load_b256 s[16:23], s[0:1], 0x20
	s_load_b64 s[34:35], s[0:1], 0x80
	s_load_b128 s[44:47], s[0:1], 0x88
	s_mov_b32 s3, 0
	s_mov_b32 s13, 0
	s_waitcnt lgkmcnt(0)
	s_bitcmp1_b32 s12, 0
	s_cselect_b32 s28, -1, 0
	s_bitcmp1_b32 s12, 16
	s_cselect_b32 s2, -1, 0
	s_delay_alu instid0(SALU_CYCLE_1) | instskip(SKIP_2) | instid1(VALU_DEP_1)
	s_xor_b32 s14, s2, -1
	s_bitcmp0_b32 s12, 0
	v_cndmask_b32_e64 v1, 0, 1, s14
	v_cmp_ne_u32_e32 vcc_lo, 1, v1
	s_cbranch_scc1 .LBB230_5
; %bb.1:
	s_load_b64 s[2:3], s[0:1], 0x18
	s_and_b32 vcc_lo, exec_lo, vcc_lo
	s_waitcnt lgkmcnt(0)
	s_mov_b32 s13, s2
	s_cbranch_vccnz .LBB230_3
; %bb.2:
	s_load_b32 s13, s[2:3], 0x0
.LBB230_3:
	s_and_not1_b32 vcc_lo, exec_lo, s14
	s_cbranch_vccnz .LBB230_5
; %bb.4:
	s_load_b32 s3, s[2:3], 0x4
.LBB230_5:
	s_bitcmp1_b32 s12, 8
	s_cselect_b32 s14, -1, 0
	s_bfe_u32 s2, s12, 0x10008
	s_mov_b32 s12, 0
	s_cmp_eq_u32 s2, 0
	s_mov_b32 s2, 0
	s_cbranch_scc1 .LBB230_11
; %bb.6:
	v_cmp_ne_u32_e32 vcc_lo, 1, v1
	s_mov_b32 s2, s8
	s_cbranch_vccnz .LBB230_8
; %bb.7:
	s_load_b32 s2, s[8:9], 0x0
.LBB230_8:
	v_cmp_ne_u32_e32 vcc_lo, 1, v1
	s_cbranch_vccnz .LBB230_10
; %bb.9:
	s_load_b32 s9, s[8:9], 0x4
.LBB230_10:
	s_waitcnt lgkmcnt(0)
	s_mov_b32 s12, s9
.LBB230_11:
	s_load_b32 s33, s[0:1], 0x0
	v_lshlrev_b32_e32 v1, 2, v0
	v_dual_mov_b32 v3, 0 :: v_dual_lshlrev_b32 v8, 3, v0
	s_mov_b32 s1, 0
	s_delay_alu instid0(VALU_DEP_2) | instskip(NEXT) | instid1(VALU_DEP_2)
	v_add_nc_u32_e32 v7, 0, v1
	v_add3_u32 v2, 0, 0x8000, v8
	s_delay_alu instid0(VALU_DEP_2) | instskip(NEXT) | instid1(VALU_DEP_2)
	v_add3_u32 v1, v7, v1, 0x8000
	v_add_nc_u32_e32 v4, 0x2000, v2
	v_add_nc_u32_e32 v5, 0x4000, v2
	;; [unrolled: 1-line block ×3, first 2 shown]
	s_waitcnt lgkmcnt(0)
	v_dual_mov_b32 v12, s33 :: v_dual_add_nc_u32 v9, 0x8000, v2
	v_mov_b32_e32 v10, s33
	ds_store_2addr_b32 v1, v3, v3 offset1:1
	ds_store_2addr_b32 v4, v3, v3 offset1:1
	;; [unrolled: 1-line block ×4, first 2 shown]
	v_dual_mov_b32 v1, s33 :: v_dual_mov_b32 v4, s33
	v_dual_mov_b32 v5, s33 :: v_dual_mov_b32 v6, s33
	v_mov_b32_e32 v11, s33
	v_mov_b32_e32 v13, s33
	ds_store_2addr_stride64_b32 v7, v1, v4 offset1:16
	ds_store_2addr_stride64_b32 v7, v5, v6 offset0:32 offset1:48
	ds_store_2addr_stride64_b32 v7, v10, v11 offset0:64 offset1:80
	v_add_nc_u32_e32 v1, 0xa000, v2
	v_add_nc_u32_e32 v4, 0xc000, v2
	;; [unrolled: 1-line block ×3, first 2 shown]
	ds_store_2addr_stride64_b32 v7, v12, v13 offset0:96 offset1:112
	ds_store_2addr_b32 v9, v3, v3 offset1:1
	ds_store_2addr_b32 v1, v3, v3 offset1:1
	;; [unrolled: 1-line block ×4, first 2 shown]
	s_waitcnt lgkmcnt(0)
	s_barrier
	buffer_gl0_inv
	s_load_b32 s0, s[24:25], 0x0
	s_waitcnt lgkmcnt(0)
	s_add_i32 s0, s0, s15
	s_delay_alu instid0(SALU_CYCLE_1) | instskip(NEXT) | instid1(SALU_CYCLE_1)
	s_lshl_b64 s[0:1], s[0:1], 2
	s_add_u32 s0, s26, s0
	s_addc_u32 s1, s27, s1
	s_and_not1_b32 vcc_lo, exec_lo, s28
	s_load_b32 s48, s[0:1], 0x0
	s_cbranch_vccnz .LBB230_31
; %bb.12:
	s_waitcnt lgkmcnt(0)
	s_ashr_i32 s49, s48, 31
	v_lshrrev_b32_e32 v1, 6, v0
	s_lshl_b64 s[0:1], s[48:49], 3
	s_mov_b32 s8, exec_lo
	s_add_u32 s0, s16, s0
	s_addc_u32 s1, s17, s1
	s_load_b128 s[24:27], s[0:1], 0x0
	v_sub_co_u32 v1, s0, v1, s44
	s_delay_alu instid0(VALU_DEP_1) | instskip(SKIP_1) | instid1(VALU_DEP_2)
	v_sub_co_ci_u32_e64 v2, null, 0, 0, s0
	s_waitcnt lgkmcnt(0)
	v_add_co_u32 v1, vcc_lo, s24, v1
	s_delay_alu instid0(VALU_DEP_2)
	v_add_co_ci_u32_e32 v2, vcc_lo, s25, v2, vcc_lo
	s_sub_u32 s0, s26, s44
	s_subb_u32 s1, s27, 0
	s_delay_alu instid0(VALU_DEP_1) | instid1(SALU_CYCLE_1)
	v_cmpx_gt_i64_e64 s[0:1], v[1:2]
	s_cbranch_execz .LBB230_30
; %bb.13:
	v_and_b32_e32 v3, 63, v0
	s_mov_b32 s15, s45
	s_delay_alu instid0(VALU_DEP_1) | instskip(NEXT) | instid1(VALU_DEP_1)
	v_sub_co_u32 v9, s9, v3, s45
	v_sub_co_ci_u32_e64 v10, null, 0, 0, s9
	s_mov_b32 s9, 0
	s_branch .LBB230_15
.LBB230_14:                             ;   in Loop: Header=BB230_15 Depth=1
	s_or_b32 exec_lo, exec_lo, s16
	v_add_co_u32 v1, vcc_lo, v1, 16
	v_add_co_ci_u32_e32 v2, vcc_lo, 0, v2, vcc_lo
	s_delay_alu instid0(VALU_DEP_1) | instskip(SKIP_1) | instid1(SALU_CYCLE_1)
	v_cmp_le_i64_e32 vcc_lo, s[0:1], v[1:2]
	s_or_b32 s9, vcc_lo, s9
	s_and_not1_b32 exec_lo, exec_lo, s9
	s_cbranch_execz .LBB230_30
.LBB230_15:                             ; =>This Loop Header: Depth=1
                                        ;     Child Loop BB230_18 Depth 2
                                        ;       Child Loop BB230_20 Depth 3
	v_lshlrev_b64 v[3:4], 2, v[1:2]
	s_mov_b32 s16, exec_lo
	s_delay_alu instid0(VALU_DEP_1) | instskip(NEXT) | instid1(VALU_DEP_2)
	v_add_co_u32 v3, vcc_lo, s18, v3
	v_add_co_ci_u32_e32 v4, vcc_lo, s19, v4, vcc_lo
	global_load_b32 v3, v[3:4], off
	s_waitcnt vmcnt(0)
	v_subrev_nc_u32_e32 v3, s44, v3
	s_delay_alu instid0(VALU_DEP_1) | instskip(NEXT) | instid1(VALU_DEP_1)
	v_ashrrev_i32_e32 v4, 31, v3
	v_lshlrev_b64 v[3:4], 3, v[3:4]
	s_delay_alu instid0(VALU_DEP_1) | instskip(NEXT) | instid1(VALU_DEP_2)
	v_add_co_u32 v3, vcc_lo, s22, v3
	v_add_co_ci_u32_e32 v4, vcc_lo, s23, v4, vcc_lo
	global_load_b128 v[11:14], v[3:4], off
	s_waitcnt vmcnt(0)
	v_sub_co_u32 v3, vcc_lo, v13, s15
	v_subrev_co_ci_u32_e32 v4, vcc_lo, 0, v14, vcc_lo
	v_add_co_u32 v5, vcc_lo, v11, v9
	v_add_co_ci_u32_e32 v6, vcc_lo, v12, v10, vcc_lo
	s_delay_alu instid0(VALU_DEP_1)
	v_cmpx_lt_i64_e64 v[5:6], v[3:4]
	s_cbranch_execz .LBB230_14
; %bb.16:                               ;   in Loop: Header=BB230_15 Depth=1
	v_lshlrev_b64 v[11:12], 3, v[1:2]
	s_mov_b32 s17, 0
	s_delay_alu instid0(VALU_DEP_1) | instskip(NEXT) | instid1(VALU_DEP_2)
	v_add_co_u32 v11, vcc_lo, s20, v11
	v_add_co_ci_u32_e32 v12, vcc_lo, s21, v12, vcc_lo
	global_load_b64 v[13:14], v[11:12], off
	s_waitcnt vmcnt(0)
	v_mul_f32_e64 v11, v14, -s3
	s_delay_alu instid0(VALU_DEP_1) | instskip(NEXT) | instid1(VALU_DEP_1)
	v_dual_mul_f32 v12, s13, v14 :: v_dual_fmac_f32 v11, s13, v13
	v_fmac_f32_e32 v12, s3, v13
	s_branch .LBB230_18
.LBB230_17:                             ;   in Loop: Header=BB230_18 Depth=2
	s_or_b32 exec_lo, exec_lo, s24
	v_add_co_u32 v5, vcc_lo, v5, 64
	v_add_co_ci_u32_e32 v6, vcc_lo, 0, v6, vcc_lo
	s_delay_alu instid0(VALU_DEP_1) | instskip(SKIP_1) | instid1(SALU_CYCLE_1)
	v_cmp_ge_i64_e32 vcc_lo, v[5:6], v[3:4]
	s_or_b32 s17, vcc_lo, s17
	s_and_not1_b32 exec_lo, exec_lo, s17
	s_cbranch_execz .LBB230_14
.LBB230_18:                             ;   Parent Loop BB230_15 Depth=1
                                        ; =>  This Loop Header: Depth=2
                                        ;       Child Loop BB230_20 Depth 3
	v_lshlrev_b64 v[13:14], 2, v[5:6]
	v_lshlrev_b64 v[15:16], 3, v[5:6]
	s_mov_b32 s24, 0
	s_delay_alu instid0(VALU_DEP_2) | instskip(NEXT) | instid1(VALU_DEP_3)
	v_add_co_u32 v13, vcc_lo, s4, v13
	v_add_co_ci_u32_e32 v14, vcc_lo, s5, v14, vcc_lo
	global_load_b32 v18, v[13:14], off
	v_add_co_u32 v13, vcc_lo, s6, v15
	v_add_co_ci_u32_e32 v14, vcc_lo, s7, v16, vcc_lo
	global_load_b64 v[16:17], v[13:14], off
	s_waitcnt vmcnt(1)
	v_subrev_nc_u32_e32 v13, s45, v18
	s_delay_alu instid0(VALU_DEP_1) | instskip(SKIP_3) | instid1(VALU_DEP_2)
	v_mul_lo_u32 v18, 0x89, v13
	s_waitcnt vmcnt(0)
	v_mul_f32_e64 v14, v17, -v12
	v_mul_f32_e32 v15, v11, v17
	v_fmac_f32_e32 v14, v11, v16
	s_delay_alu instid0(VALU_DEP_2)
	v_dual_fmac_f32 v15, v12, v16 :: v_dual_and_b32 v16, 0x1fff, v18
	s_branch .LBB230_20
.LBB230_19:                             ;   in Loop: Header=BB230_20 Depth=3
	s_or_b32 exec_lo, exec_lo, s25
	s_xor_b32 s25, s26, -1
	s_delay_alu instid0(SALU_CYCLE_1) | instskip(NEXT) | instid1(SALU_CYCLE_1)
	s_and_b32 s25, exec_lo, s25
	s_or_b32 s24, s25, s24
	s_delay_alu instid0(SALU_CYCLE_1)
	s_and_not1_b32 exec_lo, exec_lo, s24
	s_cbranch_execz .LBB230_17
.LBB230_20:                             ;   Parent Loop BB230_15 Depth=1
                                        ;     Parent Loop BB230_18 Depth=2
                                        ; =>    This Inner Loop Header: Depth=3
	s_delay_alu instid0(VALU_DEP_1)
	v_lshl_add_u32 v17, v16, 2, 0
	s_mov_b32 s25, exec_lo
                                        ; implicit-def: $sgpr26
	ds_load_b32 v18, v17
	s_waitcnt lgkmcnt(0)
	v_cmpx_ne_u32_e64 v18, v13
	s_xor_b32 s25, exec_lo, s25
	s_cbranch_execz .LBB230_28
; %bb.21:                               ;   in Loop: Header=BB230_20 Depth=3
	s_mov_b32 s27, exec_lo
                                        ; implicit-def: $sgpr26
	v_cmpx_ne_u32_e64 s33, v18
	s_xor_b32 s27, exec_lo, s27
; %bb.22:                               ;   in Loop: Header=BB230_20 Depth=3
	v_add_nc_u32_e32 v16, 1, v16
	s_mov_b32 s26, -1
                                        ; implicit-def: $vgpr17
	s_delay_alu instid0(VALU_DEP_1)
	v_and_b32_e32 v16, 0x1fff, v16
; %bb.23:                               ;   in Loop: Header=BB230_20 Depth=3
	s_and_not1_saveexec_b32 s27, s27
	s_cbranch_execz .LBB230_27
; %bb.24:                               ;   in Loop: Header=BB230_20 Depth=3
	v_mov_b32_e32 v18, s33
	s_mov_b32 s28, -1
	s_mov_b32 s29, exec_lo
	ds_cmpstore_rtn_b32 v18, v17, v13, v18
	s_waitcnt lgkmcnt(0)
	v_cmpx_eq_u32_e64 s33, v18
	s_cbranch_execz .LBB230_26
; %bb.25:                               ;   in Loop: Header=BB230_20 Depth=3
	v_lshl_add_u32 v17, v16, 2, v17
	s_xor_b32 s28, exec_lo, -1
	ds_add_f32 v17, v14 offset:32768
	ds_add_f32 v17, v15 offset:32772
.LBB230_26:                             ;   in Loop: Header=BB230_20 Depth=3
	s_or_b32 exec_lo, exec_lo, s29
	s_delay_alu instid0(SALU_CYCLE_1) | instskip(SKIP_1) | instid1(SALU_CYCLE_1)
	s_and_not1_b32 s26, s26, exec_lo
	s_and_b32 s28, s28, exec_lo
	s_or_b32 s26, s26, s28
.LBB230_27:                             ;   in Loop: Header=BB230_20 Depth=3
	s_or_b32 exec_lo, exec_lo, s27
	s_delay_alu instid0(SALU_CYCLE_1)
	s_and_b32 s26, s26, exec_lo
                                        ; implicit-def: $vgpr17
.LBB230_28:                             ;   in Loop: Header=BB230_20 Depth=3
	s_and_not1_saveexec_b32 s25, s25
	s_cbranch_execz .LBB230_19
; %bb.29:                               ;   in Loop: Header=BB230_20 Depth=3
	v_lshl_add_u32 v17, v16, 2, v17
	s_and_not1_b32 s26, s26, exec_lo
	ds_add_f32 v17, v14 offset:32768
	ds_add_f32 v17, v15 offset:32772
	s_branch .LBB230_19
.LBB230_30:
	s_or_b32 exec_lo, exec_lo, s8
.LBB230_31:
	s_delay_alu instid0(SALU_CYCLE_1)
	s_and_not1_b32 vcc_lo, exec_lo, s14
	s_cbranch_vccnz .LBB230_34
; %bb.32:
	s_waitcnt lgkmcnt(0)
	s_ashr_i32 s49, s48, 31
	s_mov_b32 s3, exec_lo
	s_lshl_b64 s[0:1], s[48:49], 3
	s_delay_alu instid0(SALU_CYCLE_1) | instskip(SKIP_3) | instid1(VALU_DEP_1)
	s_add_u32 s0, s10, s0
	s_addc_u32 s1, s11, s1
	s_load_b128 s[4:7], s[0:1], 0x0
	v_sub_co_u32 v1, s0, v0, s47
	v_sub_co_ci_u32_e64 v2, null, 0, 0, s0
	s_waitcnt lgkmcnt(0)
	s_delay_alu instid0(VALU_DEP_2) | instskip(NEXT) | instid1(VALU_DEP_2)
	v_add_co_u32 v1, vcc_lo, s4, v1
	v_add_co_ci_u32_e32 v2, vcc_lo, s5, v2, vcc_lo
	s_sub_u32 s0, s6, s47
	s_subb_u32 s1, s7, 0
	s_mov_b32 s4, 0
	s_delay_alu instid0(VALU_DEP_1)
	v_cmpx_gt_i64_e64 s[0:1], v[1:2]
	s_cbranch_execnz .LBB230_103
.LBB230_33:
	s_or_b32 exec_lo, exec_lo, s3
.LBB230_34:
	v_mbcnt_lo_u32_b32 v1, -1, 0
	v_lshrrev_b32_e32 v2, 3, v0
	s_add_i32 s70, 0, 0x1807c
	v_cmp_eq_u32_e32 vcc_lo, 0x3ff, v0
	v_cmp_lt_u32_e64 s0, 31, v0
	v_xor_b32_e32 v1, 63, v1
	v_and_b32_e32 v3, 0x7c, v2
	v_cmp_lt_u32_e64 s1, 63, v0
	v_cmp_lt_u32_e64 s2, 0x5f, v0
	;; [unrolled: 1-line block ×3, first 2 shown]
	v_lshrrev_b64 v[1:2], v1, -1
	v_cmp_lt_u32_e64 s4, 0x9f, v0
	v_cmp_lt_u32_e64 s5, 0xbf, v0
	;; [unrolled: 1-line block ×27, first 2 shown]
	v_add3_u32 v5, v8, 0, 0x8000
	v_mov_b32_e32 v8, 0
	v_add3_u32 v4, 0, 0x18000, v3
	v_or_b32_e32 v6, 0xfffffc00, v0
	v_mov_b32_e32 v9, s70
	s_mov_b32 s36, 0
	s_add_i32 s37, 0, 0x18000
	s_add_i32 s38, 0, 0x18004
	;; [unrolled: 1-line block ×31, first 2 shown]
	s_waitcnt lgkmcnt(0)
	s_barrier
	buffer_gl0_inv
	s_branch .LBB230_36
.LBB230_35:                             ;   in Loop: Header=BB230_36 Depth=1
	s_or_b32 exec_lo, exec_lo, s31
	s_waitcnt lgkmcnt(0)
	s_barrier
	buffer_gl0_inv
	ds_load_b32 v2, v9
	v_add_nc_u32_e32 v6, 0x400, v6
	v_add_nc_u32_e32 v5, 0x2000, v5
	;; [unrolled: 1-line block ×3, first 2 shown]
	s_delay_alu instid0(VALU_DEP_3) | instskip(NEXT) | instid1(VALU_DEP_1)
	v_cmp_lt_u32_e64 s31, 0x1bff, v6
	s_or_b32 s36, s31, s36
	s_waitcnt lgkmcnt(0)
	v_add_nc_u32_e32 v8, v2, v8
	s_and_not1_b32 exec_lo, exec_lo, s36
	s_cbranch_execz .LBB230_115
.LBB230_36:                             ; =>This Inner Loop Header: Depth=1
	ds_load_b32 v10, v7
	ds_load_2addr_b32 v[2:3], v5 offset1:1
	s_waitcnt lgkmcnt(0)
	s_barrier
	buffer_gl0_inv
	v_cmp_gt_i32_e64 s31, s33, v10
	s_delay_alu instid0(VALU_DEP_1) | instskip(NEXT) | instid1(SALU_CYCLE_1)
	s_bcnt1_i32_b32 s75, s31
	v_dual_mov_b32 v12, s75 :: v_dual_and_b32 v11, s31, v1
	s_delay_alu instid0(VALU_DEP_1)
	v_bcnt_u32_b32 v11, v11, 0
	ds_store_b32 v4, v12
	s_waitcnt lgkmcnt(0)
	s_barrier
	buffer_gl0_inv
	s_and_saveexec_b32 s75, s0
	s_cbranch_execnz .LBB230_69
; %bb.37:                               ;   in Loop: Header=BB230_36 Depth=1
	s_or_b32 exec_lo, exec_lo, s75
	s_and_saveexec_b32 s75, s1
	s_cbranch_execnz .LBB230_70
.LBB230_38:                             ;   in Loop: Header=BB230_36 Depth=1
	s_or_b32 exec_lo, exec_lo, s75
	s_and_saveexec_b32 s75, s2
	s_cbranch_execnz .LBB230_71
.LBB230_39:                             ;   in Loop: Header=BB230_36 Depth=1
	s_or_b32 exec_lo, exec_lo, s75
	s_and_saveexec_b32 s75, s3
	s_cbranch_execnz .LBB230_72
.LBB230_40:                             ;   in Loop: Header=BB230_36 Depth=1
	s_or_b32 exec_lo, exec_lo, s75
	s_and_saveexec_b32 s75, s4
	s_cbranch_execnz .LBB230_73
.LBB230_41:                             ;   in Loop: Header=BB230_36 Depth=1
	s_or_b32 exec_lo, exec_lo, s75
	s_and_saveexec_b32 s75, s5
	s_cbranch_execnz .LBB230_74
.LBB230_42:                             ;   in Loop: Header=BB230_36 Depth=1
	s_or_b32 exec_lo, exec_lo, s75
	s_and_saveexec_b32 s75, s6
	s_cbranch_execnz .LBB230_75
.LBB230_43:                             ;   in Loop: Header=BB230_36 Depth=1
	s_or_b32 exec_lo, exec_lo, s75
	s_and_saveexec_b32 s75, s7
	s_cbranch_execnz .LBB230_76
.LBB230_44:                             ;   in Loop: Header=BB230_36 Depth=1
	s_or_b32 exec_lo, exec_lo, s75
	s_and_saveexec_b32 s75, s8
	s_cbranch_execnz .LBB230_77
.LBB230_45:                             ;   in Loop: Header=BB230_36 Depth=1
	s_or_b32 exec_lo, exec_lo, s75
	s_and_saveexec_b32 s75, s9
	s_cbranch_execnz .LBB230_78
.LBB230_46:                             ;   in Loop: Header=BB230_36 Depth=1
	s_or_b32 exec_lo, exec_lo, s75
	s_and_saveexec_b32 s75, s10
	s_cbranch_execnz .LBB230_79
.LBB230_47:                             ;   in Loop: Header=BB230_36 Depth=1
	s_or_b32 exec_lo, exec_lo, s75
	s_and_saveexec_b32 s75, s11
	s_cbranch_execnz .LBB230_80
.LBB230_48:                             ;   in Loop: Header=BB230_36 Depth=1
	s_or_b32 exec_lo, exec_lo, s75
	s_and_saveexec_b32 s75, s12
	s_cbranch_execnz .LBB230_81
.LBB230_49:                             ;   in Loop: Header=BB230_36 Depth=1
	s_or_b32 exec_lo, exec_lo, s75
	s_and_saveexec_b32 s75, s13
	s_cbranch_execnz .LBB230_82
.LBB230_50:                             ;   in Loop: Header=BB230_36 Depth=1
	s_or_b32 exec_lo, exec_lo, s75
	s_and_saveexec_b32 s75, s14
	s_cbranch_execnz .LBB230_83
.LBB230_51:                             ;   in Loop: Header=BB230_36 Depth=1
	s_or_b32 exec_lo, exec_lo, s75
	s_and_saveexec_b32 s75, s15
	s_cbranch_execnz .LBB230_84
.LBB230_52:                             ;   in Loop: Header=BB230_36 Depth=1
	s_or_b32 exec_lo, exec_lo, s75
	s_and_saveexec_b32 s75, s16
	s_cbranch_execnz .LBB230_85
.LBB230_53:                             ;   in Loop: Header=BB230_36 Depth=1
	s_or_b32 exec_lo, exec_lo, s75
	s_and_saveexec_b32 s75, s17
	s_cbranch_execnz .LBB230_86
.LBB230_54:                             ;   in Loop: Header=BB230_36 Depth=1
	s_or_b32 exec_lo, exec_lo, s75
	s_and_saveexec_b32 s75, s18
	s_cbranch_execnz .LBB230_87
.LBB230_55:                             ;   in Loop: Header=BB230_36 Depth=1
	s_or_b32 exec_lo, exec_lo, s75
	s_and_saveexec_b32 s75, s19
	s_cbranch_execnz .LBB230_88
.LBB230_56:                             ;   in Loop: Header=BB230_36 Depth=1
	s_or_b32 exec_lo, exec_lo, s75
	s_and_saveexec_b32 s75, s20
	s_cbranch_execnz .LBB230_89
.LBB230_57:                             ;   in Loop: Header=BB230_36 Depth=1
	s_or_b32 exec_lo, exec_lo, s75
	s_and_saveexec_b32 s75, s21
	s_cbranch_execnz .LBB230_90
.LBB230_58:                             ;   in Loop: Header=BB230_36 Depth=1
	s_or_b32 exec_lo, exec_lo, s75
	s_and_saveexec_b32 s75, s22
	s_cbranch_execnz .LBB230_91
.LBB230_59:                             ;   in Loop: Header=BB230_36 Depth=1
	s_or_b32 exec_lo, exec_lo, s75
	s_and_saveexec_b32 s75, s23
	s_cbranch_execnz .LBB230_92
.LBB230_60:                             ;   in Loop: Header=BB230_36 Depth=1
	s_or_b32 exec_lo, exec_lo, s75
	s_and_saveexec_b32 s75, s24
	s_cbranch_execnz .LBB230_93
.LBB230_61:                             ;   in Loop: Header=BB230_36 Depth=1
	s_or_b32 exec_lo, exec_lo, s75
	s_and_saveexec_b32 s75, s25
	s_cbranch_execnz .LBB230_94
.LBB230_62:                             ;   in Loop: Header=BB230_36 Depth=1
	s_or_b32 exec_lo, exec_lo, s75
	s_and_saveexec_b32 s75, s26
	s_cbranch_execnz .LBB230_95
.LBB230_63:                             ;   in Loop: Header=BB230_36 Depth=1
	s_or_b32 exec_lo, exec_lo, s75
	s_and_saveexec_b32 s75, s27
	s_cbranch_execnz .LBB230_96
.LBB230_64:                             ;   in Loop: Header=BB230_36 Depth=1
	s_or_b32 exec_lo, exec_lo, s75
	s_and_saveexec_b32 s75, s28
	s_cbranch_execnz .LBB230_97
.LBB230_65:                             ;   in Loop: Header=BB230_36 Depth=1
	s_or_b32 exec_lo, exec_lo, s75
	s_and_saveexec_b32 s75, s29
	s_cbranch_execnz .LBB230_98
.LBB230_66:                             ;   in Loop: Header=BB230_36 Depth=1
	s_or_b32 exec_lo, exec_lo, s75
	s_and_saveexec_b32 s75, s30
	s_cbranch_execnz .LBB230_99
.LBB230_67:                             ;   in Loop: Header=BB230_36 Depth=1
	s_or_b32 exec_lo, exec_lo, s75
	s_and_saveexec_b32 s75, s31
	s_cbranch_execnz .LBB230_100
.LBB230_68:                             ;   in Loop: Header=BB230_36 Depth=1
	s_or_b32 exec_lo, exec_lo, s75
	s_and_saveexec_b32 s31, vcc_lo
	s_cbranch_execz .LBB230_35
	s_branch .LBB230_101
.LBB230_69:                             ;   in Loop: Header=BB230_36 Depth=1
	v_mov_b32_e32 v12, s37
	ds_load_b32 v12, v12
	s_waitcnt lgkmcnt(0)
	v_add_nc_u32_e32 v11, v12, v11
	s_or_b32 exec_lo, exec_lo, s75
	s_and_saveexec_b32 s75, s1
	s_cbranch_execz .LBB230_38
.LBB230_70:                             ;   in Loop: Header=BB230_36 Depth=1
	v_mov_b32_e32 v12, s38
	ds_load_b32 v12, v12
	s_waitcnt lgkmcnt(0)
	v_add_nc_u32_e32 v11, v12, v11
	s_or_b32 exec_lo, exec_lo, s75
	s_and_saveexec_b32 s75, s2
	s_cbranch_execz .LBB230_39
.LBB230_71:                             ;   in Loop: Header=BB230_36 Depth=1
	v_mov_b32_e32 v12, s39
	ds_load_b32 v12, v12
	s_waitcnt lgkmcnt(0)
	v_add_nc_u32_e32 v11, v12, v11
	s_or_b32 exec_lo, exec_lo, s75
	s_and_saveexec_b32 s75, s3
	s_cbranch_execz .LBB230_40
.LBB230_72:                             ;   in Loop: Header=BB230_36 Depth=1
	v_mov_b32_e32 v12, s44
	ds_load_b32 v12, v12
	s_waitcnt lgkmcnt(0)
	v_add_nc_u32_e32 v11, v12, v11
	s_or_b32 exec_lo, exec_lo, s75
	s_and_saveexec_b32 s75, s4
	s_cbranch_execz .LBB230_41
.LBB230_73:                             ;   in Loop: Header=BB230_36 Depth=1
	v_mov_b32_e32 v12, s45
	ds_load_b32 v12, v12
	s_waitcnt lgkmcnt(0)
	v_add_nc_u32_e32 v11, v12, v11
	s_or_b32 exec_lo, exec_lo, s75
	s_and_saveexec_b32 s75, s5
	s_cbranch_execz .LBB230_42
.LBB230_74:                             ;   in Loop: Header=BB230_36 Depth=1
	v_mov_b32_e32 v12, s47
	ds_load_b32 v12, v12
	s_waitcnt lgkmcnt(0)
	v_add_nc_u32_e32 v11, v12, v11
	s_or_b32 exec_lo, exec_lo, s75
	s_and_saveexec_b32 s75, s6
	s_cbranch_execz .LBB230_43
.LBB230_75:                             ;   in Loop: Header=BB230_36 Depth=1
	v_mov_b32_e32 v12, s49
	ds_load_b32 v12, v12
	s_waitcnt lgkmcnt(0)
	v_add_nc_u32_e32 v11, v12, v11
	s_or_b32 exec_lo, exec_lo, s75
	s_and_saveexec_b32 s75, s7
	s_cbranch_execz .LBB230_44
.LBB230_76:                             ;   in Loop: Header=BB230_36 Depth=1
	v_mov_b32_e32 v12, s50
	ds_load_b32 v12, v12
	s_waitcnt lgkmcnt(0)
	v_add_nc_u32_e32 v11, v12, v11
	s_or_b32 exec_lo, exec_lo, s75
	s_and_saveexec_b32 s75, s8
	s_cbranch_execz .LBB230_45
.LBB230_77:                             ;   in Loop: Header=BB230_36 Depth=1
	v_mov_b32_e32 v12, s51
	ds_load_b32 v12, v12
	s_waitcnt lgkmcnt(0)
	v_add_nc_u32_e32 v11, v12, v11
	s_or_b32 exec_lo, exec_lo, s75
	s_and_saveexec_b32 s75, s9
	s_cbranch_execz .LBB230_46
.LBB230_78:                             ;   in Loop: Header=BB230_36 Depth=1
	v_mov_b32_e32 v12, s52
	ds_load_b32 v12, v12
	s_waitcnt lgkmcnt(0)
	v_add_nc_u32_e32 v11, v12, v11
	s_or_b32 exec_lo, exec_lo, s75
	s_and_saveexec_b32 s75, s10
	s_cbranch_execz .LBB230_47
.LBB230_79:                             ;   in Loop: Header=BB230_36 Depth=1
	v_mov_b32_e32 v12, s53
	ds_load_b32 v12, v12
	s_waitcnt lgkmcnt(0)
	v_add_nc_u32_e32 v11, v12, v11
	s_or_b32 exec_lo, exec_lo, s75
	s_and_saveexec_b32 s75, s11
	s_cbranch_execz .LBB230_48
.LBB230_80:                             ;   in Loop: Header=BB230_36 Depth=1
	v_mov_b32_e32 v12, s54
	ds_load_b32 v12, v12
	s_waitcnt lgkmcnt(0)
	v_add_nc_u32_e32 v11, v12, v11
	s_or_b32 exec_lo, exec_lo, s75
	s_and_saveexec_b32 s75, s12
	s_cbranch_execz .LBB230_49
.LBB230_81:                             ;   in Loop: Header=BB230_36 Depth=1
	v_mov_b32_e32 v12, s55
	ds_load_b32 v12, v12
	s_waitcnt lgkmcnt(0)
	v_add_nc_u32_e32 v11, v12, v11
	s_or_b32 exec_lo, exec_lo, s75
	s_and_saveexec_b32 s75, s13
	s_cbranch_execz .LBB230_50
.LBB230_82:                             ;   in Loop: Header=BB230_36 Depth=1
	v_mov_b32_e32 v12, s56
	ds_load_b32 v12, v12
	s_waitcnt lgkmcnt(0)
	v_add_nc_u32_e32 v11, v12, v11
	s_or_b32 exec_lo, exec_lo, s75
	s_and_saveexec_b32 s75, s14
	s_cbranch_execz .LBB230_51
.LBB230_83:                             ;   in Loop: Header=BB230_36 Depth=1
	v_mov_b32_e32 v12, s57
	ds_load_b32 v12, v12
	s_waitcnt lgkmcnt(0)
	v_add_nc_u32_e32 v11, v12, v11
	s_or_b32 exec_lo, exec_lo, s75
	s_and_saveexec_b32 s75, s15
	s_cbranch_execz .LBB230_52
.LBB230_84:                             ;   in Loop: Header=BB230_36 Depth=1
	v_mov_b32_e32 v12, s58
	ds_load_b32 v12, v12
	s_waitcnt lgkmcnt(0)
	v_add_nc_u32_e32 v11, v12, v11
	s_or_b32 exec_lo, exec_lo, s75
	s_and_saveexec_b32 s75, s16
	s_cbranch_execz .LBB230_53
.LBB230_85:                             ;   in Loop: Header=BB230_36 Depth=1
	v_mov_b32_e32 v12, s59
	ds_load_b32 v12, v12
	s_waitcnt lgkmcnt(0)
	v_add_nc_u32_e32 v11, v12, v11
	s_or_b32 exec_lo, exec_lo, s75
	s_and_saveexec_b32 s75, s17
	s_cbranch_execz .LBB230_54
.LBB230_86:                             ;   in Loop: Header=BB230_36 Depth=1
	v_mov_b32_e32 v12, s60
	ds_load_b32 v12, v12
	s_waitcnt lgkmcnt(0)
	v_add_nc_u32_e32 v11, v12, v11
	s_or_b32 exec_lo, exec_lo, s75
	s_and_saveexec_b32 s75, s18
	s_cbranch_execz .LBB230_55
.LBB230_87:                             ;   in Loop: Header=BB230_36 Depth=1
	v_mov_b32_e32 v12, s61
	ds_load_b32 v12, v12
	s_waitcnt lgkmcnt(0)
	v_add_nc_u32_e32 v11, v12, v11
	s_or_b32 exec_lo, exec_lo, s75
	s_and_saveexec_b32 s75, s19
	s_cbranch_execz .LBB230_56
.LBB230_88:                             ;   in Loop: Header=BB230_36 Depth=1
	v_mov_b32_e32 v12, s62
	ds_load_b32 v12, v12
	s_waitcnt lgkmcnt(0)
	v_add_nc_u32_e32 v11, v12, v11
	s_or_b32 exec_lo, exec_lo, s75
	s_and_saveexec_b32 s75, s20
	s_cbranch_execz .LBB230_57
.LBB230_89:                             ;   in Loop: Header=BB230_36 Depth=1
	v_mov_b32_e32 v12, s63
	ds_load_b32 v12, v12
	s_waitcnt lgkmcnt(0)
	v_add_nc_u32_e32 v11, v12, v11
	s_or_b32 exec_lo, exec_lo, s75
	s_and_saveexec_b32 s75, s21
	s_cbranch_execz .LBB230_58
.LBB230_90:                             ;   in Loop: Header=BB230_36 Depth=1
	v_mov_b32_e32 v12, s64
	ds_load_b32 v12, v12
	s_waitcnt lgkmcnt(0)
	v_add_nc_u32_e32 v11, v12, v11
	s_or_b32 exec_lo, exec_lo, s75
	s_and_saveexec_b32 s75, s22
	s_cbranch_execz .LBB230_59
.LBB230_91:                             ;   in Loop: Header=BB230_36 Depth=1
	v_mov_b32_e32 v12, s65
	ds_load_b32 v12, v12
	s_waitcnt lgkmcnt(0)
	v_add_nc_u32_e32 v11, v12, v11
	s_or_b32 exec_lo, exec_lo, s75
	s_and_saveexec_b32 s75, s23
	s_cbranch_execz .LBB230_60
.LBB230_92:                             ;   in Loop: Header=BB230_36 Depth=1
	v_mov_b32_e32 v12, s66
	ds_load_b32 v12, v12
	s_waitcnt lgkmcnt(0)
	v_add_nc_u32_e32 v11, v12, v11
	s_or_b32 exec_lo, exec_lo, s75
	s_and_saveexec_b32 s75, s24
	s_cbranch_execz .LBB230_61
.LBB230_93:                             ;   in Loop: Header=BB230_36 Depth=1
	v_mov_b32_e32 v12, s67
	ds_load_b32 v12, v12
	s_waitcnt lgkmcnt(0)
	v_add_nc_u32_e32 v11, v12, v11
	s_or_b32 exec_lo, exec_lo, s75
	s_and_saveexec_b32 s75, s25
	s_cbranch_execz .LBB230_62
.LBB230_94:                             ;   in Loop: Header=BB230_36 Depth=1
	v_mov_b32_e32 v12, s68
	ds_load_b32 v12, v12
	s_waitcnt lgkmcnt(0)
	v_add_nc_u32_e32 v11, v12, v11
	s_or_b32 exec_lo, exec_lo, s75
	s_and_saveexec_b32 s75, s26
	s_cbranch_execz .LBB230_63
.LBB230_95:                             ;   in Loop: Header=BB230_36 Depth=1
	v_mov_b32_e32 v12, s69
	ds_load_b32 v12, v12
	s_waitcnt lgkmcnt(0)
	v_add_nc_u32_e32 v11, v12, v11
	s_or_b32 exec_lo, exec_lo, s75
	s_and_saveexec_b32 s75, s27
	s_cbranch_execz .LBB230_64
.LBB230_96:                             ;   in Loop: Header=BB230_36 Depth=1
	v_mov_b32_e32 v12, s71
	ds_load_b32 v12, v12
	s_waitcnt lgkmcnt(0)
	v_add_nc_u32_e32 v11, v12, v11
	s_or_b32 exec_lo, exec_lo, s75
	s_and_saveexec_b32 s75, s28
	s_cbranch_execz .LBB230_65
.LBB230_97:                             ;   in Loop: Header=BB230_36 Depth=1
	v_mov_b32_e32 v12, s72
	ds_load_b32 v12, v12
	s_waitcnt lgkmcnt(0)
	v_add_nc_u32_e32 v11, v12, v11
	s_or_b32 exec_lo, exec_lo, s75
	s_and_saveexec_b32 s75, s29
	s_cbranch_execz .LBB230_66
.LBB230_98:                             ;   in Loop: Header=BB230_36 Depth=1
	v_mov_b32_e32 v12, s73
	ds_load_b32 v12, v12
	s_waitcnt lgkmcnt(0)
	v_add_nc_u32_e32 v11, v12, v11
	s_or_b32 exec_lo, exec_lo, s75
	s_and_saveexec_b32 s75, s30
	s_cbranch_execz .LBB230_67
.LBB230_99:                             ;   in Loop: Header=BB230_36 Depth=1
	v_mov_b32_e32 v12, s74
	ds_load_b32 v12, v12
	s_waitcnt lgkmcnt(0)
	v_add_nc_u32_e32 v11, v12, v11
	s_or_b32 exec_lo, exec_lo, s75
	s_and_saveexec_b32 s75, s31
	s_cbranch_execz .LBB230_68
.LBB230_100:                            ;   in Loop: Header=BB230_36 Depth=1
	s_delay_alu instid0(VALU_DEP_1) | instskip(NEXT) | instid1(VALU_DEP_1)
	v_add3_u32 v12, v8, -1, v11
	v_lshlrev_b32_e32 v13, 3, v12
	v_lshl_add_u32 v12, v12, 2, 0
	s_delay_alu instid0(VALU_DEP_2)
	v_add3_u32 v13, 0, v13, 0x8000
	ds_store_b32 v12, v10
	ds_store_2addr_b32 v13, v2, v3 offset1:1
	s_or_b32 exec_lo, exec_lo, s75
	s_and_saveexec_b32 s31, vcc_lo
	s_cbranch_execz .LBB230_35
.LBB230_101:                            ;   in Loop: Header=BB230_36 Depth=1
	v_mov_b32_e32 v2, s70
	ds_store_b32 v2, v11
	s_branch .LBB230_35
.LBB230_102:                            ;   in Loop: Header=BB230_103 Depth=1
	s_or_b32 exec_lo, exec_lo, s5
	v_add_co_u32 v1, vcc_lo, 0x400, v1
	v_add_co_ci_u32_e32 v2, vcc_lo, 0, v2, vcc_lo
	s_delay_alu instid0(VALU_DEP_1) | instskip(SKIP_1) | instid1(SALU_CYCLE_1)
	v_cmp_le_i64_e32 vcc_lo, s[0:1], v[1:2]
	s_or_b32 s4, vcc_lo, s4
	s_and_not1_b32 exec_lo, exec_lo, s4
	s_cbranch_execz .LBB230_33
.LBB230_103:                            ; =>This Loop Header: Depth=1
                                        ;     Child Loop BB230_105 Depth 2
	v_lshlrev_b64 v[3:4], 2, v[1:2]
	v_lshlrev_b64 v[5:6], 3, v[1:2]
	s_mov_b32 s5, 0
	s_delay_alu instid0(VALU_DEP_2) | instskip(NEXT) | instid1(VALU_DEP_3)
	v_add_co_u32 v3, vcc_lo, s36, v3
	v_add_co_ci_u32_e32 v4, vcc_lo, s37, v4, vcc_lo
	global_load_b32 v11, v[3:4], off
	v_add_co_u32 v3, vcc_lo, s38, v5
	v_add_co_ci_u32_e32 v4, vcc_lo, s39, v6, vcc_lo
	global_load_b64 v[9:10], v[3:4], off
	s_waitcnt vmcnt(1)
	v_subrev_nc_u32_e32 v3, s47, v11
	s_delay_alu instid0(VALU_DEP_1) | instskip(SKIP_2) | instid1(VALU_DEP_1)
	v_mul_lo_u32 v6, 0x89, v3
	s_waitcnt vmcnt(0)
	v_mul_f32_e64 v4, v10, -s12
	v_dual_mul_f32 v5, s2, v10 :: v_dual_fmac_f32 v4, s2, v9
	s_delay_alu instid0(VALU_DEP_1)
	v_dual_fmac_f32 v5, s12, v9 :: v_dual_and_b32 v6, 0x1fff, v6
	s_branch .LBB230_105
.LBB230_104:                            ;   in Loop: Header=BB230_105 Depth=2
	s_or_b32 exec_lo, exec_lo, s6
	s_xor_b32 s6, s7, -1
	s_delay_alu instid0(SALU_CYCLE_1) | instskip(NEXT) | instid1(SALU_CYCLE_1)
	s_and_b32 s6, exec_lo, s6
	s_or_b32 s5, s6, s5
	s_delay_alu instid0(SALU_CYCLE_1)
	s_and_not1_b32 exec_lo, exec_lo, s5
	s_cbranch_execz .LBB230_102
.LBB230_105:                            ;   Parent Loop BB230_103 Depth=1
                                        ; =>  This Inner Loop Header: Depth=2
	s_delay_alu instid0(VALU_DEP_1)
	v_lshl_add_u32 v9, v6, 2, 0
	s_mov_b32 s6, exec_lo
                                        ; implicit-def: $sgpr7
	ds_load_b32 v10, v9
	s_waitcnt lgkmcnt(0)
	v_cmpx_ne_u32_e64 v10, v3
	s_xor_b32 s6, exec_lo, s6
	s_cbranch_execz .LBB230_113
; %bb.106:                              ;   in Loop: Header=BB230_105 Depth=2
	s_mov_b32 s8, exec_lo
                                        ; implicit-def: $sgpr7
	v_cmpx_ne_u32_e64 s33, v10
	s_xor_b32 s8, exec_lo, s8
; %bb.107:                              ;   in Loop: Header=BB230_105 Depth=2
	v_add_nc_u32_e32 v6, 1, v6
	s_mov_b32 s7, -1
                                        ; implicit-def: $vgpr9
	s_delay_alu instid0(VALU_DEP_1)
	v_and_b32_e32 v6, 0x1fff, v6
; %bb.108:                              ;   in Loop: Header=BB230_105 Depth=2
	s_and_not1_saveexec_b32 s8, s8
	s_cbranch_execz .LBB230_112
; %bb.109:                              ;   in Loop: Header=BB230_105 Depth=2
	v_mov_b32_e32 v10, s33
	s_mov_b32 s9, -1
	s_mov_b32 s10, exec_lo
	ds_cmpstore_rtn_b32 v10, v9, v3, v10
	s_waitcnt lgkmcnt(0)
	v_cmpx_eq_u32_e64 s33, v10
	s_cbranch_execz .LBB230_111
; %bb.110:                              ;   in Loop: Header=BB230_105 Depth=2
	v_lshl_add_u32 v9, v6, 2, v9
	s_xor_b32 s9, exec_lo, -1
	ds_add_f32 v9, v4 offset:32768
	ds_add_f32 v9, v5 offset:32772
.LBB230_111:                            ;   in Loop: Header=BB230_105 Depth=2
	s_or_b32 exec_lo, exec_lo, s10
	s_delay_alu instid0(SALU_CYCLE_1) | instskip(SKIP_1) | instid1(SALU_CYCLE_1)
	s_and_not1_b32 s7, s7, exec_lo
	s_and_b32 s9, s9, exec_lo
	s_or_b32 s7, s7, s9
.LBB230_112:                            ;   in Loop: Header=BB230_105 Depth=2
	s_or_b32 exec_lo, exec_lo, s8
	s_delay_alu instid0(SALU_CYCLE_1)
	s_and_b32 s7, s7, exec_lo
                                        ; implicit-def: $vgpr9
.LBB230_113:                            ;   in Loop: Header=BB230_105 Depth=2
	s_and_not1_saveexec_b32 s6, s6
	s_cbranch_execz .LBB230_104
; %bb.114:                              ;   in Loop: Header=BB230_105 Depth=2
	v_lshl_add_u32 v9, v6, 2, v9
	s_and_not1_b32 s7, s7, exec_lo
	ds_add_f32 v9, v4 offset:32768
	ds_add_f32 v9, v5 offset:32772
	s_branch .LBB230_104
.LBB230_115:
	s_or_b32 exec_lo, exec_lo, s36
	s_ashr_i32 s49, s48, 31
	s_mov_b32 s4, exec_lo
	s_lshl_b64 s[0:1], s[48:49], 3
	s_delay_alu instid0(SALU_CYCLE_1) | instskip(SKIP_4) | instid1(SALU_CYCLE_1)
	s_add_u32 s0, s40, s0
	s_addc_u32 s1, s41, s1
	s_load_b128 s[0:3], s[0:1], 0x0
	s_waitcnt lgkmcnt(0)
	s_sub_i32 s3, s2, s0
	v_cmpx_gt_i32_e64 s3, v0
	s_cbranch_execz .LBB230_125
; %bb.116:
	s_sub_u32 s4, s0, s46
	s_subb_u32 s5, s1, 0
	s_sub_i32 s0, s0, s2
	s_and_b32 s1, s3, 7
	s_cmp_lt_u32 s0, -7
	s_mov_b32 s8, 0
	s_cselect_b32 s2, -1, 0
	s_and_b32 s6, s3, -8
	s_cmp_lg_u32 s1, 0
	s_cselect_b32 s7, -1, 0
	s_branch .LBB230_118
.LBB230_117:                            ;   in Loop: Header=BB230_118 Depth=1
	s_delay_alu instid0(VALU_DEP_1) | instskip(SKIP_4) | instid1(VALU_DEP_4)
	v_lshlrev_b64 v[6:7], 2, v[3:4]
	v_lshlrev_b64 v[3:4], 3, v[3:4]
	v_add_nc_u32_e32 v0, 0x400, v0
	s_waitcnt lgkmcnt(1)
	v_add_nc_u32_e32 v8, s46, v5
	v_add_co_u32 v5, vcc_lo, s42, v6
	v_add_co_ci_u32_e32 v6, vcc_lo, s43, v7, vcc_lo
	v_cmp_le_i32_e32 vcc_lo, s3, v0
	v_add_co_u32 v3, s0, s34, v3
	s_delay_alu instid0(VALU_DEP_1)
	v_add_co_ci_u32_e64 v4, s0, s35, v4, s0
	s_or_b32 s8, vcc_lo, s8
	global_store_b32 v[5:6], v8, off
	s_waitcnt lgkmcnt(0)
	global_store_b64 v[3:4], v[1:2], off
	s_and_not1_b32 exec_lo, exec_lo, s8
	s_cbranch_execz .LBB230_125
.LBB230_118:                            ; =>This Loop Header: Depth=1
                                        ;     Child Loop BB230_120 Depth 2
                                        ;     Child Loop BB230_124 Depth 2
	v_lshlrev_b32_e32 v1, 2, v0
	v_dual_mov_b32 v3, s4 :: v_dual_mov_b32 v4, s5
	s_and_not1_b32 vcc_lo, exec_lo, s2
	s_mov_b32 s0, 0
	s_delay_alu instid0(VALU_DEP_2) | instskip(NEXT) | instid1(VALU_DEP_1)
	v_add_nc_u32_e32 v2, 0, v1
	v_add3_u32 v1, v2, v1, 0x8000
	ds_load_b32 v5, v2
	ds_load_2addr_b32 v[1:2], v1 offset1:1
	s_cbranch_vccnz .LBB230_122
; %bb.119:                              ;   in Loop: Header=BB230_118 Depth=1
	v_dual_mov_b32 v3, s4 :: v_dual_mov_b32 v4, s5
	s_mov_b32 s9, 0
	s_mov_b32 s10, 0
.LBB230_120:                            ;   Parent Loop BB230_118 Depth=1
                                        ; =>  This Inner Loop Header: Depth=2
	s_delay_alu instid0(SALU_CYCLE_1)
	v_mov_b32_e32 v12, s10
	s_add_i32 s9, s9, 8
	s_add_i32 s10, s10, 32
	s_cmp_eq_u32 s6, s9
	ds_load_2addr_b32 v[6:7], v12 offset1:1
	ds_load_2addr_b32 v[8:9], v12 offset0:2 offset1:3
	ds_load_2addr_b32 v[10:11], v12 offset0:4 offset1:5
	;; [unrolled: 1-line block ×3, first 2 shown]
	s_waitcnt lgkmcnt(3)
	v_cmp_gt_i32_e32 vcc_lo, v5, v6
	v_cndmask_b32_e64 v6, 0, 1, vcc_lo
	v_cmp_gt_i32_e32 vcc_lo, v5, v7
	v_cndmask_b32_e64 v7, 0, 1, vcc_lo
	s_waitcnt lgkmcnt(2)
	v_cmp_gt_i32_e32 vcc_lo, v5, v8
	v_cndmask_b32_e64 v8, 0, 1, vcc_lo
	v_cmp_gt_i32_e32 vcc_lo, v5, v9
	v_cndmask_b32_e64 v9, 0, 1, vcc_lo
	s_waitcnt lgkmcnt(1)
	v_cmp_gt_i32_e32 vcc_lo, v5, v10
	v_cndmask_b32_e64 v10, 0, 1, vcc_lo
	v_add_co_u32 v3, vcc_lo, v3, v6
	v_add_co_ci_u32_e32 v4, vcc_lo, 0, v4, vcc_lo
	v_cmp_gt_i32_e32 vcc_lo, v5, v11
	s_delay_alu instid0(VALU_DEP_3) | instskip(NEXT) | instid1(VALU_DEP_1)
	v_add_co_u32 v3, s0, v3, v7
	v_add_co_ci_u32_e64 v4, s0, 0, v4, s0
	v_cndmask_b32_e64 v6, 0, 1, vcc_lo
	s_delay_alu instid0(VALU_DEP_3) | instskip(NEXT) | instid1(VALU_DEP_3)
	v_add_co_u32 v3, vcc_lo, v3, v8
	v_add_co_ci_u32_e32 v4, vcc_lo, 0, v4, vcc_lo
	s_waitcnt lgkmcnt(0)
	v_cmp_gt_i32_e32 vcc_lo, v5, v12
	s_delay_alu instid0(VALU_DEP_3) | instskip(NEXT) | instid1(VALU_DEP_1)
	v_add_co_u32 v3, s0, v3, v9
	v_add_co_ci_u32_e64 v4, s0, 0, v4, s0
	v_cndmask_b32_e64 v7, 0, 1, vcc_lo
	s_delay_alu instid0(VALU_DEP_3) | instskip(NEXT) | instid1(VALU_DEP_3)
	v_add_co_u32 v3, vcc_lo, v3, v10
	v_add_co_ci_u32_e32 v4, vcc_lo, 0, v4, vcc_lo
	v_cmp_gt_i32_e32 vcc_lo, v5, v13
	s_delay_alu instid0(VALU_DEP_3) | instskip(NEXT) | instid1(VALU_DEP_1)
	v_add_co_u32 v3, s0, v3, v6
	v_add_co_ci_u32_e64 v4, s0, 0, v4, s0
	v_cndmask_b32_e64 v6, 0, 1, vcc_lo
	s_delay_alu instid0(VALU_DEP_3) | instskip(NEXT) | instid1(VALU_DEP_3)
	v_add_co_u32 v3, vcc_lo, v3, v7
	v_add_co_ci_u32_e32 v4, vcc_lo, 0, v4, vcc_lo
	s_delay_alu instid0(VALU_DEP_2) | instskip(NEXT) | instid1(VALU_DEP_2)
	v_add_co_u32 v3, vcc_lo, v3, v6
	v_add_co_ci_u32_e32 v4, vcc_lo, 0, v4, vcc_lo
	s_cbranch_scc0 .LBB230_120
; %bb.121:                              ;   in Loop: Header=BB230_118 Depth=1
	s_mov_b32 s0, s6
.LBB230_122:                            ;   in Loop: Header=BB230_118 Depth=1
	s_and_not1_b32 vcc_lo, exec_lo, s7
	s_cbranch_vccnz .LBB230_117
; %bb.123:                              ;   in Loop: Header=BB230_118 Depth=1
	s_lshl_b32 s0, s0, 2
	s_mov_b32 s9, s1
	s_add_i32 s0, s0, 0
.LBB230_124:                            ;   Parent Loop BB230_118 Depth=1
                                        ; =>  This Inner Loop Header: Depth=2
	s_delay_alu instid0(SALU_CYCLE_1)
	v_mov_b32_e32 v6, s0
	s_add_i32 s9, s9, -1
	s_add_i32 s0, s0, 4
	s_cmp_lg_u32 s9, 0
	ds_load_b32 v6, v6
	s_waitcnt lgkmcnt(0)
	v_cmp_gt_i32_e32 vcc_lo, v5, v6
	v_cndmask_b32_e64 v6, 0, 1, vcc_lo
	s_delay_alu instid0(VALU_DEP_1)
	v_add_co_u32 v3, vcc_lo, v3, v6
	v_add_co_ci_u32_e32 v4, vcc_lo, 0, v4, vcc_lo
	s_cbranch_scc1 .LBB230_124
	s_branch .LBB230_117
.LBB230_125:
	s_nop 0
	s_sendmsg sendmsg(MSG_DEALLOC_VGPRS)
	s_endpgm
	.section	.rodata,"a",@progbits
	.p2align	6, 0x0
	.amdhsa_kernel _ZN9rocsparseL26csrgemm_fill_block_per_rowILj1024ELj64ELj8192ELj137ELj32Eli21rocsparse_complex_numIfEEEvT5_PKS3_S5_NS_24const_host_device_scalarIT6_EEPKT4_S5_PKS7_SB_S5_SD_S8_SB_S5_SD_SB_PS3_PS7_21rocsparse_index_base_SG_SG_SG_bbb
		.amdhsa_group_segment_fixed_size 0
		.amdhsa_private_segment_fixed_size 0
		.amdhsa_kernarg_size 156
		.amdhsa_user_sgpr_count 15
		.amdhsa_user_sgpr_dispatch_ptr 0
		.amdhsa_user_sgpr_queue_ptr 0
		.amdhsa_user_sgpr_kernarg_segment_ptr 1
		.amdhsa_user_sgpr_dispatch_id 0
		.amdhsa_user_sgpr_private_segment_size 0
		.amdhsa_wavefront_size32 1
		.amdhsa_uses_dynamic_stack 0
		.amdhsa_enable_private_segment 0
		.amdhsa_system_sgpr_workgroup_id_x 1
		.amdhsa_system_sgpr_workgroup_id_y 0
		.amdhsa_system_sgpr_workgroup_id_z 0
		.amdhsa_system_sgpr_workgroup_info 0
		.amdhsa_system_vgpr_workitem_id 0
		.amdhsa_next_free_vgpr 19
		.amdhsa_next_free_sgpr 76
		.amdhsa_reserve_vcc 1
		.amdhsa_float_round_mode_32 0
		.amdhsa_float_round_mode_16_64 0
		.amdhsa_float_denorm_mode_32 3
		.amdhsa_float_denorm_mode_16_64 3
		.amdhsa_dx10_clamp 1
		.amdhsa_ieee_mode 1
		.amdhsa_fp16_overflow 0
		.amdhsa_workgroup_processor_mode 1
		.amdhsa_memory_ordered 1
		.amdhsa_forward_progress 0
		.amdhsa_shared_vgpr_count 0
		.amdhsa_exception_fp_ieee_invalid_op 0
		.amdhsa_exception_fp_denorm_src 0
		.amdhsa_exception_fp_ieee_div_zero 0
		.amdhsa_exception_fp_ieee_overflow 0
		.amdhsa_exception_fp_ieee_underflow 0
		.amdhsa_exception_fp_ieee_inexact 0
		.amdhsa_exception_int_div_zero 0
	.end_amdhsa_kernel
	.section	.text._ZN9rocsparseL26csrgemm_fill_block_per_rowILj1024ELj64ELj8192ELj137ELj32Eli21rocsparse_complex_numIfEEEvT5_PKS3_S5_NS_24const_host_device_scalarIT6_EEPKT4_S5_PKS7_SB_S5_SD_S8_SB_S5_SD_SB_PS3_PS7_21rocsparse_index_base_SG_SG_SG_bbb,"axG",@progbits,_ZN9rocsparseL26csrgemm_fill_block_per_rowILj1024ELj64ELj8192ELj137ELj32Eli21rocsparse_complex_numIfEEEvT5_PKS3_S5_NS_24const_host_device_scalarIT6_EEPKT4_S5_PKS7_SB_S5_SD_S8_SB_S5_SD_SB_PS3_PS7_21rocsparse_index_base_SG_SG_SG_bbb,comdat
.Lfunc_end230:
	.size	_ZN9rocsparseL26csrgemm_fill_block_per_rowILj1024ELj64ELj8192ELj137ELj32Eli21rocsparse_complex_numIfEEEvT5_PKS3_S5_NS_24const_host_device_scalarIT6_EEPKT4_S5_PKS7_SB_S5_SD_S8_SB_S5_SD_SB_PS3_PS7_21rocsparse_index_base_SG_SG_SG_bbb, .Lfunc_end230-_ZN9rocsparseL26csrgemm_fill_block_per_rowILj1024ELj64ELj8192ELj137ELj32Eli21rocsparse_complex_numIfEEEvT5_PKS3_S5_NS_24const_host_device_scalarIT6_EEPKT4_S5_PKS7_SB_S5_SD_S8_SB_S5_SD_SB_PS3_PS7_21rocsparse_index_base_SG_SG_SG_bbb
                                        ; -- End function
	.section	.AMDGPU.csdata,"",@progbits
; Kernel info:
; codeLenInByte = 4948
; NumSgprs: 78
; NumVgprs: 19
; ScratchSize: 0
; MemoryBound: 0
; FloatMode: 240
; IeeeMode: 1
; LDSByteSize: 0 bytes/workgroup (compile time only)
; SGPRBlocks: 9
; VGPRBlocks: 2
; NumSGPRsForWavesPerEU: 78
; NumVGPRsForWavesPerEU: 19
; Occupancy: 16
; WaveLimiterHint : 1
; COMPUTE_PGM_RSRC2:SCRATCH_EN: 0
; COMPUTE_PGM_RSRC2:USER_SGPR: 15
; COMPUTE_PGM_RSRC2:TRAP_HANDLER: 0
; COMPUTE_PGM_RSRC2:TGID_X_EN: 1
; COMPUTE_PGM_RSRC2:TGID_Y_EN: 0
; COMPUTE_PGM_RSRC2:TGID_Z_EN: 0
; COMPUTE_PGM_RSRC2:TIDIG_COMP_CNT: 0
	.section	.text._ZN9rocsparseL26csrgemm_fill_block_per_rowILj1024ELj64ELj8192ELj137ELj64Eli21rocsparse_complex_numIfEEEvT5_PKS3_S5_NS_24const_host_device_scalarIT6_EEPKT4_S5_PKS7_SB_S5_SD_S8_SB_S5_SD_SB_PS3_PS7_21rocsparse_index_base_SG_SG_SG_bbb,"axG",@progbits,_ZN9rocsparseL26csrgemm_fill_block_per_rowILj1024ELj64ELj8192ELj137ELj64Eli21rocsparse_complex_numIfEEEvT5_PKS3_S5_NS_24const_host_device_scalarIT6_EEPKT4_S5_PKS7_SB_S5_SD_S8_SB_S5_SD_SB_PS3_PS7_21rocsparse_index_base_SG_SG_SG_bbb,comdat
	.globl	_ZN9rocsparseL26csrgemm_fill_block_per_rowILj1024ELj64ELj8192ELj137ELj64Eli21rocsparse_complex_numIfEEEvT5_PKS3_S5_NS_24const_host_device_scalarIT6_EEPKT4_S5_PKS7_SB_S5_SD_S8_SB_S5_SD_SB_PS3_PS7_21rocsparse_index_base_SG_SG_SG_bbb ; -- Begin function _ZN9rocsparseL26csrgemm_fill_block_per_rowILj1024ELj64ELj8192ELj137ELj64Eli21rocsparse_complex_numIfEEEvT5_PKS3_S5_NS_24const_host_device_scalarIT6_EEPKT4_S5_PKS7_SB_S5_SD_S8_SB_S5_SD_SB_PS3_PS7_21rocsparse_index_base_SG_SG_SG_bbb
	.p2align	8
	.type	_ZN9rocsparseL26csrgemm_fill_block_per_rowILj1024ELj64ELj8192ELj137ELj64Eli21rocsparse_complex_numIfEEEvT5_PKS3_S5_NS_24const_host_device_scalarIT6_EEPKT4_S5_PKS7_SB_S5_SD_S8_SB_S5_SD_SB_PS3_PS7_21rocsparse_index_base_SG_SG_SG_bbb,@function
_ZN9rocsparseL26csrgemm_fill_block_per_rowILj1024ELj64ELj8192ELj137ELj64Eli21rocsparse_complex_numIfEEEvT5_PKS3_S5_NS_24const_host_device_scalarIT6_EEPKT4_S5_PKS7_SB_S5_SD_S8_SB_S5_SD_SB_PS3_PS7_21rocsparse_index_base_SG_SG_SG_bbb: ; @_ZN9rocsparseL26csrgemm_fill_block_per_rowILj1024ELj64ELj8192ELj137ELj64Eli21rocsparse_complex_numIfEEEvT5_PKS3_S5_NS_24const_host_device_scalarIT6_EEPKT4_S5_PKS7_SB_S5_SD_S8_SB_S5_SD_SB_PS3_PS7_21rocsparse_index_base_SG_SG_SG_bbb
; %bb.0:
	s_clause 0x6
	s_load_b32 s12, s[0:1], 0x98
	s_load_b256 s[16:23], s[0:1], 0x60
	s_load_b256 s[4:11], s[0:1], 0x40
	s_load_b128 s[40:43], s[0:1], 0x8
	s_load_b256 s[24:31], s[0:1], 0x20
	s_load_b64 s[34:35], s[0:1], 0x80
	s_load_b128 s[36:39], s[0:1], 0x88
	s_mov_b32 s3, 0
	s_mov_b32 s13, 0
	s_waitcnt lgkmcnt(0)
	s_bitcmp1_b32 s12, 0
	s_cselect_b32 s44, -1, 0
	s_bitcmp1_b32 s12, 16
	s_cselect_b32 s2, -1, 0
	s_delay_alu instid0(SALU_CYCLE_1) | instskip(SKIP_2) | instid1(VALU_DEP_1)
	s_xor_b32 s14, s2, -1
	s_bitcmp0_b32 s12, 0
	v_cndmask_b32_e64 v1, 0, 1, s14
	v_cmp_ne_u32_e32 vcc_lo, 1, v1
	s_cbranch_scc1 .LBB231_5
; %bb.1:
	s_load_b64 s[2:3], s[0:1], 0x18
	s_and_b32 vcc_lo, exec_lo, vcc_lo
	s_waitcnt lgkmcnt(0)
	s_mov_b32 s13, s2
	s_cbranch_vccnz .LBB231_3
; %bb.2:
	s_load_b32 s13, s[2:3], 0x0
.LBB231_3:
	s_and_not1_b32 vcc_lo, exec_lo, s14
	s_cbranch_vccnz .LBB231_5
; %bb.4:
	s_load_b32 s3, s[2:3], 0x4
.LBB231_5:
	s_bitcmp1_b32 s12, 8
	s_cselect_b32 s14, -1, 0
	s_bfe_u32 s2, s12, 0x10008
	s_mov_b32 s12, 0
	s_cmp_eq_u32 s2, 0
	s_mov_b32 s2, 0
	s_cbranch_scc1 .LBB231_11
; %bb.6:
	v_cmp_ne_u32_e32 vcc_lo, 1, v1
	s_mov_b32 s2, s8
	s_cbranch_vccnz .LBB231_8
; %bb.7:
	s_load_b32 s2, s[8:9], 0x0
.LBB231_8:
	v_cmp_ne_u32_e32 vcc_lo, 1, v1
	s_cbranch_vccnz .LBB231_10
; %bb.9:
	s_load_b32 s9, s[8:9], 0x4
.LBB231_10:
	s_waitcnt lgkmcnt(0)
	s_mov_b32 s12, s9
.LBB231_11:
	s_load_b32 s33, s[0:1], 0x0
	v_lshlrev_b32_e32 v1, 2, v0
	v_dual_mov_b32 v3, 0 :: v_dual_lshlrev_b32 v8, 3, v0
	s_mov_b32 s1, 0
	s_delay_alu instid0(VALU_DEP_2) | instskip(NEXT) | instid1(VALU_DEP_2)
	v_add_nc_u32_e32 v7, 0, v1
	v_add3_u32 v2, 0, 0x8000, v8
	s_delay_alu instid0(VALU_DEP_2) | instskip(NEXT) | instid1(VALU_DEP_2)
	v_add3_u32 v1, v7, v1, 0x8000
	v_add_nc_u32_e32 v4, 0x2000, v2
	v_add_nc_u32_e32 v5, 0x4000, v2
	;; [unrolled: 1-line block ×3, first 2 shown]
	s_waitcnt lgkmcnt(0)
	v_dual_mov_b32 v12, s33 :: v_dual_add_nc_u32 v9, 0x8000, v2
	v_mov_b32_e32 v10, s33
	ds_store_2addr_b32 v1, v3, v3 offset1:1
	ds_store_2addr_b32 v4, v3, v3 offset1:1
	;; [unrolled: 1-line block ×4, first 2 shown]
	v_dual_mov_b32 v1, s33 :: v_dual_mov_b32 v4, s33
	v_dual_mov_b32 v5, s33 :: v_dual_mov_b32 v6, s33
	v_mov_b32_e32 v11, s33
	v_mov_b32_e32 v13, s33
	ds_store_2addr_stride64_b32 v7, v1, v4 offset1:16
	ds_store_2addr_stride64_b32 v7, v5, v6 offset0:32 offset1:48
	ds_store_2addr_stride64_b32 v7, v10, v11 offset0:64 offset1:80
	v_add_nc_u32_e32 v1, 0xa000, v2
	v_add_nc_u32_e32 v4, 0xc000, v2
	;; [unrolled: 1-line block ×3, first 2 shown]
	ds_store_2addr_stride64_b32 v7, v12, v13 offset0:96 offset1:112
	ds_store_2addr_b32 v9, v3, v3 offset1:1
	ds_store_2addr_b32 v1, v3, v3 offset1:1
	;; [unrolled: 1-line block ×4, first 2 shown]
	s_waitcnt lgkmcnt(0)
	s_barrier
	buffer_gl0_inv
	s_load_b32 s0, s[40:41], 0x0
	v_lshrrev_b32_e32 v9, 6, v0
	s_waitcnt lgkmcnt(0)
	s_add_i32 s0, s0, s15
	s_delay_alu instid0(SALU_CYCLE_1) | instskip(NEXT) | instid1(SALU_CYCLE_1)
	s_lshl_b64 s[0:1], s[0:1], 2
	s_add_u32 s0, s42, s0
	s_addc_u32 s1, s43, s1
	s_and_not1_b32 vcc_lo, exec_lo, s44
	s_load_b32 s40, s[0:1], 0x0
	s_cbranch_vccnz .LBB231_31
; %bb.12:
	s_waitcnt lgkmcnt(0)
	s_ashr_i32 s41, s40, 31
	s_mov_b32 s8, exec_lo
	s_lshl_b64 s[0:1], s[40:41], 3
	s_delay_alu instid0(SALU_CYCLE_1) | instskip(SKIP_3) | instid1(VALU_DEP_1)
	s_add_u32 s0, s24, s0
	s_addc_u32 s1, s25, s1
	s_load_b128 s[44:47], s[0:1], 0x0
	v_sub_co_u32 v1, s0, v9, s36
	v_sub_co_ci_u32_e64 v2, null, 0, 0, s0
	s_waitcnt lgkmcnt(0)
	s_delay_alu instid0(VALU_DEP_2) | instskip(NEXT) | instid1(VALU_DEP_2)
	v_add_co_u32 v1, vcc_lo, s44, v1
	v_add_co_ci_u32_e32 v2, vcc_lo, s45, v2, vcc_lo
	s_sub_u32 s0, s46, s36
	s_subb_u32 s1, s47, 0
	s_delay_alu instid0(VALU_DEP_1) | instid1(SALU_CYCLE_1)
	v_cmpx_gt_i64_e64 s[0:1], v[1:2]
	s_cbranch_execz .LBB231_30
; %bb.13:
	v_and_b32_e32 v3, 63, v0
	s_mov_b32 s15, s37
	s_delay_alu instid0(VALU_DEP_1) | instskip(NEXT) | instid1(VALU_DEP_1)
	v_sub_co_u32 v10, s9, v3, s37
	v_sub_co_ci_u32_e64 v11, null, 0, 0, s9
	s_mov_b32 s9, 0
	s_branch .LBB231_15
.LBB231_14:                             ;   in Loop: Header=BB231_15 Depth=1
	s_or_b32 exec_lo, exec_lo, s24
	v_add_co_u32 v1, vcc_lo, v1, 16
	v_add_co_ci_u32_e32 v2, vcc_lo, 0, v2, vcc_lo
	s_delay_alu instid0(VALU_DEP_1) | instskip(SKIP_1) | instid1(SALU_CYCLE_1)
	v_cmp_le_i64_e32 vcc_lo, s[0:1], v[1:2]
	s_or_b32 s9, vcc_lo, s9
	s_and_not1_b32 exec_lo, exec_lo, s9
	s_cbranch_execz .LBB231_30
.LBB231_15:                             ; =>This Loop Header: Depth=1
                                        ;     Child Loop BB231_18 Depth 2
                                        ;       Child Loop BB231_20 Depth 3
	v_lshlrev_b64 v[3:4], 2, v[1:2]
	s_mov_b32 s24, exec_lo
	s_delay_alu instid0(VALU_DEP_1) | instskip(NEXT) | instid1(VALU_DEP_2)
	v_add_co_u32 v3, vcc_lo, s26, v3
	v_add_co_ci_u32_e32 v4, vcc_lo, s27, v4, vcc_lo
	global_load_b32 v3, v[3:4], off
	s_waitcnt vmcnt(0)
	v_subrev_nc_u32_e32 v3, s36, v3
	s_delay_alu instid0(VALU_DEP_1) | instskip(NEXT) | instid1(VALU_DEP_1)
	v_ashrrev_i32_e32 v4, 31, v3
	v_lshlrev_b64 v[3:4], 3, v[3:4]
	s_delay_alu instid0(VALU_DEP_1) | instskip(NEXT) | instid1(VALU_DEP_2)
	v_add_co_u32 v3, vcc_lo, s30, v3
	v_add_co_ci_u32_e32 v4, vcc_lo, s31, v4, vcc_lo
	global_load_b128 v[12:15], v[3:4], off
	s_waitcnt vmcnt(0)
	v_sub_co_u32 v3, vcc_lo, v14, s15
	v_subrev_co_ci_u32_e32 v4, vcc_lo, 0, v15, vcc_lo
	v_add_co_u32 v5, vcc_lo, v12, v10
	v_add_co_ci_u32_e32 v6, vcc_lo, v13, v11, vcc_lo
	s_delay_alu instid0(VALU_DEP_1)
	v_cmpx_lt_i64_e64 v[5:6], v[3:4]
	s_cbranch_execz .LBB231_14
; %bb.16:                               ;   in Loop: Header=BB231_15 Depth=1
	v_lshlrev_b64 v[12:13], 3, v[1:2]
	s_mov_b32 s25, 0
	s_delay_alu instid0(VALU_DEP_1) | instskip(NEXT) | instid1(VALU_DEP_2)
	v_add_co_u32 v12, vcc_lo, s28, v12
	v_add_co_ci_u32_e32 v13, vcc_lo, s29, v13, vcc_lo
	global_load_b64 v[14:15], v[12:13], off
	s_waitcnt vmcnt(0)
	v_mul_f32_e64 v12, v15, -s3
	s_delay_alu instid0(VALU_DEP_1) | instskip(NEXT) | instid1(VALU_DEP_1)
	v_dual_mul_f32 v13, s13, v15 :: v_dual_fmac_f32 v12, s13, v14
	v_fmac_f32_e32 v13, s3, v14
	s_branch .LBB231_18
.LBB231_17:                             ;   in Loop: Header=BB231_18 Depth=2
	s_or_b32 exec_lo, exec_lo, s41
	v_add_co_u32 v5, vcc_lo, v5, 64
	v_add_co_ci_u32_e32 v6, vcc_lo, 0, v6, vcc_lo
	s_delay_alu instid0(VALU_DEP_1) | instskip(SKIP_1) | instid1(SALU_CYCLE_1)
	v_cmp_ge_i64_e32 vcc_lo, v[5:6], v[3:4]
	s_or_b32 s25, vcc_lo, s25
	s_and_not1_b32 exec_lo, exec_lo, s25
	s_cbranch_execz .LBB231_14
.LBB231_18:                             ;   Parent Loop BB231_15 Depth=1
                                        ; =>  This Loop Header: Depth=2
                                        ;       Child Loop BB231_20 Depth 3
	v_lshlrev_b64 v[14:15], 2, v[5:6]
	v_lshlrev_b64 v[16:17], 3, v[5:6]
	s_mov_b32 s41, 0
	s_delay_alu instid0(VALU_DEP_2) | instskip(NEXT) | instid1(VALU_DEP_3)
	v_add_co_u32 v14, vcc_lo, s4, v14
	v_add_co_ci_u32_e32 v15, vcc_lo, s5, v15, vcc_lo
	global_load_b32 v19, v[14:15], off
	v_add_co_u32 v14, vcc_lo, s6, v16
	v_add_co_ci_u32_e32 v15, vcc_lo, s7, v17, vcc_lo
	global_load_b64 v[17:18], v[14:15], off
	s_waitcnt vmcnt(1)
	v_subrev_nc_u32_e32 v14, s37, v19
	s_delay_alu instid0(VALU_DEP_1) | instskip(SKIP_3) | instid1(VALU_DEP_2)
	v_mul_lo_u32 v19, 0x89, v14
	s_waitcnt vmcnt(0)
	v_mul_f32_e64 v15, v18, -v13
	v_mul_f32_e32 v16, v12, v18
	v_fmac_f32_e32 v15, v12, v17
	s_delay_alu instid0(VALU_DEP_2)
	v_dual_fmac_f32 v16, v13, v17 :: v_dual_and_b32 v17, 0x1fff, v19
	s_branch .LBB231_20
.LBB231_19:                             ;   in Loop: Header=BB231_20 Depth=3
	s_or_b32 exec_lo, exec_lo, s42
	s_xor_b32 s42, s43, -1
	s_delay_alu instid0(SALU_CYCLE_1) | instskip(NEXT) | instid1(SALU_CYCLE_1)
	s_and_b32 s42, exec_lo, s42
	s_or_b32 s41, s42, s41
	s_delay_alu instid0(SALU_CYCLE_1)
	s_and_not1_b32 exec_lo, exec_lo, s41
	s_cbranch_execz .LBB231_17
.LBB231_20:                             ;   Parent Loop BB231_15 Depth=1
                                        ;     Parent Loop BB231_18 Depth=2
                                        ; =>    This Inner Loop Header: Depth=3
	s_delay_alu instid0(VALU_DEP_1)
	v_lshl_add_u32 v18, v17, 2, 0
	s_mov_b32 s42, exec_lo
                                        ; implicit-def: $sgpr43
	ds_load_b32 v19, v18
	s_waitcnt lgkmcnt(0)
	v_cmpx_ne_u32_e64 v19, v14
	s_xor_b32 s42, exec_lo, s42
	s_cbranch_execz .LBB231_28
; %bb.21:                               ;   in Loop: Header=BB231_20 Depth=3
	s_mov_b32 s44, exec_lo
                                        ; implicit-def: $sgpr43
	v_cmpx_ne_u32_e64 s33, v19
	s_xor_b32 s44, exec_lo, s44
; %bb.22:                               ;   in Loop: Header=BB231_20 Depth=3
	v_add_nc_u32_e32 v17, 1, v17
	s_mov_b32 s43, -1
                                        ; implicit-def: $vgpr18
	s_delay_alu instid0(VALU_DEP_1)
	v_and_b32_e32 v17, 0x1fff, v17
; %bb.23:                               ;   in Loop: Header=BB231_20 Depth=3
	s_and_not1_saveexec_b32 s44, s44
	s_cbranch_execz .LBB231_27
; %bb.24:                               ;   in Loop: Header=BB231_20 Depth=3
	v_mov_b32_e32 v19, s33
	s_mov_b32 s45, -1
	s_mov_b32 s46, exec_lo
	ds_cmpstore_rtn_b32 v19, v18, v14, v19
	s_waitcnt lgkmcnt(0)
	v_cmpx_eq_u32_e64 s33, v19
	s_cbranch_execz .LBB231_26
; %bb.25:                               ;   in Loop: Header=BB231_20 Depth=3
	v_lshl_add_u32 v18, v17, 2, v18
	s_xor_b32 s45, exec_lo, -1
	ds_add_f32 v18, v15 offset:32768
	ds_add_f32 v18, v16 offset:32772
.LBB231_26:                             ;   in Loop: Header=BB231_20 Depth=3
	s_or_b32 exec_lo, exec_lo, s46
	s_delay_alu instid0(SALU_CYCLE_1) | instskip(SKIP_1) | instid1(SALU_CYCLE_1)
	s_and_not1_b32 s43, s43, exec_lo
	s_and_b32 s45, s45, exec_lo
	s_or_b32 s43, s43, s45
.LBB231_27:                             ;   in Loop: Header=BB231_20 Depth=3
	s_or_b32 exec_lo, exec_lo, s44
	s_delay_alu instid0(SALU_CYCLE_1)
	s_and_b32 s43, s43, exec_lo
                                        ; implicit-def: $vgpr18
.LBB231_28:                             ;   in Loop: Header=BB231_20 Depth=3
	s_and_not1_saveexec_b32 s42, s42
	s_cbranch_execz .LBB231_19
; %bb.29:                               ;   in Loop: Header=BB231_20 Depth=3
	v_lshl_add_u32 v18, v17, 2, v18
	s_and_not1_b32 s43, s43, exec_lo
	ds_add_f32 v18, v15 offset:32768
	ds_add_f32 v18, v16 offset:32772
	s_branch .LBB231_19
.LBB231_30:
	s_or_b32 exec_lo, exec_lo, s8
.LBB231_31:
	s_delay_alu instid0(SALU_CYCLE_1)
	s_and_not1_b32 vcc_lo, exec_lo, s14
	s_cbranch_vccnz .LBB231_34
; %bb.32:
	s_waitcnt lgkmcnt(0)
	s_ashr_i32 s41, s40, 31
	s_mov_b32 s3, exec_lo
	s_lshl_b64 s[0:1], s[40:41], 3
	s_delay_alu instid0(SALU_CYCLE_1) | instskip(SKIP_3) | instid1(VALU_DEP_1)
	s_add_u32 s0, s10, s0
	s_addc_u32 s1, s11, s1
	s_load_b128 s[4:7], s[0:1], 0x0
	v_sub_co_u32 v1, s0, v0, s39
	v_sub_co_ci_u32_e64 v2, null, 0, 0, s0
	s_waitcnt lgkmcnt(0)
	s_delay_alu instid0(VALU_DEP_2) | instskip(NEXT) | instid1(VALU_DEP_2)
	v_add_co_u32 v1, vcc_lo, s4, v1
	v_add_co_ci_u32_e32 v2, vcc_lo, s5, v2, vcc_lo
	s_sub_u32 s0, s6, s39
	s_subb_u32 s1, s7, 0
	s_mov_b32 s4, 0
	s_delay_alu instid0(VALU_DEP_1)
	v_cmpx_gt_i64_e64 s[0:1], v[1:2]
	s_cbranch_execnz .LBB231_71
.LBB231_33:
	s_or_b32 exec_lo, exec_lo, s3
.LBB231_34:
	v_mbcnt_lo_u32_b32 v1, -1, 0
	s_add_i32 s36, 0, 0x1803c
	s_delay_alu instid0(SALU_CYCLE_1) | instskip(SKIP_1) | instid1(VALU_DEP_3)
	v_dual_mov_b32 v9, s36 :: v_dual_lshlrev_b32 v2, 2, v9
	v_cmp_eq_u32_e32 vcc_lo, 0x3ff, v0
	v_xor_b32_e32 v1, 63, v1
	v_cmp_lt_u32_e64 s0, 63, v0
	s_delay_alu instid0(VALU_DEP_4)
	v_add3_u32 v4, 0, 0x18000, v2
	v_cmp_lt_u32_e64 s1, 0x7f, v0
	v_cmp_lt_u32_e64 s2, 0xbf, v0
	v_lshrrev_b64 v[1:2], v1, -1
	v_cmp_lt_u32_e64 s3, 0xff, v0
	v_cmp_lt_u32_e64 s4, 0x13f, v0
	;; [unrolled: 1-line block ×12, first 2 shown]
	v_add3_u32 v5, v8, 0, 0x8000
	v_or_b32_e32 v6, 0xfffffc00, v0
	v_mov_b32_e32 v8, 0
	s_mov_b32 s16, 0
	s_add_i32 s17, 0, 0x18000
	s_add_i32 s18, 0, 0x18004
	;; [unrolled: 1-line block ×15, first 2 shown]
	s_waitcnt lgkmcnt(0)
	s_barrier
	buffer_gl0_inv
	s_branch .LBB231_36
.LBB231_35:                             ;   in Loop: Header=BB231_36 Depth=1
	s_or_b32 exec_lo, exec_lo, s15
	s_waitcnt lgkmcnt(0)
	s_barrier
	buffer_gl0_inv
	ds_load_b32 v2, v9
	v_add_nc_u32_e32 v6, 0x400, v6
	v_add_nc_u32_e32 v5, 0x2000, v5
	;; [unrolled: 1-line block ×3, first 2 shown]
	s_delay_alu instid0(VALU_DEP_3) | instskip(NEXT) | instid1(VALU_DEP_1)
	v_cmp_lt_u32_e64 s15, 0x1bff, v6
	s_or_b32 s16, s15, s16
	s_waitcnt lgkmcnt(0)
	v_add_nc_u32_e32 v8, v2, v8
	s_and_not1_b32 exec_lo, exec_lo, s16
	s_cbranch_execz .LBB231_83
.LBB231_36:                             ; =>This Inner Loop Header: Depth=1
	ds_load_b32 v10, v7
	ds_load_2addr_b32 v[2:3], v5 offset1:1
	s_waitcnt lgkmcnt(0)
	s_barrier
	buffer_gl0_inv
	v_cmp_gt_i32_e64 s15, s33, v10
	s_delay_alu instid0(VALU_DEP_1) | instskip(NEXT) | instid1(SALU_CYCLE_1)
	s_bcnt1_i32_b32 s43, s15
	v_dual_mov_b32 v12, s43 :: v_dual_and_b32 v11, s15, v1
	s_delay_alu instid0(VALU_DEP_1)
	v_bcnt_u32_b32 v11, v11, 0
	ds_store_b32 v4, v12
	s_waitcnt lgkmcnt(0)
	s_barrier
	buffer_gl0_inv
	s_and_saveexec_b32 s43, s0
	s_cbranch_execnz .LBB231_53
; %bb.37:                               ;   in Loop: Header=BB231_36 Depth=1
	s_or_b32 exec_lo, exec_lo, s43
	s_and_saveexec_b32 s43, s1
	s_cbranch_execnz .LBB231_54
.LBB231_38:                             ;   in Loop: Header=BB231_36 Depth=1
	s_or_b32 exec_lo, exec_lo, s43
	s_and_saveexec_b32 s43, s2
	s_cbranch_execnz .LBB231_55
.LBB231_39:                             ;   in Loop: Header=BB231_36 Depth=1
	s_or_b32 exec_lo, exec_lo, s43
	s_and_saveexec_b32 s43, s3
	s_cbranch_execnz .LBB231_56
.LBB231_40:                             ;   in Loop: Header=BB231_36 Depth=1
	s_or_b32 exec_lo, exec_lo, s43
	s_and_saveexec_b32 s43, s4
	s_cbranch_execnz .LBB231_57
.LBB231_41:                             ;   in Loop: Header=BB231_36 Depth=1
	s_or_b32 exec_lo, exec_lo, s43
	s_and_saveexec_b32 s43, s5
	s_cbranch_execnz .LBB231_58
.LBB231_42:                             ;   in Loop: Header=BB231_36 Depth=1
	s_or_b32 exec_lo, exec_lo, s43
	s_and_saveexec_b32 s43, s6
	s_cbranch_execnz .LBB231_59
.LBB231_43:                             ;   in Loop: Header=BB231_36 Depth=1
	s_or_b32 exec_lo, exec_lo, s43
	s_and_saveexec_b32 s43, s7
	s_cbranch_execnz .LBB231_60
.LBB231_44:                             ;   in Loop: Header=BB231_36 Depth=1
	s_or_b32 exec_lo, exec_lo, s43
	s_and_saveexec_b32 s43, s8
	s_cbranch_execnz .LBB231_61
.LBB231_45:                             ;   in Loop: Header=BB231_36 Depth=1
	s_or_b32 exec_lo, exec_lo, s43
	s_and_saveexec_b32 s43, s9
	s_cbranch_execnz .LBB231_62
.LBB231_46:                             ;   in Loop: Header=BB231_36 Depth=1
	s_or_b32 exec_lo, exec_lo, s43
	s_and_saveexec_b32 s43, s10
	s_cbranch_execnz .LBB231_63
.LBB231_47:                             ;   in Loop: Header=BB231_36 Depth=1
	s_or_b32 exec_lo, exec_lo, s43
	s_and_saveexec_b32 s43, s11
	s_cbranch_execnz .LBB231_64
.LBB231_48:                             ;   in Loop: Header=BB231_36 Depth=1
	s_or_b32 exec_lo, exec_lo, s43
	s_and_saveexec_b32 s43, s12
	s_cbranch_execnz .LBB231_65
.LBB231_49:                             ;   in Loop: Header=BB231_36 Depth=1
	s_or_b32 exec_lo, exec_lo, s43
	s_and_saveexec_b32 s43, s13
	s_cbranch_execnz .LBB231_66
.LBB231_50:                             ;   in Loop: Header=BB231_36 Depth=1
	s_or_b32 exec_lo, exec_lo, s43
	s_and_saveexec_b32 s43, s14
	s_cbranch_execnz .LBB231_67
.LBB231_51:                             ;   in Loop: Header=BB231_36 Depth=1
	s_or_b32 exec_lo, exec_lo, s43
	s_and_saveexec_b32 s43, s15
	s_cbranch_execnz .LBB231_68
.LBB231_52:                             ;   in Loop: Header=BB231_36 Depth=1
	s_or_b32 exec_lo, exec_lo, s43
	s_and_saveexec_b32 s15, vcc_lo
	s_cbranch_execz .LBB231_35
	s_branch .LBB231_69
.LBB231_53:                             ;   in Loop: Header=BB231_36 Depth=1
	v_mov_b32_e32 v12, s17
	ds_load_b32 v12, v12
	s_waitcnt lgkmcnt(0)
	v_add_nc_u32_e32 v11, v12, v11
	s_or_b32 exec_lo, exec_lo, s43
	s_and_saveexec_b32 s43, s1
	s_cbranch_execz .LBB231_38
.LBB231_54:                             ;   in Loop: Header=BB231_36 Depth=1
	v_mov_b32_e32 v12, s18
	ds_load_b32 v12, v12
	s_waitcnt lgkmcnt(0)
	v_add_nc_u32_e32 v11, v12, v11
	s_or_b32 exec_lo, exec_lo, s43
	s_and_saveexec_b32 s43, s2
	s_cbranch_execz .LBB231_39
.LBB231_55:                             ;   in Loop: Header=BB231_36 Depth=1
	v_mov_b32_e32 v12, s19
	ds_load_b32 v12, v12
	s_waitcnt lgkmcnt(0)
	v_add_nc_u32_e32 v11, v12, v11
	s_or_b32 exec_lo, exec_lo, s43
	s_and_saveexec_b32 s43, s3
	s_cbranch_execz .LBB231_40
.LBB231_56:                             ;   in Loop: Header=BB231_36 Depth=1
	v_mov_b32_e32 v12, s24
	ds_load_b32 v12, v12
	s_waitcnt lgkmcnt(0)
	v_add_nc_u32_e32 v11, v12, v11
	s_or_b32 exec_lo, exec_lo, s43
	s_and_saveexec_b32 s43, s4
	s_cbranch_execz .LBB231_41
.LBB231_57:                             ;   in Loop: Header=BB231_36 Depth=1
	v_mov_b32_e32 v12, s25
	ds_load_b32 v12, v12
	s_waitcnt lgkmcnt(0)
	v_add_nc_u32_e32 v11, v12, v11
	s_or_b32 exec_lo, exec_lo, s43
	s_and_saveexec_b32 s43, s5
	s_cbranch_execz .LBB231_42
.LBB231_58:                             ;   in Loop: Header=BB231_36 Depth=1
	v_mov_b32_e32 v12, s26
	ds_load_b32 v12, v12
	s_waitcnt lgkmcnt(0)
	v_add_nc_u32_e32 v11, v12, v11
	s_or_b32 exec_lo, exec_lo, s43
	s_and_saveexec_b32 s43, s6
	s_cbranch_execz .LBB231_43
.LBB231_59:                             ;   in Loop: Header=BB231_36 Depth=1
	v_mov_b32_e32 v12, s27
	ds_load_b32 v12, v12
	s_waitcnt lgkmcnt(0)
	v_add_nc_u32_e32 v11, v12, v11
	s_or_b32 exec_lo, exec_lo, s43
	s_and_saveexec_b32 s43, s7
	s_cbranch_execz .LBB231_44
.LBB231_60:                             ;   in Loop: Header=BB231_36 Depth=1
	v_mov_b32_e32 v12, s28
	ds_load_b32 v12, v12
	s_waitcnt lgkmcnt(0)
	v_add_nc_u32_e32 v11, v12, v11
	s_or_b32 exec_lo, exec_lo, s43
	s_and_saveexec_b32 s43, s8
	s_cbranch_execz .LBB231_45
.LBB231_61:                             ;   in Loop: Header=BB231_36 Depth=1
	v_mov_b32_e32 v12, s29
	ds_load_b32 v12, v12
	s_waitcnt lgkmcnt(0)
	v_add_nc_u32_e32 v11, v12, v11
	s_or_b32 exec_lo, exec_lo, s43
	s_and_saveexec_b32 s43, s9
	s_cbranch_execz .LBB231_46
.LBB231_62:                             ;   in Loop: Header=BB231_36 Depth=1
	v_mov_b32_e32 v12, s30
	ds_load_b32 v12, v12
	s_waitcnt lgkmcnt(0)
	v_add_nc_u32_e32 v11, v12, v11
	s_or_b32 exec_lo, exec_lo, s43
	s_and_saveexec_b32 s43, s10
	s_cbranch_execz .LBB231_47
.LBB231_63:                             ;   in Loop: Header=BB231_36 Depth=1
	v_mov_b32_e32 v12, s31
	ds_load_b32 v12, v12
	s_waitcnt lgkmcnt(0)
	v_add_nc_u32_e32 v11, v12, v11
	s_or_b32 exec_lo, exec_lo, s43
	s_and_saveexec_b32 s43, s11
	s_cbranch_execz .LBB231_48
.LBB231_64:                             ;   in Loop: Header=BB231_36 Depth=1
	v_mov_b32_e32 v12, s37
	ds_load_b32 v12, v12
	s_waitcnt lgkmcnt(0)
	v_add_nc_u32_e32 v11, v12, v11
	s_or_b32 exec_lo, exec_lo, s43
	s_and_saveexec_b32 s43, s12
	s_cbranch_execz .LBB231_49
.LBB231_65:                             ;   in Loop: Header=BB231_36 Depth=1
	v_mov_b32_e32 v12, s39
	ds_load_b32 v12, v12
	s_waitcnt lgkmcnt(0)
	v_add_nc_u32_e32 v11, v12, v11
	s_or_b32 exec_lo, exec_lo, s43
	s_and_saveexec_b32 s43, s13
	s_cbranch_execz .LBB231_50
.LBB231_66:                             ;   in Loop: Header=BB231_36 Depth=1
	v_mov_b32_e32 v12, s41
	ds_load_b32 v12, v12
	s_waitcnt lgkmcnt(0)
	v_add_nc_u32_e32 v11, v12, v11
	s_or_b32 exec_lo, exec_lo, s43
	s_and_saveexec_b32 s43, s14
	s_cbranch_execz .LBB231_51
.LBB231_67:                             ;   in Loop: Header=BB231_36 Depth=1
	v_mov_b32_e32 v12, s42
	ds_load_b32 v12, v12
	s_waitcnt lgkmcnt(0)
	v_add_nc_u32_e32 v11, v12, v11
	s_or_b32 exec_lo, exec_lo, s43
	s_and_saveexec_b32 s43, s15
	s_cbranch_execz .LBB231_52
.LBB231_68:                             ;   in Loop: Header=BB231_36 Depth=1
	s_delay_alu instid0(VALU_DEP_1) | instskip(NEXT) | instid1(VALU_DEP_1)
	v_add3_u32 v12, v8, -1, v11
	v_lshlrev_b32_e32 v13, 3, v12
	v_lshl_add_u32 v12, v12, 2, 0
	s_delay_alu instid0(VALU_DEP_2)
	v_add3_u32 v13, 0, v13, 0x8000
	ds_store_b32 v12, v10
	ds_store_2addr_b32 v13, v2, v3 offset1:1
	s_or_b32 exec_lo, exec_lo, s43
	s_and_saveexec_b32 s15, vcc_lo
	s_cbranch_execz .LBB231_35
.LBB231_69:                             ;   in Loop: Header=BB231_36 Depth=1
	v_mov_b32_e32 v2, s36
	ds_store_b32 v2, v11
	s_branch .LBB231_35
.LBB231_70:                             ;   in Loop: Header=BB231_71 Depth=1
	s_or_b32 exec_lo, exec_lo, s5
	v_add_co_u32 v1, vcc_lo, 0x400, v1
	v_add_co_ci_u32_e32 v2, vcc_lo, 0, v2, vcc_lo
	s_delay_alu instid0(VALU_DEP_1) | instskip(SKIP_1) | instid1(SALU_CYCLE_1)
	v_cmp_le_i64_e32 vcc_lo, s[0:1], v[1:2]
	s_or_b32 s4, vcc_lo, s4
	s_and_not1_b32 exec_lo, exec_lo, s4
	s_cbranch_execz .LBB231_33
.LBB231_71:                             ; =>This Loop Header: Depth=1
                                        ;     Child Loop BB231_73 Depth 2
	v_lshlrev_b64 v[3:4], 2, v[1:2]
	v_lshlrev_b64 v[5:6], 3, v[1:2]
	s_mov_b32 s5, 0
	s_delay_alu instid0(VALU_DEP_2) | instskip(NEXT) | instid1(VALU_DEP_3)
	v_add_co_u32 v3, vcc_lo, s16, v3
	v_add_co_ci_u32_e32 v4, vcc_lo, s17, v4, vcc_lo
	global_load_b32 v12, v[3:4], off
	v_add_co_u32 v3, vcc_lo, s18, v5
	v_add_co_ci_u32_e32 v4, vcc_lo, s19, v6, vcc_lo
	global_load_b64 v[10:11], v[3:4], off
	s_waitcnt vmcnt(1)
	v_subrev_nc_u32_e32 v3, s39, v12
	s_delay_alu instid0(VALU_DEP_1) | instskip(SKIP_2) | instid1(VALU_DEP_1)
	v_mul_lo_u32 v6, 0x89, v3
	s_waitcnt vmcnt(0)
	v_mul_f32_e64 v4, v11, -s12
	v_dual_mul_f32 v5, s2, v11 :: v_dual_fmac_f32 v4, s2, v10
	s_delay_alu instid0(VALU_DEP_1) | instskip(NEXT) | instid1(VALU_DEP_4)
	v_fmac_f32_e32 v5, s12, v10
	v_and_b32_e32 v6, 0x1fff, v6
	s_branch .LBB231_73
.LBB231_72:                             ;   in Loop: Header=BB231_73 Depth=2
	s_or_b32 exec_lo, exec_lo, s6
	s_xor_b32 s6, s7, -1
	s_delay_alu instid0(SALU_CYCLE_1) | instskip(NEXT) | instid1(SALU_CYCLE_1)
	s_and_b32 s6, exec_lo, s6
	s_or_b32 s5, s6, s5
	s_delay_alu instid0(SALU_CYCLE_1)
	s_and_not1_b32 exec_lo, exec_lo, s5
	s_cbranch_execz .LBB231_70
.LBB231_73:                             ;   Parent Loop BB231_71 Depth=1
                                        ; =>  This Inner Loop Header: Depth=2
	s_delay_alu instid0(VALU_DEP_1)
	v_lshl_add_u32 v10, v6, 2, 0
	s_mov_b32 s6, exec_lo
                                        ; implicit-def: $sgpr7
	ds_load_b32 v11, v10
	s_waitcnt lgkmcnt(0)
	v_cmpx_ne_u32_e64 v11, v3
	s_xor_b32 s6, exec_lo, s6
	s_cbranch_execz .LBB231_81
; %bb.74:                               ;   in Loop: Header=BB231_73 Depth=2
	s_mov_b32 s8, exec_lo
                                        ; implicit-def: $sgpr7
	v_cmpx_ne_u32_e64 s33, v11
	s_xor_b32 s8, exec_lo, s8
; %bb.75:                               ;   in Loop: Header=BB231_73 Depth=2
	v_add_nc_u32_e32 v6, 1, v6
	s_mov_b32 s7, -1
                                        ; implicit-def: $vgpr10
	s_delay_alu instid0(VALU_DEP_1)
	v_and_b32_e32 v6, 0x1fff, v6
; %bb.76:                               ;   in Loop: Header=BB231_73 Depth=2
	s_and_not1_saveexec_b32 s8, s8
	s_cbranch_execz .LBB231_80
; %bb.77:                               ;   in Loop: Header=BB231_73 Depth=2
	v_mov_b32_e32 v11, s33
	s_mov_b32 s9, -1
	s_mov_b32 s10, exec_lo
	ds_cmpstore_rtn_b32 v11, v10, v3, v11
	s_waitcnt lgkmcnt(0)
	v_cmpx_eq_u32_e64 s33, v11
	s_cbranch_execz .LBB231_79
; %bb.78:                               ;   in Loop: Header=BB231_73 Depth=2
	v_lshl_add_u32 v10, v6, 2, v10
	s_xor_b32 s9, exec_lo, -1
	ds_add_f32 v10, v4 offset:32768
	ds_add_f32 v10, v5 offset:32772
.LBB231_79:                             ;   in Loop: Header=BB231_73 Depth=2
	s_or_b32 exec_lo, exec_lo, s10
	s_delay_alu instid0(SALU_CYCLE_1) | instskip(SKIP_1) | instid1(SALU_CYCLE_1)
	s_and_not1_b32 s7, s7, exec_lo
	s_and_b32 s9, s9, exec_lo
	s_or_b32 s7, s7, s9
.LBB231_80:                             ;   in Loop: Header=BB231_73 Depth=2
	s_or_b32 exec_lo, exec_lo, s8
	s_delay_alu instid0(SALU_CYCLE_1)
	s_and_b32 s7, s7, exec_lo
                                        ; implicit-def: $vgpr10
.LBB231_81:                             ;   in Loop: Header=BB231_73 Depth=2
	s_and_not1_saveexec_b32 s6, s6
	s_cbranch_execz .LBB231_72
; %bb.82:                               ;   in Loop: Header=BB231_73 Depth=2
	v_lshl_add_u32 v10, v6, 2, v10
	s_and_not1_b32 s7, s7, exec_lo
	ds_add_f32 v10, v4 offset:32768
	ds_add_f32 v10, v5 offset:32772
	s_branch .LBB231_72
.LBB231_83:
	s_or_b32 exec_lo, exec_lo, s16
	s_ashr_i32 s41, s40, 31
	s_mov_b32 s4, exec_lo
	s_lshl_b64 s[0:1], s[40:41], 3
	s_delay_alu instid0(SALU_CYCLE_1) | instskip(SKIP_4) | instid1(SALU_CYCLE_1)
	s_add_u32 s0, s20, s0
	s_addc_u32 s1, s21, s1
	s_load_b128 s[0:3], s[0:1], 0x0
	s_waitcnt lgkmcnt(0)
	s_sub_i32 s3, s2, s0
	v_cmpx_gt_i32_e64 s3, v0
	s_cbranch_execz .LBB231_93
; %bb.84:
	s_sub_u32 s4, s0, s38
	s_subb_u32 s5, s1, 0
	s_sub_i32 s0, s0, s2
	s_and_b32 s1, s3, 7
	s_cmp_lt_u32 s0, -7
	s_mov_b32 s8, 0
	s_cselect_b32 s2, -1, 0
	s_and_b32 s6, s3, -8
	s_cmp_lg_u32 s1, 0
	s_cselect_b32 s7, -1, 0
	s_branch .LBB231_86
.LBB231_85:                             ;   in Loop: Header=BB231_86 Depth=1
	s_delay_alu instid0(VALU_DEP_1) | instskip(SKIP_4) | instid1(VALU_DEP_4)
	v_lshlrev_b64 v[6:7], 2, v[3:4]
	v_lshlrev_b64 v[3:4], 3, v[3:4]
	v_add_nc_u32_e32 v0, 0x400, v0
	s_waitcnt lgkmcnt(1)
	v_add_nc_u32_e32 v8, s38, v5
	v_add_co_u32 v5, vcc_lo, s22, v6
	v_add_co_ci_u32_e32 v6, vcc_lo, s23, v7, vcc_lo
	v_cmp_le_i32_e32 vcc_lo, s3, v0
	v_add_co_u32 v3, s0, s34, v3
	s_delay_alu instid0(VALU_DEP_1)
	v_add_co_ci_u32_e64 v4, s0, s35, v4, s0
	s_or_b32 s8, vcc_lo, s8
	global_store_b32 v[5:6], v8, off
	s_waitcnt lgkmcnt(0)
	global_store_b64 v[3:4], v[1:2], off
	s_and_not1_b32 exec_lo, exec_lo, s8
	s_cbranch_execz .LBB231_93
.LBB231_86:                             ; =>This Loop Header: Depth=1
                                        ;     Child Loop BB231_88 Depth 2
                                        ;     Child Loop BB231_92 Depth 2
	v_lshlrev_b32_e32 v1, 2, v0
	v_dual_mov_b32 v3, s4 :: v_dual_mov_b32 v4, s5
	s_and_not1_b32 vcc_lo, exec_lo, s2
	s_mov_b32 s0, 0
	s_delay_alu instid0(VALU_DEP_2) | instskip(NEXT) | instid1(VALU_DEP_1)
	v_add_nc_u32_e32 v2, 0, v1
	v_add3_u32 v1, v2, v1, 0x8000
	ds_load_b32 v5, v2
	ds_load_2addr_b32 v[1:2], v1 offset1:1
	s_cbranch_vccnz .LBB231_90
; %bb.87:                               ;   in Loop: Header=BB231_86 Depth=1
	v_dual_mov_b32 v3, s4 :: v_dual_mov_b32 v4, s5
	s_mov_b32 s9, 0
	s_mov_b32 s10, 0
.LBB231_88:                             ;   Parent Loop BB231_86 Depth=1
                                        ; =>  This Inner Loop Header: Depth=2
	s_delay_alu instid0(SALU_CYCLE_1)
	v_mov_b32_e32 v12, s10
	s_add_i32 s9, s9, 8
	s_add_i32 s10, s10, 32
	s_cmp_eq_u32 s6, s9
	ds_load_2addr_b32 v[6:7], v12 offset1:1
	ds_load_2addr_b32 v[8:9], v12 offset0:2 offset1:3
	ds_load_2addr_b32 v[10:11], v12 offset0:4 offset1:5
	;; [unrolled: 1-line block ×3, first 2 shown]
	s_waitcnt lgkmcnt(3)
	v_cmp_gt_i32_e32 vcc_lo, v5, v6
	v_cndmask_b32_e64 v6, 0, 1, vcc_lo
	v_cmp_gt_i32_e32 vcc_lo, v5, v7
	v_cndmask_b32_e64 v7, 0, 1, vcc_lo
	s_waitcnt lgkmcnt(2)
	v_cmp_gt_i32_e32 vcc_lo, v5, v8
	v_cndmask_b32_e64 v8, 0, 1, vcc_lo
	v_cmp_gt_i32_e32 vcc_lo, v5, v9
	v_cndmask_b32_e64 v9, 0, 1, vcc_lo
	s_waitcnt lgkmcnt(1)
	v_cmp_gt_i32_e32 vcc_lo, v5, v10
	v_cndmask_b32_e64 v10, 0, 1, vcc_lo
	v_add_co_u32 v3, vcc_lo, v3, v6
	v_add_co_ci_u32_e32 v4, vcc_lo, 0, v4, vcc_lo
	v_cmp_gt_i32_e32 vcc_lo, v5, v11
	s_delay_alu instid0(VALU_DEP_3) | instskip(NEXT) | instid1(VALU_DEP_1)
	v_add_co_u32 v3, s0, v3, v7
	v_add_co_ci_u32_e64 v4, s0, 0, v4, s0
	v_cndmask_b32_e64 v6, 0, 1, vcc_lo
	s_delay_alu instid0(VALU_DEP_3) | instskip(NEXT) | instid1(VALU_DEP_3)
	v_add_co_u32 v3, vcc_lo, v3, v8
	v_add_co_ci_u32_e32 v4, vcc_lo, 0, v4, vcc_lo
	s_waitcnt lgkmcnt(0)
	v_cmp_gt_i32_e32 vcc_lo, v5, v12
	s_delay_alu instid0(VALU_DEP_3) | instskip(NEXT) | instid1(VALU_DEP_1)
	v_add_co_u32 v3, s0, v3, v9
	v_add_co_ci_u32_e64 v4, s0, 0, v4, s0
	v_cndmask_b32_e64 v7, 0, 1, vcc_lo
	s_delay_alu instid0(VALU_DEP_3) | instskip(NEXT) | instid1(VALU_DEP_3)
	v_add_co_u32 v3, vcc_lo, v3, v10
	v_add_co_ci_u32_e32 v4, vcc_lo, 0, v4, vcc_lo
	v_cmp_gt_i32_e32 vcc_lo, v5, v13
	s_delay_alu instid0(VALU_DEP_3) | instskip(NEXT) | instid1(VALU_DEP_1)
	v_add_co_u32 v3, s0, v3, v6
	v_add_co_ci_u32_e64 v4, s0, 0, v4, s0
	v_cndmask_b32_e64 v6, 0, 1, vcc_lo
	s_delay_alu instid0(VALU_DEP_3) | instskip(NEXT) | instid1(VALU_DEP_3)
	v_add_co_u32 v3, vcc_lo, v3, v7
	v_add_co_ci_u32_e32 v4, vcc_lo, 0, v4, vcc_lo
	s_delay_alu instid0(VALU_DEP_2) | instskip(NEXT) | instid1(VALU_DEP_2)
	v_add_co_u32 v3, vcc_lo, v3, v6
	v_add_co_ci_u32_e32 v4, vcc_lo, 0, v4, vcc_lo
	s_cbranch_scc0 .LBB231_88
; %bb.89:                               ;   in Loop: Header=BB231_86 Depth=1
	s_mov_b32 s0, s6
.LBB231_90:                             ;   in Loop: Header=BB231_86 Depth=1
	s_and_not1_b32 vcc_lo, exec_lo, s7
	s_cbranch_vccnz .LBB231_85
; %bb.91:                               ;   in Loop: Header=BB231_86 Depth=1
	s_lshl_b32 s0, s0, 2
	s_mov_b32 s9, s1
	s_add_i32 s0, s0, 0
.LBB231_92:                             ;   Parent Loop BB231_86 Depth=1
                                        ; =>  This Inner Loop Header: Depth=2
	s_delay_alu instid0(SALU_CYCLE_1)
	v_mov_b32_e32 v6, s0
	s_add_i32 s9, s9, -1
	s_add_i32 s0, s0, 4
	s_cmp_lg_u32 s9, 0
	ds_load_b32 v6, v6
	s_waitcnt lgkmcnt(0)
	v_cmp_gt_i32_e32 vcc_lo, v5, v6
	v_cndmask_b32_e64 v6, 0, 1, vcc_lo
	s_delay_alu instid0(VALU_DEP_1)
	v_add_co_u32 v3, vcc_lo, v3, v6
	v_add_co_ci_u32_e32 v4, vcc_lo, 0, v4, vcc_lo
	s_cbranch_scc1 .LBB231_92
	s_branch .LBB231_85
.LBB231_93:
	s_nop 0
	s_sendmsg sendmsg(MSG_DEALLOC_VGPRS)
	s_endpgm
	.section	.rodata,"a",@progbits
	.p2align	6, 0x0
	.amdhsa_kernel _ZN9rocsparseL26csrgemm_fill_block_per_rowILj1024ELj64ELj8192ELj137ELj64Eli21rocsparse_complex_numIfEEEvT5_PKS3_S5_NS_24const_host_device_scalarIT6_EEPKT4_S5_PKS7_SB_S5_SD_S8_SB_S5_SD_SB_PS3_PS7_21rocsparse_index_base_SG_SG_SG_bbb
		.amdhsa_group_segment_fixed_size 0
		.amdhsa_private_segment_fixed_size 0
		.amdhsa_kernarg_size 156
		.amdhsa_user_sgpr_count 15
		.amdhsa_user_sgpr_dispatch_ptr 0
		.amdhsa_user_sgpr_queue_ptr 0
		.amdhsa_user_sgpr_kernarg_segment_ptr 1
		.amdhsa_user_sgpr_dispatch_id 0
		.amdhsa_user_sgpr_private_segment_size 0
		.amdhsa_wavefront_size32 1
		.amdhsa_uses_dynamic_stack 0
		.amdhsa_enable_private_segment 0
		.amdhsa_system_sgpr_workgroup_id_x 1
		.amdhsa_system_sgpr_workgroup_id_y 0
		.amdhsa_system_sgpr_workgroup_id_z 0
		.amdhsa_system_sgpr_workgroup_info 0
		.amdhsa_system_vgpr_workitem_id 0
		.amdhsa_next_free_vgpr 20
		.amdhsa_next_free_sgpr 48
		.amdhsa_reserve_vcc 1
		.amdhsa_float_round_mode_32 0
		.amdhsa_float_round_mode_16_64 0
		.amdhsa_float_denorm_mode_32 3
		.amdhsa_float_denorm_mode_16_64 3
		.amdhsa_dx10_clamp 1
		.amdhsa_ieee_mode 1
		.amdhsa_fp16_overflow 0
		.amdhsa_workgroup_processor_mode 1
		.amdhsa_memory_ordered 1
		.amdhsa_forward_progress 0
		.amdhsa_shared_vgpr_count 0
		.amdhsa_exception_fp_ieee_invalid_op 0
		.amdhsa_exception_fp_denorm_src 0
		.amdhsa_exception_fp_ieee_div_zero 0
		.amdhsa_exception_fp_ieee_overflow 0
		.amdhsa_exception_fp_ieee_underflow 0
		.amdhsa_exception_fp_ieee_inexact 0
		.amdhsa_exception_int_div_zero 0
	.end_amdhsa_kernel
	.section	.text._ZN9rocsparseL26csrgemm_fill_block_per_rowILj1024ELj64ELj8192ELj137ELj64Eli21rocsparse_complex_numIfEEEvT5_PKS3_S5_NS_24const_host_device_scalarIT6_EEPKT4_S5_PKS7_SB_S5_SD_S8_SB_S5_SD_SB_PS3_PS7_21rocsparse_index_base_SG_SG_SG_bbb,"axG",@progbits,_ZN9rocsparseL26csrgemm_fill_block_per_rowILj1024ELj64ELj8192ELj137ELj64Eli21rocsparse_complex_numIfEEEvT5_PKS3_S5_NS_24const_host_device_scalarIT6_EEPKT4_S5_PKS7_SB_S5_SD_S8_SB_S5_SD_SB_PS3_PS7_21rocsparse_index_base_SG_SG_SG_bbb,comdat
.Lfunc_end231:
	.size	_ZN9rocsparseL26csrgemm_fill_block_per_rowILj1024ELj64ELj8192ELj137ELj64Eli21rocsparse_complex_numIfEEEvT5_PKS3_S5_NS_24const_host_device_scalarIT6_EEPKT4_S5_PKS7_SB_S5_SD_S8_SB_S5_SD_SB_PS3_PS7_21rocsparse_index_base_SG_SG_SG_bbb, .Lfunc_end231-_ZN9rocsparseL26csrgemm_fill_block_per_rowILj1024ELj64ELj8192ELj137ELj64Eli21rocsparse_complex_numIfEEEvT5_PKS3_S5_NS_24const_host_device_scalarIT6_EEPKT4_S5_PKS7_SB_S5_SD_S8_SB_S5_SD_SB_PS3_PS7_21rocsparse_index_base_SG_SG_SG_bbb
                                        ; -- End function
	.section	.AMDGPU.csdata,"",@progbits
; Kernel info:
; codeLenInByte = 3928
; NumSgprs: 50
; NumVgprs: 20
; ScratchSize: 0
; MemoryBound: 0
; FloatMode: 240
; IeeeMode: 1
; LDSByteSize: 0 bytes/workgroup (compile time only)
; SGPRBlocks: 6
; VGPRBlocks: 2
; NumSGPRsForWavesPerEU: 50
; NumVGPRsForWavesPerEU: 20
; Occupancy: 16
; WaveLimiterHint : 1
; COMPUTE_PGM_RSRC2:SCRATCH_EN: 0
; COMPUTE_PGM_RSRC2:USER_SGPR: 15
; COMPUTE_PGM_RSRC2:TRAP_HANDLER: 0
; COMPUTE_PGM_RSRC2:TGID_X_EN: 1
; COMPUTE_PGM_RSRC2:TGID_Y_EN: 0
; COMPUTE_PGM_RSRC2:TGID_Z_EN: 0
; COMPUTE_PGM_RSRC2:TIDIG_COMP_CNT: 0
	.section	.text._ZN9rocsparseL26csrgemm_fill_block_per_rowILj1024ELj64ELj16384ELj137ELj32Eli21rocsparse_complex_numIfEEEvT5_PKS3_S5_NS_24const_host_device_scalarIT6_EEPKT4_S5_PKS7_SB_S5_SD_S8_SB_S5_SD_SB_PS3_PS7_21rocsparse_index_base_SG_SG_SG_bbb,"axG",@progbits,_ZN9rocsparseL26csrgemm_fill_block_per_rowILj1024ELj64ELj16384ELj137ELj32Eli21rocsparse_complex_numIfEEEvT5_PKS3_S5_NS_24const_host_device_scalarIT6_EEPKT4_S5_PKS7_SB_S5_SD_S8_SB_S5_SD_SB_PS3_PS7_21rocsparse_index_base_SG_SG_SG_bbb,comdat
	.globl	_ZN9rocsparseL26csrgemm_fill_block_per_rowILj1024ELj64ELj16384ELj137ELj32Eli21rocsparse_complex_numIfEEEvT5_PKS3_S5_NS_24const_host_device_scalarIT6_EEPKT4_S5_PKS7_SB_S5_SD_S8_SB_S5_SD_SB_PS3_PS7_21rocsparse_index_base_SG_SG_SG_bbb ; -- Begin function _ZN9rocsparseL26csrgemm_fill_block_per_rowILj1024ELj64ELj16384ELj137ELj32Eli21rocsparse_complex_numIfEEEvT5_PKS3_S5_NS_24const_host_device_scalarIT6_EEPKT4_S5_PKS7_SB_S5_SD_S8_SB_S5_SD_SB_PS3_PS7_21rocsparse_index_base_SG_SG_SG_bbb
	.p2align	8
	.type	_ZN9rocsparseL26csrgemm_fill_block_per_rowILj1024ELj64ELj16384ELj137ELj32Eli21rocsparse_complex_numIfEEEvT5_PKS3_S5_NS_24const_host_device_scalarIT6_EEPKT4_S5_PKS7_SB_S5_SD_S8_SB_S5_SD_SB_PS3_PS7_21rocsparse_index_base_SG_SG_SG_bbb,@function
_ZN9rocsparseL26csrgemm_fill_block_per_rowILj1024ELj64ELj16384ELj137ELj32Eli21rocsparse_complex_numIfEEEvT5_PKS3_S5_NS_24const_host_device_scalarIT6_EEPKT4_S5_PKS7_SB_S5_SD_S8_SB_S5_SD_SB_PS3_PS7_21rocsparse_index_base_SG_SG_SG_bbb: ; @_ZN9rocsparseL26csrgemm_fill_block_per_rowILj1024ELj64ELj16384ELj137ELj32Eli21rocsparse_complex_numIfEEEvT5_PKS3_S5_NS_24const_host_device_scalarIT6_EEPKT4_S5_PKS7_SB_S5_SD_S8_SB_S5_SD_SB_PS3_PS7_21rocsparse_index_base_SG_SG_SG_bbb
; %bb.0:
	s_clause 0x6
	s_load_b32 s12, s[0:1], 0x98
	s_load_b256 s[36:43], s[0:1], 0x60
	s_load_b256 s[4:11], s[0:1], 0x40
	s_load_b128 s[24:27], s[0:1], 0x8
	s_load_b256 s[16:23], s[0:1], 0x20
	s_load_b64 s[34:35], s[0:1], 0x80
	s_load_b128 s[44:47], s[0:1], 0x88
	s_mov_b32 s3, 0
	s_mov_b32 s13, 0
	s_waitcnt lgkmcnt(0)
	s_bitcmp1_b32 s12, 0
	s_cselect_b32 s28, -1, 0
	s_bitcmp1_b32 s12, 16
	s_cselect_b32 s2, -1, 0
	s_delay_alu instid0(SALU_CYCLE_1) | instskip(SKIP_2) | instid1(VALU_DEP_1)
	s_xor_b32 s14, s2, -1
	s_bitcmp0_b32 s12, 0
	v_cndmask_b32_e64 v1, 0, 1, s14
	v_cmp_ne_u32_e32 vcc_lo, 1, v1
	s_cbranch_scc1 .LBB232_5
; %bb.1:
	s_load_b64 s[2:3], s[0:1], 0x18
	s_and_b32 vcc_lo, exec_lo, vcc_lo
	s_waitcnt lgkmcnt(0)
	s_mov_b32 s13, s2
	s_cbranch_vccnz .LBB232_3
; %bb.2:
	s_load_b32 s13, s[2:3], 0x0
.LBB232_3:
	s_and_not1_b32 vcc_lo, exec_lo, s14
	s_cbranch_vccnz .LBB232_5
; %bb.4:
	s_load_b32 s3, s[2:3], 0x4
.LBB232_5:
	s_bitcmp1_b32 s12, 8
	s_cselect_b32 s14, -1, 0
	s_bfe_u32 s2, s12, 0x10008
	s_mov_b32 s12, 0
	s_cmp_eq_u32 s2, 0
	s_mov_b32 s2, 0
	s_cbranch_scc1 .LBB232_11
; %bb.6:
	v_cmp_ne_u32_e32 vcc_lo, 1, v1
	s_mov_b32 s2, s8
	s_cbranch_vccnz .LBB232_8
; %bb.7:
	s_load_b32 s2, s[8:9], 0x0
.LBB232_8:
	v_cmp_ne_u32_e32 vcc_lo, 1, v1
	s_cbranch_vccnz .LBB232_10
; %bb.9:
	s_load_b32 s9, s[8:9], 0x4
.LBB232_10:
	s_waitcnt lgkmcnt(0)
	s_mov_b32 s12, s9
.LBB232_11:
	s_load_b32 s33, s[0:1], 0x0
	v_lshlrev_b32_e32 v9, 3, v0
	v_lshl_add_u32 v7, v0, 2, 0
	v_or_b32_e32 v8, 0xfffffc00, v0
	v_mov_b32_e32 v1, 0
	s_mov_b32 s0, 0
	s_delay_alu instid0(VALU_DEP_3)
	v_mov_b32_e32 v3, v7
	s_waitcnt lgkmcnt(0)
	v_dual_mov_b32 v5, v8 :: v_dual_mov_b32 v4, s33
	v_add3_u32 v2, v9, 0, 0x10004
.LBB232_12:                             ; =>This Inner Loop Header: Depth=1
	s_delay_alu instid0(VALU_DEP_2)
	v_add_nc_u32_e32 v5, 0x400, v5
	ds_store_b32 v3, v4
	v_add_nc_u32_e32 v6, -4, v2
	v_add_nc_u32_e32 v2, 0x2000, v2
	v_add_nc_u32_e32 v3, 0x1000, v3
	v_cmp_lt_u32_e32 vcc_lo, 0x3bff, v5
	ds_store_2addr_b32 v6, v1, v1 offset1:1
	s_or_b32 s0, vcc_lo, s0
	s_delay_alu instid0(SALU_CYCLE_1)
	s_and_not1_b32 exec_lo, exec_lo, s0
	s_cbranch_execnz .LBB232_12
; %bb.13:
	s_or_b32 exec_lo, exec_lo, s0
	s_waitcnt lgkmcnt(0)
	s_barrier
	buffer_gl0_inv
	s_load_b32 s0, s[24:25], 0x0
	s_mov_b32 s1, 0
	s_waitcnt lgkmcnt(0)
	s_add_i32 s0, s0, s15
	s_delay_alu instid0(SALU_CYCLE_1) | instskip(NEXT) | instid1(SALU_CYCLE_1)
	s_lshl_b64 s[0:1], s[0:1], 2
	s_add_u32 s0, s26, s0
	s_addc_u32 s1, s27, s1
	s_and_b32 vcc_lo, exec_lo, s28
	s_load_b32 s48, s[0:1], 0x0
	s_cbranch_vccz .LBB232_33
; %bb.14:
	s_waitcnt lgkmcnt(0)
	s_ashr_i32 s49, s48, 31
	v_lshrrev_b32_e32 v1, 6, v0
	s_lshl_b64 s[0:1], s[48:49], 3
	s_mov_b32 s8, exec_lo
	s_add_u32 s0, s16, s0
	s_addc_u32 s1, s17, s1
	s_load_b128 s[24:27], s[0:1], 0x0
	v_sub_co_u32 v1, s0, v1, s44
	s_delay_alu instid0(VALU_DEP_1) | instskip(SKIP_1) | instid1(VALU_DEP_2)
	v_sub_co_ci_u32_e64 v2, null, 0, 0, s0
	s_waitcnt lgkmcnt(0)
	v_add_co_u32 v1, vcc_lo, s24, v1
	s_delay_alu instid0(VALU_DEP_2)
	v_add_co_ci_u32_e32 v2, vcc_lo, s25, v2, vcc_lo
	s_sub_u32 s0, s26, s44
	s_subb_u32 s1, s27, 0
	s_delay_alu instid0(VALU_DEP_1) | instid1(SALU_CYCLE_1)
	v_cmpx_gt_i64_e64 s[0:1], v[1:2]
	s_cbranch_execz .LBB232_32
; %bb.15:
	v_and_b32_e32 v3, 63, v0
	s_mov_b32 s15, s45
	s_delay_alu instid0(VALU_DEP_1) | instskip(NEXT) | instid1(VALU_DEP_1)
	v_sub_co_u32 v10, s9, v3, s45
	v_sub_co_ci_u32_e64 v11, null, 0, 0, s9
	s_mov_b32 s9, 0
	s_branch .LBB232_17
.LBB232_16:                             ;   in Loop: Header=BB232_17 Depth=1
	s_or_b32 exec_lo, exec_lo, s16
	v_add_co_u32 v1, vcc_lo, v1, 16
	v_add_co_ci_u32_e32 v2, vcc_lo, 0, v2, vcc_lo
	s_delay_alu instid0(VALU_DEP_1) | instskip(SKIP_1) | instid1(SALU_CYCLE_1)
	v_cmp_le_i64_e32 vcc_lo, s[0:1], v[1:2]
	s_or_b32 s9, vcc_lo, s9
	s_and_not1_b32 exec_lo, exec_lo, s9
	s_cbranch_execz .LBB232_32
.LBB232_17:                             ; =>This Loop Header: Depth=1
                                        ;     Child Loop BB232_20 Depth 2
                                        ;       Child Loop BB232_22 Depth 3
	v_lshlrev_b64 v[3:4], 2, v[1:2]
	s_mov_b32 s16, exec_lo
	s_delay_alu instid0(VALU_DEP_1) | instskip(NEXT) | instid1(VALU_DEP_2)
	v_add_co_u32 v3, vcc_lo, s18, v3
	v_add_co_ci_u32_e32 v4, vcc_lo, s19, v4, vcc_lo
	global_load_b32 v3, v[3:4], off
	s_waitcnt vmcnt(0)
	v_subrev_nc_u32_e32 v3, s44, v3
	s_delay_alu instid0(VALU_DEP_1) | instskip(NEXT) | instid1(VALU_DEP_1)
	v_ashrrev_i32_e32 v4, 31, v3
	v_lshlrev_b64 v[3:4], 3, v[3:4]
	s_delay_alu instid0(VALU_DEP_1) | instskip(NEXT) | instid1(VALU_DEP_2)
	v_add_co_u32 v3, vcc_lo, s22, v3
	v_add_co_ci_u32_e32 v4, vcc_lo, s23, v4, vcc_lo
	global_load_b128 v[12:15], v[3:4], off
	s_waitcnt vmcnt(0)
	v_sub_co_u32 v3, vcc_lo, v14, s15
	v_subrev_co_ci_u32_e32 v4, vcc_lo, 0, v15, vcc_lo
	v_add_co_u32 v5, vcc_lo, v12, v10
	v_add_co_ci_u32_e32 v6, vcc_lo, v13, v11, vcc_lo
	s_delay_alu instid0(VALU_DEP_1)
	v_cmpx_lt_i64_e64 v[5:6], v[3:4]
	s_cbranch_execz .LBB232_16
; %bb.18:                               ;   in Loop: Header=BB232_17 Depth=1
	v_lshlrev_b64 v[12:13], 3, v[1:2]
	s_mov_b32 s17, 0
	s_delay_alu instid0(VALU_DEP_1) | instskip(NEXT) | instid1(VALU_DEP_2)
	v_add_co_u32 v12, vcc_lo, s20, v12
	v_add_co_ci_u32_e32 v13, vcc_lo, s21, v13, vcc_lo
	global_load_b64 v[14:15], v[12:13], off
	s_waitcnt vmcnt(0)
	v_mul_f32_e64 v12, v15, -s3
	s_delay_alu instid0(VALU_DEP_1) | instskip(NEXT) | instid1(VALU_DEP_1)
	v_dual_mul_f32 v13, s13, v15 :: v_dual_fmac_f32 v12, s13, v14
	v_fmac_f32_e32 v13, s3, v14
	s_branch .LBB232_20
.LBB232_19:                             ;   in Loop: Header=BB232_20 Depth=2
	s_or_b32 exec_lo, exec_lo, s24
	v_add_co_u32 v5, vcc_lo, v5, 64
	v_add_co_ci_u32_e32 v6, vcc_lo, 0, v6, vcc_lo
	s_delay_alu instid0(VALU_DEP_1) | instskip(SKIP_1) | instid1(SALU_CYCLE_1)
	v_cmp_ge_i64_e32 vcc_lo, v[5:6], v[3:4]
	s_or_b32 s17, vcc_lo, s17
	s_and_not1_b32 exec_lo, exec_lo, s17
	s_cbranch_execz .LBB232_16
.LBB232_20:                             ;   Parent Loop BB232_17 Depth=1
                                        ; =>  This Loop Header: Depth=2
                                        ;       Child Loop BB232_22 Depth 3
	v_lshlrev_b64 v[14:15], 2, v[5:6]
	v_lshlrev_b64 v[16:17], 3, v[5:6]
	s_mov_b32 s24, 0
	s_delay_alu instid0(VALU_DEP_2) | instskip(NEXT) | instid1(VALU_DEP_3)
	v_add_co_u32 v14, vcc_lo, s4, v14
	v_add_co_ci_u32_e32 v15, vcc_lo, s5, v15, vcc_lo
	global_load_b32 v19, v[14:15], off
	v_add_co_u32 v14, vcc_lo, s6, v16
	v_add_co_ci_u32_e32 v15, vcc_lo, s7, v17, vcc_lo
	global_load_b64 v[17:18], v[14:15], off
	s_waitcnt vmcnt(1)
	v_subrev_nc_u32_e32 v14, s45, v19
	s_delay_alu instid0(VALU_DEP_1) | instskip(SKIP_3) | instid1(VALU_DEP_2)
	v_mul_lo_u32 v19, 0x89, v14
	s_waitcnt vmcnt(0)
	v_mul_f32_e64 v15, v18, -v13
	v_mul_f32_e32 v16, v12, v18
	v_fmac_f32_e32 v15, v12, v17
	s_delay_alu instid0(VALU_DEP_2)
	v_dual_fmac_f32 v16, v13, v17 :: v_dual_and_b32 v17, 0x3fff, v19
	s_branch .LBB232_22
.LBB232_21:                             ;   in Loop: Header=BB232_22 Depth=3
	s_or_b32 exec_lo, exec_lo, s25
	s_xor_b32 s25, s26, -1
	s_delay_alu instid0(SALU_CYCLE_1) | instskip(NEXT) | instid1(SALU_CYCLE_1)
	s_and_b32 s25, exec_lo, s25
	s_or_b32 s24, s25, s24
	s_delay_alu instid0(SALU_CYCLE_1)
	s_and_not1_b32 exec_lo, exec_lo, s24
	s_cbranch_execz .LBB232_19
.LBB232_22:                             ;   Parent Loop BB232_17 Depth=1
                                        ;     Parent Loop BB232_20 Depth=2
                                        ; =>    This Inner Loop Header: Depth=3
	s_delay_alu instid0(VALU_DEP_1)
	v_lshl_add_u32 v18, v17, 2, 0
	s_mov_b32 s25, exec_lo
                                        ; implicit-def: $sgpr26
	ds_load_b32 v19, v18
	s_waitcnt lgkmcnt(0)
	v_cmpx_ne_u32_e64 v19, v14
	s_xor_b32 s25, exec_lo, s25
	s_cbranch_execz .LBB232_30
; %bb.23:                               ;   in Loop: Header=BB232_22 Depth=3
	s_mov_b32 s27, exec_lo
                                        ; implicit-def: $sgpr26
	v_cmpx_ne_u32_e64 s33, v19
	s_xor_b32 s27, exec_lo, s27
; %bb.24:                               ;   in Loop: Header=BB232_22 Depth=3
	v_add_nc_u32_e32 v17, 1, v17
	s_mov_b32 s26, -1
                                        ; implicit-def: $vgpr18
	s_delay_alu instid0(VALU_DEP_1)
	v_and_b32_e32 v17, 0x3fff, v17
; %bb.25:                               ;   in Loop: Header=BB232_22 Depth=3
	s_and_not1_saveexec_b32 s27, s27
	s_cbranch_execz .LBB232_29
; %bb.26:                               ;   in Loop: Header=BB232_22 Depth=3
	v_mov_b32_e32 v19, s33
	s_mov_b32 s29, -1
	s_mov_b32 s28, exec_lo
	ds_cmpstore_rtn_b32 v18, v18, v14, v19
	s_waitcnt lgkmcnt(0)
	v_cmpx_eq_u32_e64 s33, v18
	s_cbranch_execz .LBB232_28
; %bb.27:                               ;   in Loop: Header=BB232_22 Depth=3
	v_lshlrev_b32_e32 v18, 3, v17
	s_xor_b32 s29, exec_lo, -1
	s_delay_alu instid0(VALU_DEP_1)
	v_add3_u32 v18, 0, v18, 0x10000
	ds_add_f32 v18, v15
	ds_add_f32 v18, v16 offset:4
.LBB232_28:                             ;   in Loop: Header=BB232_22 Depth=3
	s_or_b32 exec_lo, exec_lo, s28
	s_delay_alu instid0(SALU_CYCLE_1) | instskip(SKIP_1) | instid1(SALU_CYCLE_1)
	s_and_not1_b32 s26, s26, exec_lo
	s_and_b32 s28, s29, exec_lo
	s_or_b32 s26, s26, s28
.LBB232_29:                             ;   in Loop: Header=BB232_22 Depth=3
	s_or_b32 exec_lo, exec_lo, s27
	s_delay_alu instid0(SALU_CYCLE_1)
	s_and_b32 s26, s26, exec_lo
.LBB232_30:                             ;   in Loop: Header=BB232_22 Depth=3
	s_and_not1_saveexec_b32 s25, s25
	s_cbranch_execz .LBB232_21
; %bb.31:                               ;   in Loop: Header=BB232_22 Depth=3
	v_lshlrev_b32_e32 v18, 3, v17
	s_and_not1_b32 s26, s26, exec_lo
	s_delay_alu instid0(VALU_DEP_1)
	v_add3_u32 v18, 0, v18, 0x10000
	ds_add_f32 v18, v15
	ds_add_f32 v18, v16 offset:4
	s_branch .LBB232_21
.LBB232_32:
	s_or_b32 exec_lo, exec_lo, s8
.LBB232_33:
	s_delay_alu instid0(SALU_CYCLE_1)
	s_and_not1_b32 vcc_lo, exec_lo, s14
	s_cbranch_vccnz .LBB232_36
; %bb.34:
	s_waitcnt lgkmcnt(0)
	s_ashr_i32 s49, s48, 31
	s_mov_b32 s3, exec_lo
	s_lshl_b64 s[0:1], s[48:49], 3
	s_delay_alu instid0(SALU_CYCLE_1) | instskip(SKIP_3) | instid1(VALU_DEP_1)
	s_add_u32 s0, s10, s0
	s_addc_u32 s1, s11, s1
	s_load_b128 s[4:7], s[0:1], 0x0
	v_sub_co_u32 v1, s0, v0, s47
	v_sub_co_ci_u32_e64 v2, null, 0, 0, s0
	s_waitcnt lgkmcnt(0)
	s_delay_alu instid0(VALU_DEP_2) | instskip(NEXT) | instid1(VALU_DEP_2)
	v_add_co_u32 v1, vcc_lo, s4, v1
	v_add_co_ci_u32_e32 v2, vcc_lo, s5, v2, vcc_lo
	s_sub_u32 s0, s6, s47
	s_subb_u32 s1, s7, 0
	s_mov_b32 s4, 0
	s_delay_alu instid0(VALU_DEP_1)
	v_cmpx_gt_i64_e64 s[0:1], v[1:2]
	s_cbranch_execnz .LBB232_105
.LBB232_35:
	s_or_b32 exec_lo, exec_lo, s3
.LBB232_36:
	v_mbcnt_lo_u32_b32 v1, -1, 0
	v_lshrrev_b32_e32 v2, 3, v0
	s_add_i32 s70, 0, 0x3007c
	v_cmp_eq_u32_e32 vcc_lo, 0x3ff, v0
	v_cmp_lt_u32_e64 s0, 31, v0
	v_xor_b32_e32 v1, 63, v1
	v_dual_mov_b32 v6, 0 :: v_dual_and_b32 v3, 0x7c, v2
	v_cmp_lt_u32_e64 s1, 63, v0
	v_cmp_lt_u32_e64 s2, 0x5f, v0
	s_delay_alu instid0(VALU_DEP_4) | instskip(NEXT) | instid1(VALU_DEP_4)
	v_lshrrev_b64 v[1:2], v1, -1
	v_add3_u32 v4, 0, 0x30000, v3
	v_cmp_lt_u32_e64 s3, 0x7f, v0
	v_cmp_lt_u32_e64 s4, 0x9f, v0
	;; [unrolled: 1-line block ×28, first 2 shown]
	v_add3_u32 v5, v9, 0, 0x10000
	v_mov_b32_e32 v9, s70
	s_mov_b32 s36, 0
	s_add_i32 s37, 0, 0x30000
	s_add_i32 s38, 0, 0x30004
	;; [unrolled: 1-line block ×31, first 2 shown]
	s_waitcnt lgkmcnt(0)
	s_barrier
	buffer_gl0_inv
	s_branch .LBB232_38
.LBB232_37:                             ;   in Loop: Header=BB232_38 Depth=1
	s_or_b32 exec_lo, exec_lo, s31
	s_waitcnt lgkmcnt(0)
	s_barrier
	buffer_gl0_inv
	ds_load_b32 v2, v9
	v_add_nc_u32_e32 v8, 0x400, v8
	v_add_nc_u32_e32 v5, 0x2000, v5
	;; [unrolled: 1-line block ×3, first 2 shown]
	s_delay_alu instid0(VALU_DEP_3) | instskip(NEXT) | instid1(VALU_DEP_1)
	v_cmp_lt_u32_e64 s31, 0x3bff, v8
	s_or_b32 s36, s31, s36
	s_waitcnt lgkmcnt(0)
	v_add_nc_u32_e32 v6, v2, v6
	s_and_not1_b32 exec_lo, exec_lo, s36
	s_cbranch_execz .LBB232_117
.LBB232_38:                             ; =>This Inner Loop Header: Depth=1
	ds_load_b32 v10, v7
	ds_load_2addr_b32 v[2:3], v5 offset1:1
	s_waitcnt lgkmcnt(0)
	s_barrier
	buffer_gl0_inv
	v_cmp_gt_i32_e64 s31, s33, v10
	s_delay_alu instid0(VALU_DEP_1) | instskip(NEXT) | instid1(SALU_CYCLE_1)
	s_bcnt1_i32_b32 s75, s31
	v_dual_mov_b32 v12, s75 :: v_dual_and_b32 v11, s31, v1
	s_delay_alu instid0(VALU_DEP_1)
	v_bcnt_u32_b32 v11, v11, 0
	ds_store_b32 v4, v12
	s_waitcnt lgkmcnt(0)
	s_barrier
	buffer_gl0_inv
	s_and_saveexec_b32 s75, s0
	s_cbranch_execnz .LBB232_71
; %bb.39:                               ;   in Loop: Header=BB232_38 Depth=1
	s_or_b32 exec_lo, exec_lo, s75
	s_and_saveexec_b32 s75, s1
	s_cbranch_execnz .LBB232_72
.LBB232_40:                             ;   in Loop: Header=BB232_38 Depth=1
	s_or_b32 exec_lo, exec_lo, s75
	s_and_saveexec_b32 s75, s2
	s_cbranch_execnz .LBB232_73
.LBB232_41:                             ;   in Loop: Header=BB232_38 Depth=1
	s_or_b32 exec_lo, exec_lo, s75
	s_and_saveexec_b32 s75, s3
	s_cbranch_execnz .LBB232_74
.LBB232_42:                             ;   in Loop: Header=BB232_38 Depth=1
	s_or_b32 exec_lo, exec_lo, s75
	s_and_saveexec_b32 s75, s4
	s_cbranch_execnz .LBB232_75
.LBB232_43:                             ;   in Loop: Header=BB232_38 Depth=1
	s_or_b32 exec_lo, exec_lo, s75
	s_and_saveexec_b32 s75, s5
	s_cbranch_execnz .LBB232_76
.LBB232_44:                             ;   in Loop: Header=BB232_38 Depth=1
	s_or_b32 exec_lo, exec_lo, s75
	s_and_saveexec_b32 s75, s6
	s_cbranch_execnz .LBB232_77
.LBB232_45:                             ;   in Loop: Header=BB232_38 Depth=1
	s_or_b32 exec_lo, exec_lo, s75
	s_and_saveexec_b32 s75, s7
	s_cbranch_execnz .LBB232_78
.LBB232_46:                             ;   in Loop: Header=BB232_38 Depth=1
	s_or_b32 exec_lo, exec_lo, s75
	s_and_saveexec_b32 s75, s8
	s_cbranch_execnz .LBB232_79
.LBB232_47:                             ;   in Loop: Header=BB232_38 Depth=1
	s_or_b32 exec_lo, exec_lo, s75
	s_and_saveexec_b32 s75, s9
	s_cbranch_execnz .LBB232_80
.LBB232_48:                             ;   in Loop: Header=BB232_38 Depth=1
	s_or_b32 exec_lo, exec_lo, s75
	s_and_saveexec_b32 s75, s10
	s_cbranch_execnz .LBB232_81
.LBB232_49:                             ;   in Loop: Header=BB232_38 Depth=1
	s_or_b32 exec_lo, exec_lo, s75
	s_and_saveexec_b32 s75, s11
	s_cbranch_execnz .LBB232_82
.LBB232_50:                             ;   in Loop: Header=BB232_38 Depth=1
	s_or_b32 exec_lo, exec_lo, s75
	s_and_saveexec_b32 s75, s12
	s_cbranch_execnz .LBB232_83
.LBB232_51:                             ;   in Loop: Header=BB232_38 Depth=1
	s_or_b32 exec_lo, exec_lo, s75
	s_and_saveexec_b32 s75, s13
	s_cbranch_execnz .LBB232_84
.LBB232_52:                             ;   in Loop: Header=BB232_38 Depth=1
	s_or_b32 exec_lo, exec_lo, s75
	s_and_saveexec_b32 s75, s14
	s_cbranch_execnz .LBB232_85
.LBB232_53:                             ;   in Loop: Header=BB232_38 Depth=1
	s_or_b32 exec_lo, exec_lo, s75
	s_and_saveexec_b32 s75, s15
	s_cbranch_execnz .LBB232_86
.LBB232_54:                             ;   in Loop: Header=BB232_38 Depth=1
	s_or_b32 exec_lo, exec_lo, s75
	s_and_saveexec_b32 s75, s16
	s_cbranch_execnz .LBB232_87
.LBB232_55:                             ;   in Loop: Header=BB232_38 Depth=1
	s_or_b32 exec_lo, exec_lo, s75
	s_and_saveexec_b32 s75, s17
	s_cbranch_execnz .LBB232_88
.LBB232_56:                             ;   in Loop: Header=BB232_38 Depth=1
	s_or_b32 exec_lo, exec_lo, s75
	s_and_saveexec_b32 s75, s18
	s_cbranch_execnz .LBB232_89
.LBB232_57:                             ;   in Loop: Header=BB232_38 Depth=1
	s_or_b32 exec_lo, exec_lo, s75
	s_and_saveexec_b32 s75, s19
	s_cbranch_execnz .LBB232_90
.LBB232_58:                             ;   in Loop: Header=BB232_38 Depth=1
	s_or_b32 exec_lo, exec_lo, s75
	s_and_saveexec_b32 s75, s20
	s_cbranch_execnz .LBB232_91
.LBB232_59:                             ;   in Loop: Header=BB232_38 Depth=1
	s_or_b32 exec_lo, exec_lo, s75
	s_and_saveexec_b32 s75, s21
	s_cbranch_execnz .LBB232_92
.LBB232_60:                             ;   in Loop: Header=BB232_38 Depth=1
	s_or_b32 exec_lo, exec_lo, s75
	s_and_saveexec_b32 s75, s22
	s_cbranch_execnz .LBB232_93
.LBB232_61:                             ;   in Loop: Header=BB232_38 Depth=1
	s_or_b32 exec_lo, exec_lo, s75
	s_and_saveexec_b32 s75, s23
	s_cbranch_execnz .LBB232_94
.LBB232_62:                             ;   in Loop: Header=BB232_38 Depth=1
	s_or_b32 exec_lo, exec_lo, s75
	s_and_saveexec_b32 s75, s24
	s_cbranch_execnz .LBB232_95
.LBB232_63:                             ;   in Loop: Header=BB232_38 Depth=1
	s_or_b32 exec_lo, exec_lo, s75
	s_and_saveexec_b32 s75, s25
	s_cbranch_execnz .LBB232_96
.LBB232_64:                             ;   in Loop: Header=BB232_38 Depth=1
	s_or_b32 exec_lo, exec_lo, s75
	s_and_saveexec_b32 s75, s26
	s_cbranch_execnz .LBB232_97
.LBB232_65:                             ;   in Loop: Header=BB232_38 Depth=1
	s_or_b32 exec_lo, exec_lo, s75
	s_and_saveexec_b32 s75, s27
	s_cbranch_execnz .LBB232_98
.LBB232_66:                             ;   in Loop: Header=BB232_38 Depth=1
	s_or_b32 exec_lo, exec_lo, s75
	s_and_saveexec_b32 s75, s28
	s_cbranch_execnz .LBB232_99
.LBB232_67:                             ;   in Loop: Header=BB232_38 Depth=1
	s_or_b32 exec_lo, exec_lo, s75
	s_and_saveexec_b32 s75, s29
	s_cbranch_execnz .LBB232_100
.LBB232_68:                             ;   in Loop: Header=BB232_38 Depth=1
	s_or_b32 exec_lo, exec_lo, s75
	s_and_saveexec_b32 s75, s30
	s_cbranch_execnz .LBB232_101
.LBB232_69:                             ;   in Loop: Header=BB232_38 Depth=1
	s_or_b32 exec_lo, exec_lo, s75
	s_and_saveexec_b32 s75, s31
	s_cbranch_execnz .LBB232_102
.LBB232_70:                             ;   in Loop: Header=BB232_38 Depth=1
	s_or_b32 exec_lo, exec_lo, s75
	s_and_saveexec_b32 s31, vcc_lo
	s_cbranch_execz .LBB232_37
	s_branch .LBB232_103
.LBB232_71:                             ;   in Loop: Header=BB232_38 Depth=1
	v_mov_b32_e32 v12, s37
	ds_load_b32 v12, v12
	s_waitcnt lgkmcnt(0)
	v_add_nc_u32_e32 v11, v12, v11
	s_or_b32 exec_lo, exec_lo, s75
	s_and_saveexec_b32 s75, s1
	s_cbranch_execz .LBB232_40
.LBB232_72:                             ;   in Loop: Header=BB232_38 Depth=1
	v_mov_b32_e32 v12, s38
	ds_load_b32 v12, v12
	s_waitcnt lgkmcnt(0)
	v_add_nc_u32_e32 v11, v12, v11
	s_or_b32 exec_lo, exec_lo, s75
	s_and_saveexec_b32 s75, s2
	s_cbranch_execz .LBB232_41
.LBB232_73:                             ;   in Loop: Header=BB232_38 Depth=1
	v_mov_b32_e32 v12, s39
	ds_load_b32 v12, v12
	s_waitcnt lgkmcnt(0)
	v_add_nc_u32_e32 v11, v12, v11
	s_or_b32 exec_lo, exec_lo, s75
	s_and_saveexec_b32 s75, s3
	s_cbranch_execz .LBB232_42
.LBB232_74:                             ;   in Loop: Header=BB232_38 Depth=1
	v_mov_b32_e32 v12, s44
	ds_load_b32 v12, v12
	s_waitcnt lgkmcnt(0)
	v_add_nc_u32_e32 v11, v12, v11
	s_or_b32 exec_lo, exec_lo, s75
	s_and_saveexec_b32 s75, s4
	s_cbranch_execz .LBB232_43
.LBB232_75:                             ;   in Loop: Header=BB232_38 Depth=1
	v_mov_b32_e32 v12, s45
	ds_load_b32 v12, v12
	s_waitcnt lgkmcnt(0)
	v_add_nc_u32_e32 v11, v12, v11
	s_or_b32 exec_lo, exec_lo, s75
	s_and_saveexec_b32 s75, s5
	s_cbranch_execz .LBB232_44
.LBB232_76:                             ;   in Loop: Header=BB232_38 Depth=1
	v_mov_b32_e32 v12, s47
	ds_load_b32 v12, v12
	s_waitcnt lgkmcnt(0)
	v_add_nc_u32_e32 v11, v12, v11
	s_or_b32 exec_lo, exec_lo, s75
	s_and_saveexec_b32 s75, s6
	s_cbranch_execz .LBB232_45
.LBB232_77:                             ;   in Loop: Header=BB232_38 Depth=1
	v_mov_b32_e32 v12, s49
	ds_load_b32 v12, v12
	s_waitcnt lgkmcnt(0)
	v_add_nc_u32_e32 v11, v12, v11
	s_or_b32 exec_lo, exec_lo, s75
	s_and_saveexec_b32 s75, s7
	s_cbranch_execz .LBB232_46
.LBB232_78:                             ;   in Loop: Header=BB232_38 Depth=1
	v_mov_b32_e32 v12, s50
	ds_load_b32 v12, v12
	s_waitcnt lgkmcnt(0)
	v_add_nc_u32_e32 v11, v12, v11
	s_or_b32 exec_lo, exec_lo, s75
	s_and_saveexec_b32 s75, s8
	s_cbranch_execz .LBB232_47
.LBB232_79:                             ;   in Loop: Header=BB232_38 Depth=1
	v_mov_b32_e32 v12, s51
	ds_load_b32 v12, v12
	s_waitcnt lgkmcnt(0)
	v_add_nc_u32_e32 v11, v12, v11
	s_or_b32 exec_lo, exec_lo, s75
	s_and_saveexec_b32 s75, s9
	s_cbranch_execz .LBB232_48
.LBB232_80:                             ;   in Loop: Header=BB232_38 Depth=1
	v_mov_b32_e32 v12, s52
	ds_load_b32 v12, v12
	s_waitcnt lgkmcnt(0)
	v_add_nc_u32_e32 v11, v12, v11
	s_or_b32 exec_lo, exec_lo, s75
	s_and_saveexec_b32 s75, s10
	s_cbranch_execz .LBB232_49
.LBB232_81:                             ;   in Loop: Header=BB232_38 Depth=1
	v_mov_b32_e32 v12, s53
	ds_load_b32 v12, v12
	s_waitcnt lgkmcnt(0)
	v_add_nc_u32_e32 v11, v12, v11
	s_or_b32 exec_lo, exec_lo, s75
	s_and_saveexec_b32 s75, s11
	s_cbranch_execz .LBB232_50
.LBB232_82:                             ;   in Loop: Header=BB232_38 Depth=1
	v_mov_b32_e32 v12, s54
	ds_load_b32 v12, v12
	s_waitcnt lgkmcnt(0)
	v_add_nc_u32_e32 v11, v12, v11
	s_or_b32 exec_lo, exec_lo, s75
	s_and_saveexec_b32 s75, s12
	s_cbranch_execz .LBB232_51
.LBB232_83:                             ;   in Loop: Header=BB232_38 Depth=1
	v_mov_b32_e32 v12, s55
	ds_load_b32 v12, v12
	s_waitcnt lgkmcnt(0)
	v_add_nc_u32_e32 v11, v12, v11
	s_or_b32 exec_lo, exec_lo, s75
	s_and_saveexec_b32 s75, s13
	s_cbranch_execz .LBB232_52
.LBB232_84:                             ;   in Loop: Header=BB232_38 Depth=1
	v_mov_b32_e32 v12, s56
	ds_load_b32 v12, v12
	s_waitcnt lgkmcnt(0)
	v_add_nc_u32_e32 v11, v12, v11
	s_or_b32 exec_lo, exec_lo, s75
	s_and_saveexec_b32 s75, s14
	s_cbranch_execz .LBB232_53
.LBB232_85:                             ;   in Loop: Header=BB232_38 Depth=1
	v_mov_b32_e32 v12, s57
	ds_load_b32 v12, v12
	s_waitcnt lgkmcnt(0)
	v_add_nc_u32_e32 v11, v12, v11
	s_or_b32 exec_lo, exec_lo, s75
	s_and_saveexec_b32 s75, s15
	s_cbranch_execz .LBB232_54
.LBB232_86:                             ;   in Loop: Header=BB232_38 Depth=1
	v_mov_b32_e32 v12, s58
	ds_load_b32 v12, v12
	s_waitcnt lgkmcnt(0)
	v_add_nc_u32_e32 v11, v12, v11
	s_or_b32 exec_lo, exec_lo, s75
	s_and_saveexec_b32 s75, s16
	s_cbranch_execz .LBB232_55
.LBB232_87:                             ;   in Loop: Header=BB232_38 Depth=1
	v_mov_b32_e32 v12, s59
	ds_load_b32 v12, v12
	s_waitcnt lgkmcnt(0)
	v_add_nc_u32_e32 v11, v12, v11
	s_or_b32 exec_lo, exec_lo, s75
	s_and_saveexec_b32 s75, s17
	s_cbranch_execz .LBB232_56
.LBB232_88:                             ;   in Loop: Header=BB232_38 Depth=1
	v_mov_b32_e32 v12, s60
	ds_load_b32 v12, v12
	s_waitcnt lgkmcnt(0)
	v_add_nc_u32_e32 v11, v12, v11
	s_or_b32 exec_lo, exec_lo, s75
	s_and_saveexec_b32 s75, s18
	s_cbranch_execz .LBB232_57
.LBB232_89:                             ;   in Loop: Header=BB232_38 Depth=1
	v_mov_b32_e32 v12, s61
	ds_load_b32 v12, v12
	s_waitcnt lgkmcnt(0)
	v_add_nc_u32_e32 v11, v12, v11
	s_or_b32 exec_lo, exec_lo, s75
	s_and_saveexec_b32 s75, s19
	s_cbranch_execz .LBB232_58
.LBB232_90:                             ;   in Loop: Header=BB232_38 Depth=1
	v_mov_b32_e32 v12, s62
	ds_load_b32 v12, v12
	s_waitcnt lgkmcnt(0)
	v_add_nc_u32_e32 v11, v12, v11
	s_or_b32 exec_lo, exec_lo, s75
	s_and_saveexec_b32 s75, s20
	s_cbranch_execz .LBB232_59
.LBB232_91:                             ;   in Loop: Header=BB232_38 Depth=1
	v_mov_b32_e32 v12, s63
	ds_load_b32 v12, v12
	s_waitcnt lgkmcnt(0)
	v_add_nc_u32_e32 v11, v12, v11
	s_or_b32 exec_lo, exec_lo, s75
	s_and_saveexec_b32 s75, s21
	s_cbranch_execz .LBB232_60
.LBB232_92:                             ;   in Loop: Header=BB232_38 Depth=1
	v_mov_b32_e32 v12, s64
	ds_load_b32 v12, v12
	s_waitcnt lgkmcnt(0)
	v_add_nc_u32_e32 v11, v12, v11
	s_or_b32 exec_lo, exec_lo, s75
	s_and_saveexec_b32 s75, s22
	s_cbranch_execz .LBB232_61
.LBB232_93:                             ;   in Loop: Header=BB232_38 Depth=1
	v_mov_b32_e32 v12, s65
	ds_load_b32 v12, v12
	s_waitcnt lgkmcnt(0)
	v_add_nc_u32_e32 v11, v12, v11
	s_or_b32 exec_lo, exec_lo, s75
	s_and_saveexec_b32 s75, s23
	s_cbranch_execz .LBB232_62
.LBB232_94:                             ;   in Loop: Header=BB232_38 Depth=1
	v_mov_b32_e32 v12, s66
	ds_load_b32 v12, v12
	s_waitcnt lgkmcnt(0)
	v_add_nc_u32_e32 v11, v12, v11
	s_or_b32 exec_lo, exec_lo, s75
	s_and_saveexec_b32 s75, s24
	s_cbranch_execz .LBB232_63
.LBB232_95:                             ;   in Loop: Header=BB232_38 Depth=1
	v_mov_b32_e32 v12, s67
	ds_load_b32 v12, v12
	s_waitcnt lgkmcnt(0)
	v_add_nc_u32_e32 v11, v12, v11
	s_or_b32 exec_lo, exec_lo, s75
	s_and_saveexec_b32 s75, s25
	s_cbranch_execz .LBB232_64
.LBB232_96:                             ;   in Loop: Header=BB232_38 Depth=1
	v_mov_b32_e32 v12, s68
	ds_load_b32 v12, v12
	s_waitcnt lgkmcnt(0)
	v_add_nc_u32_e32 v11, v12, v11
	s_or_b32 exec_lo, exec_lo, s75
	s_and_saveexec_b32 s75, s26
	s_cbranch_execz .LBB232_65
.LBB232_97:                             ;   in Loop: Header=BB232_38 Depth=1
	v_mov_b32_e32 v12, s69
	ds_load_b32 v12, v12
	s_waitcnt lgkmcnt(0)
	v_add_nc_u32_e32 v11, v12, v11
	s_or_b32 exec_lo, exec_lo, s75
	s_and_saveexec_b32 s75, s27
	s_cbranch_execz .LBB232_66
.LBB232_98:                             ;   in Loop: Header=BB232_38 Depth=1
	v_mov_b32_e32 v12, s71
	ds_load_b32 v12, v12
	s_waitcnt lgkmcnt(0)
	v_add_nc_u32_e32 v11, v12, v11
	s_or_b32 exec_lo, exec_lo, s75
	s_and_saveexec_b32 s75, s28
	s_cbranch_execz .LBB232_67
.LBB232_99:                             ;   in Loop: Header=BB232_38 Depth=1
	v_mov_b32_e32 v12, s72
	ds_load_b32 v12, v12
	s_waitcnt lgkmcnt(0)
	v_add_nc_u32_e32 v11, v12, v11
	s_or_b32 exec_lo, exec_lo, s75
	s_and_saveexec_b32 s75, s29
	s_cbranch_execz .LBB232_68
.LBB232_100:                            ;   in Loop: Header=BB232_38 Depth=1
	v_mov_b32_e32 v12, s73
	ds_load_b32 v12, v12
	s_waitcnt lgkmcnt(0)
	v_add_nc_u32_e32 v11, v12, v11
	s_or_b32 exec_lo, exec_lo, s75
	s_and_saveexec_b32 s75, s30
	s_cbranch_execz .LBB232_69
.LBB232_101:                            ;   in Loop: Header=BB232_38 Depth=1
	v_mov_b32_e32 v12, s74
	ds_load_b32 v12, v12
	s_waitcnt lgkmcnt(0)
	v_add_nc_u32_e32 v11, v12, v11
	s_or_b32 exec_lo, exec_lo, s75
	s_and_saveexec_b32 s75, s31
	s_cbranch_execz .LBB232_70
.LBB232_102:                            ;   in Loop: Header=BB232_38 Depth=1
	s_delay_alu instid0(VALU_DEP_1) | instskip(NEXT) | instid1(VALU_DEP_1)
	v_add3_u32 v12, v6, -1, v11
	v_lshlrev_b32_e32 v13, 3, v12
	v_lshl_add_u32 v12, v12, 2, 0
	s_delay_alu instid0(VALU_DEP_2)
	v_add3_u32 v13, 0, v13, 0x10000
	ds_store_b32 v12, v10
	ds_store_2addr_b32 v13, v2, v3 offset1:1
	s_or_b32 exec_lo, exec_lo, s75
	s_and_saveexec_b32 s31, vcc_lo
	s_cbranch_execz .LBB232_37
.LBB232_103:                            ;   in Loop: Header=BB232_38 Depth=1
	v_mov_b32_e32 v2, s70
	ds_store_b32 v2, v11
	s_branch .LBB232_37
.LBB232_104:                            ;   in Loop: Header=BB232_105 Depth=1
	s_or_b32 exec_lo, exec_lo, s5
	v_add_co_u32 v1, vcc_lo, 0x400, v1
	v_add_co_ci_u32_e32 v2, vcc_lo, 0, v2, vcc_lo
	s_delay_alu instid0(VALU_DEP_1) | instskip(SKIP_1) | instid1(SALU_CYCLE_1)
	v_cmp_le_i64_e32 vcc_lo, s[0:1], v[1:2]
	s_or_b32 s4, vcc_lo, s4
	s_and_not1_b32 exec_lo, exec_lo, s4
	s_cbranch_execz .LBB232_35
.LBB232_105:                            ; =>This Loop Header: Depth=1
                                        ;     Child Loop BB232_107 Depth 2
	v_lshlrev_b64 v[3:4], 2, v[1:2]
	v_lshlrev_b64 v[5:6], 3, v[1:2]
	s_mov_b32 s5, 0
	s_delay_alu instid0(VALU_DEP_2) | instskip(NEXT) | instid1(VALU_DEP_3)
	v_add_co_u32 v3, vcc_lo, s36, v3
	v_add_co_ci_u32_e32 v4, vcc_lo, s37, v4, vcc_lo
	global_load_b32 v12, v[3:4], off
	v_add_co_u32 v3, vcc_lo, s38, v5
	v_add_co_ci_u32_e32 v4, vcc_lo, s39, v6, vcc_lo
	global_load_b64 v[10:11], v[3:4], off
	s_waitcnt vmcnt(1)
	v_subrev_nc_u32_e32 v3, s47, v12
	s_delay_alu instid0(VALU_DEP_1) | instskip(SKIP_2) | instid1(VALU_DEP_1)
	v_mul_lo_u32 v6, 0x89, v3
	s_waitcnt vmcnt(0)
	v_mul_f32_e64 v4, v11, -s12
	v_dual_mul_f32 v5, s2, v11 :: v_dual_fmac_f32 v4, s2, v10
	s_delay_alu instid0(VALU_DEP_1) | instskip(NEXT) | instid1(VALU_DEP_4)
	v_fmac_f32_e32 v5, s12, v10
	v_and_b32_e32 v6, 0x3fff, v6
	s_branch .LBB232_107
.LBB232_106:                            ;   in Loop: Header=BB232_107 Depth=2
	s_or_b32 exec_lo, exec_lo, s6
	s_xor_b32 s6, s7, -1
	s_delay_alu instid0(SALU_CYCLE_1) | instskip(NEXT) | instid1(SALU_CYCLE_1)
	s_and_b32 s6, exec_lo, s6
	s_or_b32 s5, s6, s5
	s_delay_alu instid0(SALU_CYCLE_1)
	s_and_not1_b32 exec_lo, exec_lo, s5
	s_cbranch_execz .LBB232_104
.LBB232_107:                            ;   Parent Loop BB232_105 Depth=1
                                        ; =>  This Inner Loop Header: Depth=2
	s_delay_alu instid0(VALU_DEP_1)
	v_lshl_add_u32 v10, v6, 2, 0
	s_mov_b32 s6, exec_lo
                                        ; implicit-def: $sgpr7
	ds_load_b32 v11, v10
	s_waitcnt lgkmcnt(0)
	v_cmpx_ne_u32_e64 v11, v3
	s_xor_b32 s6, exec_lo, s6
	s_cbranch_execz .LBB232_115
; %bb.108:                              ;   in Loop: Header=BB232_107 Depth=2
	s_mov_b32 s8, exec_lo
                                        ; implicit-def: $sgpr7
	v_cmpx_ne_u32_e64 s33, v11
	s_xor_b32 s8, exec_lo, s8
; %bb.109:                              ;   in Loop: Header=BB232_107 Depth=2
	v_add_nc_u32_e32 v6, 1, v6
	s_mov_b32 s7, -1
                                        ; implicit-def: $vgpr10
	s_delay_alu instid0(VALU_DEP_1)
	v_and_b32_e32 v6, 0x3fff, v6
; %bb.110:                              ;   in Loop: Header=BB232_107 Depth=2
	s_and_not1_saveexec_b32 s8, s8
	s_cbranch_execz .LBB232_114
; %bb.111:                              ;   in Loop: Header=BB232_107 Depth=2
	v_mov_b32_e32 v11, s33
	s_mov_b32 s10, -1
	s_mov_b32 s9, exec_lo
	ds_cmpstore_rtn_b32 v10, v10, v3, v11
	s_waitcnt lgkmcnt(0)
	v_cmpx_eq_u32_e64 s33, v10
	s_cbranch_execz .LBB232_113
; %bb.112:                              ;   in Loop: Header=BB232_107 Depth=2
	v_lshlrev_b32_e32 v10, 3, v6
	s_xor_b32 s10, exec_lo, -1
	s_delay_alu instid0(VALU_DEP_1)
	v_add3_u32 v10, 0, v10, 0x10000
	ds_add_f32 v10, v4
	ds_add_f32 v10, v5 offset:4
.LBB232_113:                            ;   in Loop: Header=BB232_107 Depth=2
	s_or_b32 exec_lo, exec_lo, s9
	s_delay_alu instid0(SALU_CYCLE_1) | instskip(SKIP_1) | instid1(SALU_CYCLE_1)
	s_and_not1_b32 s7, s7, exec_lo
	s_and_b32 s9, s10, exec_lo
	s_or_b32 s7, s7, s9
.LBB232_114:                            ;   in Loop: Header=BB232_107 Depth=2
	s_or_b32 exec_lo, exec_lo, s8
	s_delay_alu instid0(SALU_CYCLE_1)
	s_and_b32 s7, s7, exec_lo
.LBB232_115:                            ;   in Loop: Header=BB232_107 Depth=2
	s_and_not1_saveexec_b32 s6, s6
	s_cbranch_execz .LBB232_106
; %bb.116:                              ;   in Loop: Header=BB232_107 Depth=2
	v_lshlrev_b32_e32 v10, 3, v6
	s_and_not1_b32 s7, s7, exec_lo
	s_delay_alu instid0(VALU_DEP_1)
	v_add3_u32 v10, 0, v10, 0x10000
	ds_add_f32 v10, v4
	ds_add_f32 v10, v5 offset:4
	s_branch .LBB232_106
.LBB232_117:
	s_or_b32 exec_lo, exec_lo, s36
	s_ashr_i32 s49, s48, 31
	s_mov_b32 s4, exec_lo
	s_lshl_b64 s[0:1], s[48:49], 3
	s_delay_alu instid0(SALU_CYCLE_1) | instskip(SKIP_4) | instid1(SALU_CYCLE_1)
	s_add_u32 s0, s40, s0
	s_addc_u32 s1, s41, s1
	s_load_b128 s[0:3], s[0:1], 0x0
	s_waitcnt lgkmcnt(0)
	s_sub_i32 s3, s2, s0
	v_cmpx_gt_i32_e64 s3, v0
	s_cbranch_execz .LBB232_127
; %bb.118:
	s_sub_u32 s4, s0, s46
	s_subb_u32 s5, s1, 0
	s_sub_i32 s0, s0, s2
	s_and_b32 s1, s3, 7
	s_cmp_lt_u32 s0, -7
	s_mov_b32 s8, 0
	s_cselect_b32 s2, -1, 0
	s_and_b32 s6, s3, -8
	s_cmp_lg_u32 s1, 0
	s_cselect_b32 s7, -1, 0
	s_branch .LBB232_120
.LBB232_119:                            ;   in Loop: Header=BB232_120 Depth=1
	s_delay_alu instid0(VALU_DEP_1) | instskip(SKIP_4) | instid1(VALU_DEP_4)
	v_lshlrev_b64 v[6:7], 2, v[3:4]
	v_lshlrev_b64 v[3:4], 3, v[3:4]
	v_add_nc_u32_e32 v0, 0x400, v0
	s_waitcnt lgkmcnt(1)
	v_add_nc_u32_e32 v8, s46, v5
	v_add_co_u32 v5, vcc_lo, s42, v6
	v_add_co_ci_u32_e32 v6, vcc_lo, s43, v7, vcc_lo
	v_cmp_le_i32_e32 vcc_lo, s3, v0
	v_add_co_u32 v3, s0, s34, v3
	s_delay_alu instid0(VALU_DEP_1)
	v_add_co_ci_u32_e64 v4, s0, s35, v4, s0
	s_or_b32 s8, vcc_lo, s8
	global_store_b32 v[5:6], v8, off
	s_waitcnt lgkmcnt(0)
	global_store_b64 v[3:4], v[1:2], off
	s_and_not1_b32 exec_lo, exec_lo, s8
	s_cbranch_execz .LBB232_127
.LBB232_120:                            ; =>This Loop Header: Depth=1
                                        ;     Child Loop BB232_122 Depth 2
                                        ;     Child Loop BB232_126 Depth 2
	v_lshlrev_b32_e32 v1, 3, v0
	v_lshl_add_u32 v2, v0, 2, 0
	v_dual_mov_b32 v3, s4 :: v_dual_mov_b32 v4, s5
	s_and_not1_b32 vcc_lo, exec_lo, s2
	s_delay_alu instid0(VALU_DEP_3)
	v_add3_u32 v1, 0, v1, 0x10000
	s_mov_b32 s0, 0
	ds_load_b32 v5, v2
	ds_load_2addr_b32 v[1:2], v1 offset1:1
	s_cbranch_vccnz .LBB232_124
; %bb.121:                              ;   in Loop: Header=BB232_120 Depth=1
	v_dual_mov_b32 v3, s4 :: v_dual_mov_b32 v4, s5
	s_mov_b32 s9, 0
	s_mov_b32 s10, 0
.LBB232_122:                            ;   Parent Loop BB232_120 Depth=1
                                        ; =>  This Inner Loop Header: Depth=2
	s_delay_alu instid0(SALU_CYCLE_1)
	v_mov_b32_e32 v12, s10
	s_add_i32 s9, s9, 8
	s_add_i32 s10, s10, 32
	s_cmp_eq_u32 s6, s9
	ds_load_2addr_b32 v[6:7], v12 offset1:1
	ds_load_2addr_b32 v[8:9], v12 offset0:2 offset1:3
	ds_load_2addr_b32 v[10:11], v12 offset0:4 offset1:5
	;; [unrolled: 1-line block ×3, first 2 shown]
	s_waitcnt lgkmcnt(3)
	v_cmp_gt_i32_e32 vcc_lo, v5, v6
	v_cndmask_b32_e64 v6, 0, 1, vcc_lo
	v_cmp_gt_i32_e32 vcc_lo, v5, v7
	v_cndmask_b32_e64 v7, 0, 1, vcc_lo
	s_waitcnt lgkmcnt(2)
	v_cmp_gt_i32_e32 vcc_lo, v5, v8
	v_cndmask_b32_e64 v8, 0, 1, vcc_lo
	v_cmp_gt_i32_e32 vcc_lo, v5, v9
	v_cndmask_b32_e64 v9, 0, 1, vcc_lo
	s_waitcnt lgkmcnt(1)
	v_cmp_gt_i32_e32 vcc_lo, v5, v10
	v_cndmask_b32_e64 v10, 0, 1, vcc_lo
	v_add_co_u32 v3, vcc_lo, v3, v6
	v_add_co_ci_u32_e32 v4, vcc_lo, 0, v4, vcc_lo
	v_cmp_gt_i32_e32 vcc_lo, v5, v11
	s_delay_alu instid0(VALU_DEP_3) | instskip(NEXT) | instid1(VALU_DEP_1)
	v_add_co_u32 v3, s0, v3, v7
	v_add_co_ci_u32_e64 v4, s0, 0, v4, s0
	v_cndmask_b32_e64 v6, 0, 1, vcc_lo
	s_delay_alu instid0(VALU_DEP_3) | instskip(NEXT) | instid1(VALU_DEP_3)
	v_add_co_u32 v3, vcc_lo, v3, v8
	v_add_co_ci_u32_e32 v4, vcc_lo, 0, v4, vcc_lo
	s_waitcnt lgkmcnt(0)
	v_cmp_gt_i32_e32 vcc_lo, v5, v12
	s_delay_alu instid0(VALU_DEP_3) | instskip(NEXT) | instid1(VALU_DEP_1)
	v_add_co_u32 v3, s0, v3, v9
	v_add_co_ci_u32_e64 v4, s0, 0, v4, s0
	v_cndmask_b32_e64 v7, 0, 1, vcc_lo
	s_delay_alu instid0(VALU_DEP_3) | instskip(NEXT) | instid1(VALU_DEP_3)
	v_add_co_u32 v3, vcc_lo, v3, v10
	v_add_co_ci_u32_e32 v4, vcc_lo, 0, v4, vcc_lo
	v_cmp_gt_i32_e32 vcc_lo, v5, v13
	s_delay_alu instid0(VALU_DEP_3) | instskip(NEXT) | instid1(VALU_DEP_1)
	v_add_co_u32 v3, s0, v3, v6
	v_add_co_ci_u32_e64 v4, s0, 0, v4, s0
	v_cndmask_b32_e64 v6, 0, 1, vcc_lo
	s_delay_alu instid0(VALU_DEP_3) | instskip(NEXT) | instid1(VALU_DEP_3)
	v_add_co_u32 v3, vcc_lo, v3, v7
	v_add_co_ci_u32_e32 v4, vcc_lo, 0, v4, vcc_lo
	s_delay_alu instid0(VALU_DEP_2) | instskip(NEXT) | instid1(VALU_DEP_2)
	v_add_co_u32 v3, vcc_lo, v3, v6
	v_add_co_ci_u32_e32 v4, vcc_lo, 0, v4, vcc_lo
	s_cbranch_scc0 .LBB232_122
; %bb.123:                              ;   in Loop: Header=BB232_120 Depth=1
	s_mov_b32 s0, s6
.LBB232_124:                            ;   in Loop: Header=BB232_120 Depth=1
	s_and_not1_b32 vcc_lo, exec_lo, s7
	s_cbranch_vccnz .LBB232_119
; %bb.125:                              ;   in Loop: Header=BB232_120 Depth=1
	s_lshl_b32 s0, s0, 2
	s_mov_b32 s9, s1
	s_add_i32 s0, s0, 0
.LBB232_126:                            ;   Parent Loop BB232_120 Depth=1
                                        ; =>  This Inner Loop Header: Depth=2
	s_delay_alu instid0(SALU_CYCLE_1)
	v_mov_b32_e32 v6, s0
	s_add_i32 s9, s9, -1
	s_add_i32 s0, s0, 4
	s_cmp_lg_u32 s9, 0
	ds_load_b32 v6, v6
	s_waitcnt lgkmcnt(0)
	v_cmp_gt_i32_e32 vcc_lo, v5, v6
	v_cndmask_b32_e64 v6, 0, 1, vcc_lo
	s_delay_alu instid0(VALU_DEP_1)
	v_add_co_u32 v3, vcc_lo, v3, v6
	v_add_co_ci_u32_e32 v4, vcc_lo, 0, v4, vcc_lo
	s_cbranch_scc1 .LBB232_126
	s_branch .LBB232_119
.LBB232_127:
	s_nop 0
	s_sendmsg sendmsg(MSG_DEALLOC_VGPRS)
	s_endpgm
	.section	.rodata,"a",@progbits
	.p2align	6, 0x0
	.amdhsa_kernel _ZN9rocsparseL26csrgemm_fill_block_per_rowILj1024ELj64ELj16384ELj137ELj32Eli21rocsparse_complex_numIfEEEvT5_PKS3_S5_NS_24const_host_device_scalarIT6_EEPKT4_S5_PKS7_SB_S5_SD_S8_SB_S5_SD_SB_PS3_PS7_21rocsparse_index_base_SG_SG_SG_bbb
		.amdhsa_group_segment_fixed_size 0
		.amdhsa_private_segment_fixed_size 0
		.amdhsa_kernarg_size 156
		.amdhsa_user_sgpr_count 15
		.amdhsa_user_sgpr_dispatch_ptr 0
		.amdhsa_user_sgpr_queue_ptr 0
		.amdhsa_user_sgpr_kernarg_segment_ptr 1
		.amdhsa_user_sgpr_dispatch_id 0
		.amdhsa_user_sgpr_private_segment_size 0
		.amdhsa_wavefront_size32 1
		.amdhsa_uses_dynamic_stack 0
		.amdhsa_enable_private_segment 0
		.amdhsa_system_sgpr_workgroup_id_x 1
		.amdhsa_system_sgpr_workgroup_id_y 0
		.amdhsa_system_sgpr_workgroup_id_z 0
		.amdhsa_system_sgpr_workgroup_info 0
		.amdhsa_system_vgpr_workitem_id 0
		.amdhsa_next_free_vgpr 20
		.amdhsa_next_free_sgpr 76
		.amdhsa_reserve_vcc 1
		.amdhsa_float_round_mode_32 0
		.amdhsa_float_round_mode_16_64 0
		.amdhsa_float_denorm_mode_32 3
		.amdhsa_float_denorm_mode_16_64 3
		.amdhsa_dx10_clamp 1
		.amdhsa_ieee_mode 1
		.amdhsa_fp16_overflow 0
		.amdhsa_workgroup_processor_mode 1
		.amdhsa_memory_ordered 1
		.amdhsa_forward_progress 0
		.amdhsa_shared_vgpr_count 0
		.amdhsa_exception_fp_ieee_invalid_op 0
		.amdhsa_exception_fp_denorm_src 0
		.amdhsa_exception_fp_ieee_div_zero 0
		.amdhsa_exception_fp_ieee_overflow 0
		.amdhsa_exception_fp_ieee_underflow 0
		.amdhsa_exception_fp_ieee_inexact 0
		.amdhsa_exception_int_div_zero 0
	.end_amdhsa_kernel
	.section	.text._ZN9rocsparseL26csrgemm_fill_block_per_rowILj1024ELj64ELj16384ELj137ELj32Eli21rocsparse_complex_numIfEEEvT5_PKS3_S5_NS_24const_host_device_scalarIT6_EEPKT4_S5_PKS7_SB_S5_SD_S8_SB_S5_SD_SB_PS3_PS7_21rocsparse_index_base_SG_SG_SG_bbb,"axG",@progbits,_ZN9rocsparseL26csrgemm_fill_block_per_rowILj1024ELj64ELj16384ELj137ELj32Eli21rocsparse_complex_numIfEEEvT5_PKS3_S5_NS_24const_host_device_scalarIT6_EEPKT4_S5_PKS7_SB_S5_SD_S8_SB_S5_SD_SB_PS3_PS7_21rocsparse_index_base_SG_SG_SG_bbb,comdat
.Lfunc_end232:
	.size	_ZN9rocsparseL26csrgemm_fill_block_per_rowILj1024ELj64ELj16384ELj137ELj32Eli21rocsparse_complex_numIfEEEvT5_PKS3_S5_NS_24const_host_device_scalarIT6_EEPKT4_S5_PKS7_SB_S5_SD_S8_SB_S5_SD_SB_PS3_PS7_21rocsparse_index_base_SG_SG_SG_bbb, .Lfunc_end232-_ZN9rocsparseL26csrgemm_fill_block_per_rowILj1024ELj64ELj16384ELj137ELj32Eli21rocsparse_complex_numIfEEEvT5_PKS3_S5_NS_24const_host_device_scalarIT6_EEPKT4_S5_PKS7_SB_S5_SD_S8_SB_S5_SD_SB_PS3_PS7_21rocsparse_index_base_SG_SG_SG_bbb
                                        ; -- End function
	.section	.AMDGPU.csdata,"",@progbits
; Kernel info:
; codeLenInByte = 4896
; NumSgprs: 78
; NumVgprs: 20
; ScratchSize: 0
; MemoryBound: 0
; FloatMode: 240
; IeeeMode: 1
; LDSByteSize: 0 bytes/workgroup (compile time only)
; SGPRBlocks: 9
; VGPRBlocks: 2
; NumSGPRsForWavesPerEU: 78
; NumVGPRsForWavesPerEU: 20
; Occupancy: 16
; WaveLimiterHint : 1
; COMPUTE_PGM_RSRC2:SCRATCH_EN: 0
; COMPUTE_PGM_RSRC2:USER_SGPR: 15
; COMPUTE_PGM_RSRC2:TRAP_HANDLER: 0
; COMPUTE_PGM_RSRC2:TGID_X_EN: 1
; COMPUTE_PGM_RSRC2:TGID_Y_EN: 0
; COMPUTE_PGM_RSRC2:TGID_Z_EN: 0
; COMPUTE_PGM_RSRC2:TIDIG_COMP_CNT: 0
	.section	.text._ZN9rocsparseL26csrgemm_fill_block_per_rowILj1024ELj64ELj16384ELj137ELj64Eli21rocsparse_complex_numIfEEEvT5_PKS3_S5_NS_24const_host_device_scalarIT6_EEPKT4_S5_PKS7_SB_S5_SD_S8_SB_S5_SD_SB_PS3_PS7_21rocsparse_index_base_SG_SG_SG_bbb,"axG",@progbits,_ZN9rocsparseL26csrgemm_fill_block_per_rowILj1024ELj64ELj16384ELj137ELj64Eli21rocsparse_complex_numIfEEEvT5_PKS3_S5_NS_24const_host_device_scalarIT6_EEPKT4_S5_PKS7_SB_S5_SD_S8_SB_S5_SD_SB_PS3_PS7_21rocsparse_index_base_SG_SG_SG_bbb,comdat
	.globl	_ZN9rocsparseL26csrgemm_fill_block_per_rowILj1024ELj64ELj16384ELj137ELj64Eli21rocsparse_complex_numIfEEEvT5_PKS3_S5_NS_24const_host_device_scalarIT6_EEPKT4_S5_PKS7_SB_S5_SD_S8_SB_S5_SD_SB_PS3_PS7_21rocsparse_index_base_SG_SG_SG_bbb ; -- Begin function _ZN9rocsparseL26csrgemm_fill_block_per_rowILj1024ELj64ELj16384ELj137ELj64Eli21rocsparse_complex_numIfEEEvT5_PKS3_S5_NS_24const_host_device_scalarIT6_EEPKT4_S5_PKS7_SB_S5_SD_S8_SB_S5_SD_SB_PS3_PS7_21rocsparse_index_base_SG_SG_SG_bbb
	.p2align	8
	.type	_ZN9rocsparseL26csrgemm_fill_block_per_rowILj1024ELj64ELj16384ELj137ELj64Eli21rocsparse_complex_numIfEEEvT5_PKS3_S5_NS_24const_host_device_scalarIT6_EEPKT4_S5_PKS7_SB_S5_SD_S8_SB_S5_SD_SB_PS3_PS7_21rocsparse_index_base_SG_SG_SG_bbb,@function
_ZN9rocsparseL26csrgemm_fill_block_per_rowILj1024ELj64ELj16384ELj137ELj64Eli21rocsparse_complex_numIfEEEvT5_PKS3_S5_NS_24const_host_device_scalarIT6_EEPKT4_S5_PKS7_SB_S5_SD_S8_SB_S5_SD_SB_PS3_PS7_21rocsparse_index_base_SG_SG_SG_bbb: ; @_ZN9rocsparseL26csrgemm_fill_block_per_rowILj1024ELj64ELj16384ELj137ELj64Eli21rocsparse_complex_numIfEEEvT5_PKS3_S5_NS_24const_host_device_scalarIT6_EEPKT4_S5_PKS7_SB_S5_SD_S8_SB_S5_SD_SB_PS3_PS7_21rocsparse_index_base_SG_SG_SG_bbb
; %bb.0:
	s_clause 0x6
	s_load_b32 s12, s[0:1], 0x98
	s_load_b256 s[16:23], s[0:1], 0x60
	s_load_b256 s[4:11], s[0:1], 0x40
	s_load_b128 s[40:43], s[0:1], 0x8
	s_load_b256 s[24:31], s[0:1], 0x20
	s_load_b64 s[34:35], s[0:1], 0x80
	s_load_b128 s[36:39], s[0:1], 0x88
	s_mov_b32 s3, 0
	s_mov_b32 s13, 0
	s_waitcnt lgkmcnt(0)
	s_bitcmp1_b32 s12, 0
	s_cselect_b32 s44, -1, 0
	s_bitcmp1_b32 s12, 16
	s_cselect_b32 s2, -1, 0
	s_delay_alu instid0(SALU_CYCLE_1) | instskip(SKIP_2) | instid1(VALU_DEP_1)
	s_xor_b32 s14, s2, -1
	s_bitcmp0_b32 s12, 0
	v_cndmask_b32_e64 v1, 0, 1, s14
	v_cmp_ne_u32_e32 vcc_lo, 1, v1
	s_cbranch_scc1 .LBB233_5
; %bb.1:
	s_load_b64 s[2:3], s[0:1], 0x18
	s_and_b32 vcc_lo, exec_lo, vcc_lo
	s_waitcnt lgkmcnt(0)
	s_mov_b32 s13, s2
	s_cbranch_vccnz .LBB233_3
; %bb.2:
	s_load_b32 s13, s[2:3], 0x0
.LBB233_3:
	s_and_not1_b32 vcc_lo, exec_lo, s14
	s_cbranch_vccnz .LBB233_5
; %bb.4:
	s_load_b32 s3, s[2:3], 0x4
.LBB233_5:
	s_bitcmp1_b32 s12, 8
	s_cselect_b32 s14, -1, 0
	s_bfe_u32 s2, s12, 0x10008
	s_mov_b32 s12, 0
	s_cmp_eq_u32 s2, 0
	s_mov_b32 s2, 0
	s_cbranch_scc1 .LBB233_11
; %bb.6:
	v_cmp_ne_u32_e32 vcc_lo, 1, v1
	s_mov_b32 s2, s8
	s_cbranch_vccnz .LBB233_8
; %bb.7:
	s_load_b32 s2, s[8:9], 0x0
.LBB233_8:
	v_cmp_ne_u32_e32 vcc_lo, 1, v1
	s_cbranch_vccnz .LBB233_10
; %bb.9:
	s_load_b32 s9, s[8:9], 0x4
.LBB233_10:
	s_waitcnt lgkmcnt(0)
	s_mov_b32 s12, s9
.LBB233_11:
	s_load_b32 s33, s[0:1], 0x0
	v_lshlrev_b32_e32 v9, 3, v0
	v_lshl_add_u32 v7, v0, 2, 0
	v_or_b32_e32 v8, 0xfffffc00, v0
	v_mov_b32_e32 v1, 0
	s_mov_b32 s0, 0
	s_delay_alu instid0(VALU_DEP_3)
	v_mov_b32_e32 v3, v7
	s_waitcnt lgkmcnt(0)
	v_dual_mov_b32 v5, v8 :: v_dual_mov_b32 v4, s33
	v_add3_u32 v2, v9, 0, 0x10004
.LBB233_12:                             ; =>This Inner Loop Header: Depth=1
	s_delay_alu instid0(VALU_DEP_2)
	v_add_nc_u32_e32 v5, 0x400, v5
	ds_store_b32 v3, v4
	v_add_nc_u32_e32 v6, -4, v2
	v_add_nc_u32_e32 v2, 0x2000, v2
	v_add_nc_u32_e32 v3, 0x1000, v3
	v_cmp_lt_u32_e32 vcc_lo, 0x3bff, v5
	ds_store_2addr_b32 v6, v1, v1 offset1:1
	s_or_b32 s0, vcc_lo, s0
	s_delay_alu instid0(SALU_CYCLE_1)
	s_and_not1_b32 exec_lo, exec_lo, s0
	s_cbranch_execnz .LBB233_12
; %bb.13:
	s_or_b32 exec_lo, exec_lo, s0
	s_waitcnt lgkmcnt(0)
	s_barrier
	buffer_gl0_inv
	s_load_b32 s0, s[40:41], 0x0
	s_mov_b32 s1, 0
	v_lshrrev_b32_e32 v10, 6, v0
	s_waitcnt lgkmcnt(0)
	s_add_i32 s0, s0, s15
	s_delay_alu instid0(SALU_CYCLE_1) | instskip(NEXT) | instid1(SALU_CYCLE_1)
	s_lshl_b64 s[0:1], s[0:1], 2
	s_add_u32 s0, s42, s0
	s_addc_u32 s1, s43, s1
	s_and_b32 vcc_lo, exec_lo, s44
	s_load_b32 s40, s[0:1], 0x0
	s_cbranch_vccz .LBB233_33
; %bb.14:
	s_waitcnt lgkmcnt(0)
	s_ashr_i32 s41, s40, 31
	s_mov_b32 s8, exec_lo
	s_lshl_b64 s[0:1], s[40:41], 3
	s_delay_alu instid0(SALU_CYCLE_1) | instskip(SKIP_3) | instid1(VALU_DEP_1)
	s_add_u32 s0, s24, s0
	s_addc_u32 s1, s25, s1
	s_load_b128 s[44:47], s[0:1], 0x0
	v_sub_co_u32 v1, s0, v10, s36
	v_sub_co_ci_u32_e64 v2, null, 0, 0, s0
	s_waitcnt lgkmcnt(0)
	s_delay_alu instid0(VALU_DEP_2) | instskip(NEXT) | instid1(VALU_DEP_2)
	v_add_co_u32 v1, vcc_lo, s44, v1
	v_add_co_ci_u32_e32 v2, vcc_lo, s45, v2, vcc_lo
	s_sub_u32 s0, s46, s36
	s_subb_u32 s1, s47, 0
	s_delay_alu instid0(VALU_DEP_1) | instid1(SALU_CYCLE_1)
	v_cmpx_gt_i64_e64 s[0:1], v[1:2]
	s_cbranch_execz .LBB233_32
; %bb.15:
	v_and_b32_e32 v3, 63, v0
	s_mov_b32 s15, s37
	s_delay_alu instid0(VALU_DEP_1) | instskip(NEXT) | instid1(VALU_DEP_1)
	v_sub_co_u32 v11, s9, v3, s37
	v_sub_co_ci_u32_e64 v12, null, 0, 0, s9
	s_mov_b32 s9, 0
	s_branch .LBB233_17
.LBB233_16:                             ;   in Loop: Header=BB233_17 Depth=1
	s_or_b32 exec_lo, exec_lo, s24
	v_add_co_u32 v1, vcc_lo, v1, 16
	v_add_co_ci_u32_e32 v2, vcc_lo, 0, v2, vcc_lo
	s_delay_alu instid0(VALU_DEP_1) | instskip(SKIP_1) | instid1(SALU_CYCLE_1)
	v_cmp_le_i64_e32 vcc_lo, s[0:1], v[1:2]
	s_or_b32 s9, vcc_lo, s9
	s_and_not1_b32 exec_lo, exec_lo, s9
	s_cbranch_execz .LBB233_32
.LBB233_17:                             ; =>This Loop Header: Depth=1
                                        ;     Child Loop BB233_20 Depth 2
                                        ;       Child Loop BB233_22 Depth 3
	v_lshlrev_b64 v[3:4], 2, v[1:2]
	s_mov_b32 s24, exec_lo
	s_delay_alu instid0(VALU_DEP_1) | instskip(NEXT) | instid1(VALU_DEP_2)
	v_add_co_u32 v3, vcc_lo, s26, v3
	v_add_co_ci_u32_e32 v4, vcc_lo, s27, v4, vcc_lo
	global_load_b32 v3, v[3:4], off
	s_waitcnt vmcnt(0)
	v_subrev_nc_u32_e32 v3, s36, v3
	s_delay_alu instid0(VALU_DEP_1) | instskip(NEXT) | instid1(VALU_DEP_1)
	v_ashrrev_i32_e32 v4, 31, v3
	v_lshlrev_b64 v[3:4], 3, v[3:4]
	s_delay_alu instid0(VALU_DEP_1) | instskip(NEXT) | instid1(VALU_DEP_2)
	v_add_co_u32 v3, vcc_lo, s30, v3
	v_add_co_ci_u32_e32 v4, vcc_lo, s31, v4, vcc_lo
	global_load_b128 v[13:16], v[3:4], off
	s_waitcnt vmcnt(0)
	v_sub_co_u32 v3, vcc_lo, v15, s15
	v_subrev_co_ci_u32_e32 v4, vcc_lo, 0, v16, vcc_lo
	v_add_co_u32 v5, vcc_lo, v13, v11
	v_add_co_ci_u32_e32 v6, vcc_lo, v14, v12, vcc_lo
	s_delay_alu instid0(VALU_DEP_1)
	v_cmpx_lt_i64_e64 v[5:6], v[3:4]
	s_cbranch_execz .LBB233_16
; %bb.18:                               ;   in Loop: Header=BB233_17 Depth=1
	v_lshlrev_b64 v[13:14], 3, v[1:2]
	s_mov_b32 s25, 0
	s_delay_alu instid0(VALU_DEP_1) | instskip(NEXT) | instid1(VALU_DEP_2)
	v_add_co_u32 v13, vcc_lo, s28, v13
	v_add_co_ci_u32_e32 v14, vcc_lo, s29, v14, vcc_lo
	global_load_b64 v[15:16], v[13:14], off
	s_waitcnt vmcnt(0)
	v_mul_f32_e64 v13, v16, -s3
	s_delay_alu instid0(VALU_DEP_1) | instskip(NEXT) | instid1(VALU_DEP_1)
	v_dual_mul_f32 v14, s13, v16 :: v_dual_fmac_f32 v13, s13, v15
	v_fmac_f32_e32 v14, s3, v15
	s_branch .LBB233_20
.LBB233_19:                             ;   in Loop: Header=BB233_20 Depth=2
	s_or_b32 exec_lo, exec_lo, s41
	v_add_co_u32 v5, vcc_lo, v5, 64
	v_add_co_ci_u32_e32 v6, vcc_lo, 0, v6, vcc_lo
	s_delay_alu instid0(VALU_DEP_1) | instskip(SKIP_1) | instid1(SALU_CYCLE_1)
	v_cmp_ge_i64_e32 vcc_lo, v[5:6], v[3:4]
	s_or_b32 s25, vcc_lo, s25
	s_and_not1_b32 exec_lo, exec_lo, s25
	s_cbranch_execz .LBB233_16
.LBB233_20:                             ;   Parent Loop BB233_17 Depth=1
                                        ; =>  This Loop Header: Depth=2
                                        ;       Child Loop BB233_22 Depth 3
	v_lshlrev_b64 v[15:16], 2, v[5:6]
	v_lshlrev_b64 v[17:18], 3, v[5:6]
	s_mov_b32 s41, 0
	s_delay_alu instid0(VALU_DEP_2) | instskip(NEXT) | instid1(VALU_DEP_3)
	v_add_co_u32 v15, vcc_lo, s4, v15
	v_add_co_ci_u32_e32 v16, vcc_lo, s5, v16, vcc_lo
	global_load_b32 v20, v[15:16], off
	v_add_co_u32 v15, vcc_lo, s6, v17
	v_add_co_ci_u32_e32 v16, vcc_lo, s7, v18, vcc_lo
	global_load_b64 v[18:19], v[15:16], off
	s_waitcnt vmcnt(1)
	v_subrev_nc_u32_e32 v15, s37, v20
	s_delay_alu instid0(VALU_DEP_1) | instskip(SKIP_3) | instid1(VALU_DEP_2)
	v_mul_lo_u32 v20, 0x89, v15
	s_waitcnt vmcnt(0)
	v_mul_f32_e64 v16, v19, -v14
	v_mul_f32_e32 v17, v13, v19
	v_fmac_f32_e32 v16, v13, v18
	s_delay_alu instid0(VALU_DEP_2)
	v_dual_fmac_f32 v17, v14, v18 :: v_dual_and_b32 v18, 0x3fff, v20
	s_branch .LBB233_22
.LBB233_21:                             ;   in Loop: Header=BB233_22 Depth=3
	s_or_b32 exec_lo, exec_lo, s42
	s_xor_b32 s42, s43, -1
	s_delay_alu instid0(SALU_CYCLE_1) | instskip(NEXT) | instid1(SALU_CYCLE_1)
	s_and_b32 s42, exec_lo, s42
	s_or_b32 s41, s42, s41
	s_delay_alu instid0(SALU_CYCLE_1)
	s_and_not1_b32 exec_lo, exec_lo, s41
	s_cbranch_execz .LBB233_19
.LBB233_22:                             ;   Parent Loop BB233_17 Depth=1
                                        ;     Parent Loop BB233_20 Depth=2
                                        ; =>    This Inner Loop Header: Depth=3
	s_delay_alu instid0(VALU_DEP_1)
	v_lshl_add_u32 v19, v18, 2, 0
	s_mov_b32 s42, exec_lo
                                        ; implicit-def: $sgpr43
	ds_load_b32 v20, v19
	s_waitcnt lgkmcnt(0)
	v_cmpx_ne_u32_e64 v20, v15
	s_xor_b32 s42, exec_lo, s42
	s_cbranch_execz .LBB233_30
; %bb.23:                               ;   in Loop: Header=BB233_22 Depth=3
	s_mov_b32 s44, exec_lo
                                        ; implicit-def: $sgpr43
	v_cmpx_ne_u32_e64 s33, v20
	s_xor_b32 s44, exec_lo, s44
; %bb.24:                               ;   in Loop: Header=BB233_22 Depth=3
	v_add_nc_u32_e32 v18, 1, v18
	s_mov_b32 s43, -1
                                        ; implicit-def: $vgpr19
	s_delay_alu instid0(VALU_DEP_1)
	v_and_b32_e32 v18, 0x3fff, v18
; %bb.25:                               ;   in Loop: Header=BB233_22 Depth=3
	s_and_not1_saveexec_b32 s44, s44
	s_cbranch_execz .LBB233_29
; %bb.26:                               ;   in Loop: Header=BB233_22 Depth=3
	v_mov_b32_e32 v20, s33
	s_mov_b32 s46, -1
	s_mov_b32 s45, exec_lo
	ds_cmpstore_rtn_b32 v19, v19, v15, v20
	s_waitcnt lgkmcnt(0)
	v_cmpx_eq_u32_e64 s33, v19
	s_cbranch_execz .LBB233_28
; %bb.27:                               ;   in Loop: Header=BB233_22 Depth=3
	v_lshlrev_b32_e32 v19, 3, v18
	s_xor_b32 s46, exec_lo, -1
	s_delay_alu instid0(VALU_DEP_1)
	v_add3_u32 v19, 0, v19, 0x10000
	ds_add_f32 v19, v16
	ds_add_f32 v19, v17 offset:4
.LBB233_28:                             ;   in Loop: Header=BB233_22 Depth=3
	s_or_b32 exec_lo, exec_lo, s45
	s_delay_alu instid0(SALU_CYCLE_1) | instskip(SKIP_1) | instid1(SALU_CYCLE_1)
	s_and_not1_b32 s43, s43, exec_lo
	s_and_b32 s45, s46, exec_lo
	s_or_b32 s43, s43, s45
.LBB233_29:                             ;   in Loop: Header=BB233_22 Depth=3
	s_or_b32 exec_lo, exec_lo, s44
	s_delay_alu instid0(SALU_CYCLE_1)
	s_and_b32 s43, s43, exec_lo
.LBB233_30:                             ;   in Loop: Header=BB233_22 Depth=3
	s_and_not1_saveexec_b32 s42, s42
	s_cbranch_execz .LBB233_21
; %bb.31:                               ;   in Loop: Header=BB233_22 Depth=3
	v_lshlrev_b32_e32 v19, 3, v18
	s_and_not1_b32 s43, s43, exec_lo
	s_delay_alu instid0(VALU_DEP_1)
	v_add3_u32 v19, 0, v19, 0x10000
	ds_add_f32 v19, v16
	ds_add_f32 v19, v17 offset:4
	s_branch .LBB233_21
.LBB233_32:
	s_or_b32 exec_lo, exec_lo, s8
.LBB233_33:
	s_delay_alu instid0(SALU_CYCLE_1)
	s_and_not1_b32 vcc_lo, exec_lo, s14
	s_cbranch_vccnz .LBB233_36
; %bb.34:
	s_waitcnt lgkmcnt(0)
	s_ashr_i32 s41, s40, 31
	s_mov_b32 s3, exec_lo
	s_lshl_b64 s[0:1], s[40:41], 3
	s_delay_alu instid0(SALU_CYCLE_1) | instskip(SKIP_3) | instid1(VALU_DEP_1)
	s_add_u32 s0, s10, s0
	s_addc_u32 s1, s11, s1
	s_load_b128 s[4:7], s[0:1], 0x0
	v_sub_co_u32 v1, s0, v0, s39
	v_sub_co_ci_u32_e64 v2, null, 0, 0, s0
	s_waitcnt lgkmcnt(0)
	s_delay_alu instid0(VALU_DEP_2) | instskip(NEXT) | instid1(VALU_DEP_2)
	v_add_co_u32 v1, vcc_lo, s4, v1
	v_add_co_ci_u32_e32 v2, vcc_lo, s5, v2, vcc_lo
	s_sub_u32 s0, s6, s39
	s_subb_u32 s1, s7, 0
	s_mov_b32 s4, 0
	s_delay_alu instid0(VALU_DEP_1)
	v_cmpx_gt_i64_e64 s[0:1], v[1:2]
	s_cbranch_execnz .LBB233_73
.LBB233_35:
	s_or_b32 exec_lo, exec_lo, s3
.LBB233_36:
	v_mbcnt_lo_u32_b32 v1, -1, 0
	s_add_i32 s36, 0, 0x3003c
	v_lshlrev_b32_e32 v2, 2, v10
	v_add3_u32 v5, v9, 0, 0x10000
	v_mov_b32_e32 v9, s36
	v_xor_b32_e32 v1, 63, v1
	v_cmp_eq_u32_e32 vcc_lo, 0x3ff, v0
	v_add3_u32 v4, 0, 0x30000, v2
	v_cmp_lt_u32_e64 s0, 63, v0
	v_cmp_lt_u32_e64 s1, 0x7f, v0
	v_lshrrev_b64 v[1:2], v1, -1
	v_cmp_lt_u32_e64 s2, 0xbf, v0
	v_cmp_lt_u32_e64 s3, 0xff, v0
	;; [unrolled: 1-line block ×13, first 2 shown]
	v_mov_b32_e32 v6, 0
	s_mov_b32 s16, 0
	s_add_i32 s17, 0, 0x30000
	s_add_i32 s18, 0, 0x30004
	;; [unrolled: 1-line block ×15, first 2 shown]
	s_waitcnt lgkmcnt(0)
	s_barrier
	buffer_gl0_inv
	s_branch .LBB233_38
.LBB233_37:                             ;   in Loop: Header=BB233_38 Depth=1
	s_or_b32 exec_lo, exec_lo, s15
	s_waitcnt lgkmcnt(0)
	s_barrier
	buffer_gl0_inv
	ds_load_b32 v2, v9
	v_add_nc_u32_e32 v8, 0x400, v8
	v_add_nc_u32_e32 v5, 0x2000, v5
	;; [unrolled: 1-line block ×3, first 2 shown]
	s_delay_alu instid0(VALU_DEP_3) | instskip(NEXT) | instid1(VALU_DEP_1)
	v_cmp_lt_u32_e64 s15, 0x3bff, v8
	s_or_b32 s16, s15, s16
	s_waitcnt lgkmcnt(0)
	v_add_nc_u32_e32 v6, v2, v6
	s_and_not1_b32 exec_lo, exec_lo, s16
	s_cbranch_execz .LBB233_85
.LBB233_38:                             ; =>This Inner Loop Header: Depth=1
	ds_load_b32 v10, v7
	ds_load_2addr_b32 v[2:3], v5 offset1:1
	s_waitcnt lgkmcnt(0)
	s_barrier
	buffer_gl0_inv
	v_cmp_gt_i32_e64 s15, s33, v10
	s_delay_alu instid0(VALU_DEP_1) | instskip(NEXT) | instid1(SALU_CYCLE_1)
	s_bcnt1_i32_b32 s43, s15
	v_dual_mov_b32 v12, s43 :: v_dual_and_b32 v11, s15, v1
	s_delay_alu instid0(VALU_DEP_1)
	v_bcnt_u32_b32 v11, v11, 0
	ds_store_b32 v4, v12
	s_waitcnt lgkmcnt(0)
	s_barrier
	buffer_gl0_inv
	s_and_saveexec_b32 s43, s0
	s_cbranch_execnz .LBB233_55
; %bb.39:                               ;   in Loop: Header=BB233_38 Depth=1
	s_or_b32 exec_lo, exec_lo, s43
	s_and_saveexec_b32 s43, s1
	s_cbranch_execnz .LBB233_56
.LBB233_40:                             ;   in Loop: Header=BB233_38 Depth=1
	s_or_b32 exec_lo, exec_lo, s43
	s_and_saveexec_b32 s43, s2
	s_cbranch_execnz .LBB233_57
.LBB233_41:                             ;   in Loop: Header=BB233_38 Depth=1
	s_or_b32 exec_lo, exec_lo, s43
	s_and_saveexec_b32 s43, s3
	s_cbranch_execnz .LBB233_58
.LBB233_42:                             ;   in Loop: Header=BB233_38 Depth=1
	s_or_b32 exec_lo, exec_lo, s43
	s_and_saveexec_b32 s43, s4
	s_cbranch_execnz .LBB233_59
.LBB233_43:                             ;   in Loop: Header=BB233_38 Depth=1
	s_or_b32 exec_lo, exec_lo, s43
	s_and_saveexec_b32 s43, s5
	s_cbranch_execnz .LBB233_60
.LBB233_44:                             ;   in Loop: Header=BB233_38 Depth=1
	s_or_b32 exec_lo, exec_lo, s43
	s_and_saveexec_b32 s43, s6
	s_cbranch_execnz .LBB233_61
.LBB233_45:                             ;   in Loop: Header=BB233_38 Depth=1
	s_or_b32 exec_lo, exec_lo, s43
	s_and_saveexec_b32 s43, s7
	s_cbranch_execnz .LBB233_62
.LBB233_46:                             ;   in Loop: Header=BB233_38 Depth=1
	s_or_b32 exec_lo, exec_lo, s43
	s_and_saveexec_b32 s43, s8
	s_cbranch_execnz .LBB233_63
.LBB233_47:                             ;   in Loop: Header=BB233_38 Depth=1
	s_or_b32 exec_lo, exec_lo, s43
	s_and_saveexec_b32 s43, s9
	s_cbranch_execnz .LBB233_64
.LBB233_48:                             ;   in Loop: Header=BB233_38 Depth=1
	s_or_b32 exec_lo, exec_lo, s43
	s_and_saveexec_b32 s43, s10
	s_cbranch_execnz .LBB233_65
.LBB233_49:                             ;   in Loop: Header=BB233_38 Depth=1
	s_or_b32 exec_lo, exec_lo, s43
	s_and_saveexec_b32 s43, s11
	s_cbranch_execnz .LBB233_66
.LBB233_50:                             ;   in Loop: Header=BB233_38 Depth=1
	s_or_b32 exec_lo, exec_lo, s43
	s_and_saveexec_b32 s43, s12
	s_cbranch_execnz .LBB233_67
.LBB233_51:                             ;   in Loop: Header=BB233_38 Depth=1
	s_or_b32 exec_lo, exec_lo, s43
	s_and_saveexec_b32 s43, s13
	s_cbranch_execnz .LBB233_68
.LBB233_52:                             ;   in Loop: Header=BB233_38 Depth=1
	s_or_b32 exec_lo, exec_lo, s43
	s_and_saveexec_b32 s43, s14
	s_cbranch_execnz .LBB233_69
.LBB233_53:                             ;   in Loop: Header=BB233_38 Depth=1
	s_or_b32 exec_lo, exec_lo, s43
	s_and_saveexec_b32 s43, s15
	s_cbranch_execnz .LBB233_70
.LBB233_54:                             ;   in Loop: Header=BB233_38 Depth=1
	s_or_b32 exec_lo, exec_lo, s43
	s_and_saveexec_b32 s15, vcc_lo
	s_cbranch_execz .LBB233_37
	s_branch .LBB233_71
.LBB233_55:                             ;   in Loop: Header=BB233_38 Depth=1
	v_mov_b32_e32 v12, s17
	ds_load_b32 v12, v12
	s_waitcnt lgkmcnt(0)
	v_add_nc_u32_e32 v11, v12, v11
	s_or_b32 exec_lo, exec_lo, s43
	s_and_saveexec_b32 s43, s1
	s_cbranch_execz .LBB233_40
.LBB233_56:                             ;   in Loop: Header=BB233_38 Depth=1
	v_mov_b32_e32 v12, s18
	ds_load_b32 v12, v12
	s_waitcnt lgkmcnt(0)
	v_add_nc_u32_e32 v11, v12, v11
	s_or_b32 exec_lo, exec_lo, s43
	s_and_saveexec_b32 s43, s2
	s_cbranch_execz .LBB233_41
.LBB233_57:                             ;   in Loop: Header=BB233_38 Depth=1
	v_mov_b32_e32 v12, s19
	ds_load_b32 v12, v12
	s_waitcnt lgkmcnt(0)
	v_add_nc_u32_e32 v11, v12, v11
	s_or_b32 exec_lo, exec_lo, s43
	s_and_saveexec_b32 s43, s3
	s_cbranch_execz .LBB233_42
.LBB233_58:                             ;   in Loop: Header=BB233_38 Depth=1
	v_mov_b32_e32 v12, s24
	ds_load_b32 v12, v12
	s_waitcnt lgkmcnt(0)
	v_add_nc_u32_e32 v11, v12, v11
	s_or_b32 exec_lo, exec_lo, s43
	s_and_saveexec_b32 s43, s4
	s_cbranch_execz .LBB233_43
.LBB233_59:                             ;   in Loop: Header=BB233_38 Depth=1
	v_mov_b32_e32 v12, s25
	ds_load_b32 v12, v12
	s_waitcnt lgkmcnt(0)
	v_add_nc_u32_e32 v11, v12, v11
	s_or_b32 exec_lo, exec_lo, s43
	s_and_saveexec_b32 s43, s5
	s_cbranch_execz .LBB233_44
.LBB233_60:                             ;   in Loop: Header=BB233_38 Depth=1
	v_mov_b32_e32 v12, s26
	ds_load_b32 v12, v12
	s_waitcnt lgkmcnt(0)
	v_add_nc_u32_e32 v11, v12, v11
	s_or_b32 exec_lo, exec_lo, s43
	s_and_saveexec_b32 s43, s6
	s_cbranch_execz .LBB233_45
.LBB233_61:                             ;   in Loop: Header=BB233_38 Depth=1
	v_mov_b32_e32 v12, s27
	ds_load_b32 v12, v12
	s_waitcnt lgkmcnt(0)
	v_add_nc_u32_e32 v11, v12, v11
	s_or_b32 exec_lo, exec_lo, s43
	s_and_saveexec_b32 s43, s7
	s_cbranch_execz .LBB233_46
.LBB233_62:                             ;   in Loop: Header=BB233_38 Depth=1
	v_mov_b32_e32 v12, s28
	ds_load_b32 v12, v12
	s_waitcnt lgkmcnt(0)
	v_add_nc_u32_e32 v11, v12, v11
	s_or_b32 exec_lo, exec_lo, s43
	s_and_saveexec_b32 s43, s8
	s_cbranch_execz .LBB233_47
.LBB233_63:                             ;   in Loop: Header=BB233_38 Depth=1
	v_mov_b32_e32 v12, s29
	ds_load_b32 v12, v12
	s_waitcnt lgkmcnt(0)
	v_add_nc_u32_e32 v11, v12, v11
	s_or_b32 exec_lo, exec_lo, s43
	s_and_saveexec_b32 s43, s9
	s_cbranch_execz .LBB233_48
.LBB233_64:                             ;   in Loop: Header=BB233_38 Depth=1
	v_mov_b32_e32 v12, s30
	ds_load_b32 v12, v12
	s_waitcnt lgkmcnt(0)
	v_add_nc_u32_e32 v11, v12, v11
	s_or_b32 exec_lo, exec_lo, s43
	s_and_saveexec_b32 s43, s10
	s_cbranch_execz .LBB233_49
.LBB233_65:                             ;   in Loop: Header=BB233_38 Depth=1
	v_mov_b32_e32 v12, s31
	ds_load_b32 v12, v12
	s_waitcnt lgkmcnt(0)
	v_add_nc_u32_e32 v11, v12, v11
	s_or_b32 exec_lo, exec_lo, s43
	s_and_saveexec_b32 s43, s11
	s_cbranch_execz .LBB233_50
.LBB233_66:                             ;   in Loop: Header=BB233_38 Depth=1
	v_mov_b32_e32 v12, s37
	ds_load_b32 v12, v12
	s_waitcnt lgkmcnt(0)
	v_add_nc_u32_e32 v11, v12, v11
	s_or_b32 exec_lo, exec_lo, s43
	s_and_saveexec_b32 s43, s12
	s_cbranch_execz .LBB233_51
.LBB233_67:                             ;   in Loop: Header=BB233_38 Depth=1
	v_mov_b32_e32 v12, s39
	ds_load_b32 v12, v12
	s_waitcnt lgkmcnt(0)
	v_add_nc_u32_e32 v11, v12, v11
	s_or_b32 exec_lo, exec_lo, s43
	s_and_saveexec_b32 s43, s13
	s_cbranch_execz .LBB233_52
.LBB233_68:                             ;   in Loop: Header=BB233_38 Depth=1
	v_mov_b32_e32 v12, s41
	ds_load_b32 v12, v12
	s_waitcnt lgkmcnt(0)
	v_add_nc_u32_e32 v11, v12, v11
	s_or_b32 exec_lo, exec_lo, s43
	s_and_saveexec_b32 s43, s14
	s_cbranch_execz .LBB233_53
.LBB233_69:                             ;   in Loop: Header=BB233_38 Depth=1
	v_mov_b32_e32 v12, s42
	ds_load_b32 v12, v12
	s_waitcnt lgkmcnt(0)
	v_add_nc_u32_e32 v11, v12, v11
	s_or_b32 exec_lo, exec_lo, s43
	s_and_saveexec_b32 s43, s15
	s_cbranch_execz .LBB233_54
.LBB233_70:                             ;   in Loop: Header=BB233_38 Depth=1
	s_delay_alu instid0(VALU_DEP_1) | instskip(NEXT) | instid1(VALU_DEP_1)
	v_add3_u32 v12, v6, -1, v11
	v_lshlrev_b32_e32 v13, 3, v12
	v_lshl_add_u32 v12, v12, 2, 0
	s_delay_alu instid0(VALU_DEP_2)
	v_add3_u32 v13, 0, v13, 0x10000
	ds_store_b32 v12, v10
	ds_store_2addr_b32 v13, v2, v3 offset1:1
	s_or_b32 exec_lo, exec_lo, s43
	s_and_saveexec_b32 s15, vcc_lo
	s_cbranch_execz .LBB233_37
.LBB233_71:                             ;   in Loop: Header=BB233_38 Depth=1
	v_mov_b32_e32 v2, s36
	ds_store_b32 v2, v11
	s_branch .LBB233_37
.LBB233_72:                             ;   in Loop: Header=BB233_73 Depth=1
	s_or_b32 exec_lo, exec_lo, s5
	v_add_co_u32 v1, vcc_lo, 0x400, v1
	v_add_co_ci_u32_e32 v2, vcc_lo, 0, v2, vcc_lo
	s_delay_alu instid0(VALU_DEP_1) | instskip(SKIP_1) | instid1(SALU_CYCLE_1)
	v_cmp_le_i64_e32 vcc_lo, s[0:1], v[1:2]
	s_or_b32 s4, vcc_lo, s4
	s_and_not1_b32 exec_lo, exec_lo, s4
	s_cbranch_execz .LBB233_35
.LBB233_73:                             ; =>This Loop Header: Depth=1
                                        ;     Child Loop BB233_75 Depth 2
	v_lshlrev_b64 v[3:4], 2, v[1:2]
	v_lshlrev_b64 v[5:6], 3, v[1:2]
	s_mov_b32 s5, 0
	s_delay_alu instid0(VALU_DEP_2) | instskip(NEXT) | instid1(VALU_DEP_3)
	v_add_co_u32 v3, vcc_lo, s16, v3
	v_add_co_ci_u32_e32 v4, vcc_lo, s17, v4, vcc_lo
	global_load_b32 v13, v[3:4], off
	v_add_co_u32 v3, vcc_lo, s18, v5
	v_add_co_ci_u32_e32 v4, vcc_lo, s19, v6, vcc_lo
	global_load_b64 v[11:12], v[3:4], off
	s_waitcnt vmcnt(1)
	v_subrev_nc_u32_e32 v3, s39, v13
	s_delay_alu instid0(VALU_DEP_1) | instskip(SKIP_2) | instid1(VALU_DEP_1)
	v_mul_lo_u32 v6, 0x89, v3
	s_waitcnt vmcnt(0)
	v_mul_f32_e64 v4, v12, -s12
	v_dual_mul_f32 v5, s2, v12 :: v_dual_fmac_f32 v4, s2, v11
	s_delay_alu instid0(VALU_DEP_1)
	v_dual_fmac_f32 v5, s12, v11 :: v_dual_and_b32 v6, 0x3fff, v6
	s_branch .LBB233_75
.LBB233_74:                             ;   in Loop: Header=BB233_75 Depth=2
	s_or_b32 exec_lo, exec_lo, s6
	s_xor_b32 s6, s7, -1
	s_delay_alu instid0(SALU_CYCLE_1) | instskip(NEXT) | instid1(SALU_CYCLE_1)
	s_and_b32 s6, exec_lo, s6
	s_or_b32 s5, s6, s5
	s_delay_alu instid0(SALU_CYCLE_1)
	s_and_not1_b32 exec_lo, exec_lo, s5
	s_cbranch_execz .LBB233_72
.LBB233_75:                             ;   Parent Loop BB233_73 Depth=1
                                        ; =>  This Inner Loop Header: Depth=2
	s_delay_alu instid0(VALU_DEP_1)
	v_lshl_add_u32 v11, v6, 2, 0
	s_mov_b32 s6, exec_lo
                                        ; implicit-def: $sgpr7
	ds_load_b32 v12, v11
	s_waitcnt lgkmcnt(0)
	v_cmpx_ne_u32_e64 v12, v3
	s_xor_b32 s6, exec_lo, s6
	s_cbranch_execz .LBB233_83
; %bb.76:                               ;   in Loop: Header=BB233_75 Depth=2
	s_mov_b32 s8, exec_lo
                                        ; implicit-def: $sgpr7
	v_cmpx_ne_u32_e64 s33, v12
	s_xor_b32 s8, exec_lo, s8
; %bb.77:                               ;   in Loop: Header=BB233_75 Depth=2
	v_add_nc_u32_e32 v6, 1, v6
	s_mov_b32 s7, -1
                                        ; implicit-def: $vgpr11
	s_delay_alu instid0(VALU_DEP_1)
	v_and_b32_e32 v6, 0x3fff, v6
; %bb.78:                               ;   in Loop: Header=BB233_75 Depth=2
	s_and_not1_saveexec_b32 s8, s8
	s_cbranch_execz .LBB233_82
; %bb.79:                               ;   in Loop: Header=BB233_75 Depth=2
	v_mov_b32_e32 v12, s33
	s_mov_b32 s10, -1
	s_mov_b32 s9, exec_lo
	ds_cmpstore_rtn_b32 v11, v11, v3, v12
	s_waitcnt lgkmcnt(0)
	v_cmpx_eq_u32_e64 s33, v11
	s_cbranch_execz .LBB233_81
; %bb.80:                               ;   in Loop: Header=BB233_75 Depth=2
	v_lshlrev_b32_e32 v11, 3, v6
	s_xor_b32 s10, exec_lo, -1
	s_delay_alu instid0(VALU_DEP_1)
	v_add3_u32 v11, 0, v11, 0x10000
	ds_add_f32 v11, v4
	ds_add_f32 v11, v5 offset:4
.LBB233_81:                             ;   in Loop: Header=BB233_75 Depth=2
	s_or_b32 exec_lo, exec_lo, s9
	s_delay_alu instid0(SALU_CYCLE_1) | instskip(SKIP_1) | instid1(SALU_CYCLE_1)
	s_and_not1_b32 s7, s7, exec_lo
	s_and_b32 s9, s10, exec_lo
	s_or_b32 s7, s7, s9
.LBB233_82:                             ;   in Loop: Header=BB233_75 Depth=2
	s_or_b32 exec_lo, exec_lo, s8
	s_delay_alu instid0(SALU_CYCLE_1)
	s_and_b32 s7, s7, exec_lo
.LBB233_83:                             ;   in Loop: Header=BB233_75 Depth=2
	s_and_not1_saveexec_b32 s6, s6
	s_cbranch_execz .LBB233_74
; %bb.84:                               ;   in Loop: Header=BB233_75 Depth=2
	v_lshlrev_b32_e32 v11, 3, v6
	s_and_not1_b32 s7, s7, exec_lo
	s_delay_alu instid0(VALU_DEP_1)
	v_add3_u32 v11, 0, v11, 0x10000
	ds_add_f32 v11, v4
	ds_add_f32 v11, v5 offset:4
	s_branch .LBB233_74
.LBB233_85:
	s_or_b32 exec_lo, exec_lo, s16
	s_ashr_i32 s41, s40, 31
	s_mov_b32 s4, exec_lo
	s_lshl_b64 s[0:1], s[40:41], 3
	s_delay_alu instid0(SALU_CYCLE_1) | instskip(SKIP_4) | instid1(SALU_CYCLE_1)
	s_add_u32 s0, s20, s0
	s_addc_u32 s1, s21, s1
	s_load_b128 s[0:3], s[0:1], 0x0
	s_waitcnt lgkmcnt(0)
	s_sub_i32 s3, s2, s0
	v_cmpx_gt_i32_e64 s3, v0
	s_cbranch_execz .LBB233_95
; %bb.86:
	s_sub_u32 s4, s0, s38
	s_subb_u32 s5, s1, 0
	s_sub_i32 s0, s0, s2
	s_and_b32 s1, s3, 7
	s_cmp_lt_u32 s0, -7
	s_mov_b32 s8, 0
	s_cselect_b32 s2, -1, 0
	s_and_b32 s6, s3, -8
	s_cmp_lg_u32 s1, 0
	s_cselect_b32 s7, -1, 0
	s_branch .LBB233_88
.LBB233_87:                             ;   in Loop: Header=BB233_88 Depth=1
	s_delay_alu instid0(VALU_DEP_1) | instskip(SKIP_4) | instid1(VALU_DEP_4)
	v_lshlrev_b64 v[6:7], 2, v[3:4]
	v_lshlrev_b64 v[3:4], 3, v[3:4]
	v_add_nc_u32_e32 v0, 0x400, v0
	s_waitcnt lgkmcnt(1)
	v_add_nc_u32_e32 v8, s38, v5
	v_add_co_u32 v5, vcc_lo, s22, v6
	v_add_co_ci_u32_e32 v6, vcc_lo, s23, v7, vcc_lo
	v_cmp_le_i32_e32 vcc_lo, s3, v0
	v_add_co_u32 v3, s0, s34, v3
	s_delay_alu instid0(VALU_DEP_1)
	v_add_co_ci_u32_e64 v4, s0, s35, v4, s0
	s_or_b32 s8, vcc_lo, s8
	global_store_b32 v[5:6], v8, off
	s_waitcnt lgkmcnt(0)
	global_store_b64 v[3:4], v[1:2], off
	s_and_not1_b32 exec_lo, exec_lo, s8
	s_cbranch_execz .LBB233_95
.LBB233_88:                             ; =>This Loop Header: Depth=1
                                        ;     Child Loop BB233_90 Depth 2
                                        ;     Child Loop BB233_94 Depth 2
	v_lshlrev_b32_e32 v1, 3, v0
	v_lshl_add_u32 v2, v0, 2, 0
	v_dual_mov_b32 v3, s4 :: v_dual_mov_b32 v4, s5
	s_and_not1_b32 vcc_lo, exec_lo, s2
	s_delay_alu instid0(VALU_DEP_3)
	v_add3_u32 v1, 0, v1, 0x10000
	s_mov_b32 s0, 0
	ds_load_b32 v5, v2
	ds_load_2addr_b32 v[1:2], v1 offset1:1
	s_cbranch_vccnz .LBB233_92
; %bb.89:                               ;   in Loop: Header=BB233_88 Depth=1
	v_dual_mov_b32 v3, s4 :: v_dual_mov_b32 v4, s5
	s_mov_b32 s9, 0
	s_mov_b32 s10, 0
.LBB233_90:                             ;   Parent Loop BB233_88 Depth=1
                                        ; =>  This Inner Loop Header: Depth=2
	s_delay_alu instid0(SALU_CYCLE_1)
	v_mov_b32_e32 v12, s10
	s_add_i32 s9, s9, 8
	s_add_i32 s10, s10, 32
	s_cmp_eq_u32 s6, s9
	ds_load_2addr_b32 v[6:7], v12 offset1:1
	ds_load_2addr_b32 v[8:9], v12 offset0:2 offset1:3
	ds_load_2addr_b32 v[10:11], v12 offset0:4 offset1:5
	;; [unrolled: 1-line block ×3, first 2 shown]
	s_waitcnt lgkmcnt(3)
	v_cmp_gt_i32_e32 vcc_lo, v5, v6
	v_cndmask_b32_e64 v6, 0, 1, vcc_lo
	v_cmp_gt_i32_e32 vcc_lo, v5, v7
	v_cndmask_b32_e64 v7, 0, 1, vcc_lo
	s_waitcnt lgkmcnt(2)
	v_cmp_gt_i32_e32 vcc_lo, v5, v8
	v_cndmask_b32_e64 v8, 0, 1, vcc_lo
	v_cmp_gt_i32_e32 vcc_lo, v5, v9
	v_cndmask_b32_e64 v9, 0, 1, vcc_lo
	s_waitcnt lgkmcnt(1)
	v_cmp_gt_i32_e32 vcc_lo, v5, v10
	v_cndmask_b32_e64 v10, 0, 1, vcc_lo
	v_add_co_u32 v3, vcc_lo, v3, v6
	v_add_co_ci_u32_e32 v4, vcc_lo, 0, v4, vcc_lo
	v_cmp_gt_i32_e32 vcc_lo, v5, v11
	s_delay_alu instid0(VALU_DEP_3) | instskip(NEXT) | instid1(VALU_DEP_1)
	v_add_co_u32 v3, s0, v3, v7
	v_add_co_ci_u32_e64 v4, s0, 0, v4, s0
	v_cndmask_b32_e64 v6, 0, 1, vcc_lo
	s_delay_alu instid0(VALU_DEP_3) | instskip(NEXT) | instid1(VALU_DEP_3)
	v_add_co_u32 v3, vcc_lo, v3, v8
	v_add_co_ci_u32_e32 v4, vcc_lo, 0, v4, vcc_lo
	s_waitcnt lgkmcnt(0)
	v_cmp_gt_i32_e32 vcc_lo, v5, v12
	s_delay_alu instid0(VALU_DEP_3) | instskip(NEXT) | instid1(VALU_DEP_1)
	v_add_co_u32 v3, s0, v3, v9
	v_add_co_ci_u32_e64 v4, s0, 0, v4, s0
	v_cndmask_b32_e64 v7, 0, 1, vcc_lo
	s_delay_alu instid0(VALU_DEP_3) | instskip(NEXT) | instid1(VALU_DEP_3)
	v_add_co_u32 v3, vcc_lo, v3, v10
	v_add_co_ci_u32_e32 v4, vcc_lo, 0, v4, vcc_lo
	v_cmp_gt_i32_e32 vcc_lo, v5, v13
	s_delay_alu instid0(VALU_DEP_3) | instskip(NEXT) | instid1(VALU_DEP_1)
	v_add_co_u32 v3, s0, v3, v6
	v_add_co_ci_u32_e64 v4, s0, 0, v4, s0
	v_cndmask_b32_e64 v6, 0, 1, vcc_lo
	s_delay_alu instid0(VALU_DEP_3) | instskip(NEXT) | instid1(VALU_DEP_3)
	v_add_co_u32 v3, vcc_lo, v3, v7
	v_add_co_ci_u32_e32 v4, vcc_lo, 0, v4, vcc_lo
	s_delay_alu instid0(VALU_DEP_2) | instskip(NEXT) | instid1(VALU_DEP_2)
	v_add_co_u32 v3, vcc_lo, v3, v6
	v_add_co_ci_u32_e32 v4, vcc_lo, 0, v4, vcc_lo
	s_cbranch_scc0 .LBB233_90
; %bb.91:                               ;   in Loop: Header=BB233_88 Depth=1
	s_mov_b32 s0, s6
.LBB233_92:                             ;   in Loop: Header=BB233_88 Depth=1
	s_and_not1_b32 vcc_lo, exec_lo, s7
	s_cbranch_vccnz .LBB233_87
; %bb.93:                               ;   in Loop: Header=BB233_88 Depth=1
	s_lshl_b32 s0, s0, 2
	s_mov_b32 s9, s1
	s_add_i32 s0, s0, 0
.LBB233_94:                             ;   Parent Loop BB233_88 Depth=1
                                        ; =>  This Inner Loop Header: Depth=2
	s_delay_alu instid0(SALU_CYCLE_1)
	v_mov_b32_e32 v6, s0
	s_add_i32 s9, s9, -1
	s_add_i32 s0, s0, 4
	s_cmp_lg_u32 s9, 0
	ds_load_b32 v6, v6
	s_waitcnt lgkmcnt(0)
	v_cmp_gt_i32_e32 vcc_lo, v5, v6
	v_cndmask_b32_e64 v6, 0, 1, vcc_lo
	s_delay_alu instid0(VALU_DEP_1)
	v_add_co_u32 v3, vcc_lo, v3, v6
	v_add_co_ci_u32_e32 v4, vcc_lo, 0, v4, vcc_lo
	s_cbranch_scc1 .LBB233_94
	s_branch .LBB233_87
.LBB233_95:
	s_nop 0
	s_sendmsg sendmsg(MSG_DEALLOC_VGPRS)
	s_endpgm
	.section	.rodata,"a",@progbits
	.p2align	6, 0x0
	.amdhsa_kernel _ZN9rocsparseL26csrgemm_fill_block_per_rowILj1024ELj64ELj16384ELj137ELj64Eli21rocsparse_complex_numIfEEEvT5_PKS3_S5_NS_24const_host_device_scalarIT6_EEPKT4_S5_PKS7_SB_S5_SD_S8_SB_S5_SD_SB_PS3_PS7_21rocsparse_index_base_SG_SG_SG_bbb
		.amdhsa_group_segment_fixed_size 0
		.amdhsa_private_segment_fixed_size 0
		.amdhsa_kernarg_size 156
		.amdhsa_user_sgpr_count 15
		.amdhsa_user_sgpr_dispatch_ptr 0
		.amdhsa_user_sgpr_queue_ptr 0
		.amdhsa_user_sgpr_kernarg_segment_ptr 1
		.amdhsa_user_sgpr_dispatch_id 0
		.amdhsa_user_sgpr_private_segment_size 0
		.amdhsa_wavefront_size32 1
		.amdhsa_uses_dynamic_stack 0
		.amdhsa_enable_private_segment 0
		.amdhsa_system_sgpr_workgroup_id_x 1
		.amdhsa_system_sgpr_workgroup_id_y 0
		.amdhsa_system_sgpr_workgroup_id_z 0
		.amdhsa_system_sgpr_workgroup_info 0
		.amdhsa_system_vgpr_workitem_id 0
		.amdhsa_next_free_vgpr 21
		.amdhsa_next_free_sgpr 48
		.amdhsa_reserve_vcc 1
		.amdhsa_float_round_mode_32 0
		.amdhsa_float_round_mode_16_64 0
		.amdhsa_float_denorm_mode_32 3
		.amdhsa_float_denorm_mode_16_64 3
		.amdhsa_dx10_clamp 1
		.amdhsa_ieee_mode 1
		.amdhsa_fp16_overflow 0
		.amdhsa_workgroup_processor_mode 1
		.amdhsa_memory_ordered 1
		.amdhsa_forward_progress 0
		.amdhsa_shared_vgpr_count 0
		.amdhsa_exception_fp_ieee_invalid_op 0
		.amdhsa_exception_fp_denorm_src 0
		.amdhsa_exception_fp_ieee_div_zero 0
		.amdhsa_exception_fp_ieee_overflow 0
		.amdhsa_exception_fp_ieee_underflow 0
		.amdhsa_exception_fp_ieee_inexact 0
		.amdhsa_exception_int_div_zero 0
	.end_amdhsa_kernel
	.section	.text._ZN9rocsparseL26csrgemm_fill_block_per_rowILj1024ELj64ELj16384ELj137ELj64Eli21rocsparse_complex_numIfEEEvT5_PKS3_S5_NS_24const_host_device_scalarIT6_EEPKT4_S5_PKS7_SB_S5_SD_S8_SB_S5_SD_SB_PS3_PS7_21rocsparse_index_base_SG_SG_SG_bbb,"axG",@progbits,_ZN9rocsparseL26csrgemm_fill_block_per_rowILj1024ELj64ELj16384ELj137ELj64Eli21rocsparse_complex_numIfEEEvT5_PKS3_S5_NS_24const_host_device_scalarIT6_EEPKT4_S5_PKS7_SB_S5_SD_S8_SB_S5_SD_SB_PS3_PS7_21rocsparse_index_base_SG_SG_SG_bbb,comdat
.Lfunc_end233:
	.size	_ZN9rocsparseL26csrgemm_fill_block_per_rowILj1024ELj64ELj16384ELj137ELj64Eli21rocsparse_complex_numIfEEEvT5_PKS3_S5_NS_24const_host_device_scalarIT6_EEPKT4_S5_PKS7_SB_S5_SD_S8_SB_S5_SD_SB_PS3_PS7_21rocsparse_index_base_SG_SG_SG_bbb, .Lfunc_end233-_ZN9rocsparseL26csrgemm_fill_block_per_rowILj1024ELj64ELj16384ELj137ELj64Eli21rocsparse_complex_numIfEEEvT5_PKS3_S5_NS_24const_host_device_scalarIT6_EEPKT4_S5_PKS7_SB_S5_SD_S8_SB_S5_SD_SB_PS3_PS7_21rocsparse_index_base_SG_SG_SG_bbb
                                        ; -- End function
	.section	.AMDGPU.csdata,"",@progbits
; Kernel info:
; codeLenInByte = 3864
; NumSgprs: 50
; NumVgprs: 21
; ScratchSize: 0
; MemoryBound: 0
; FloatMode: 240
; IeeeMode: 1
; LDSByteSize: 0 bytes/workgroup (compile time only)
; SGPRBlocks: 6
; VGPRBlocks: 2
; NumSGPRsForWavesPerEU: 50
; NumVGPRsForWavesPerEU: 21
; Occupancy: 16
; WaveLimiterHint : 1
; COMPUTE_PGM_RSRC2:SCRATCH_EN: 0
; COMPUTE_PGM_RSRC2:USER_SGPR: 15
; COMPUTE_PGM_RSRC2:TRAP_HANDLER: 0
; COMPUTE_PGM_RSRC2:TGID_X_EN: 1
; COMPUTE_PGM_RSRC2:TGID_Y_EN: 0
; COMPUTE_PGM_RSRC2:TGID_Z_EN: 0
; COMPUTE_PGM_RSRC2:TIDIG_COMP_CNT: 0
	.section	.text._ZN9rocsparseL26csrgemm_fill_block_per_rowILj1024ELj64ELj32768ELj137ELj32Eli21rocsparse_complex_numIfEEEvT5_PKS3_S5_NS_24const_host_device_scalarIT6_EEPKT4_S5_PKS7_SB_S5_SD_S8_SB_S5_SD_SB_PS3_PS7_21rocsparse_index_base_SG_SG_SG_bbb,"axG",@progbits,_ZN9rocsparseL26csrgemm_fill_block_per_rowILj1024ELj64ELj32768ELj137ELj32Eli21rocsparse_complex_numIfEEEvT5_PKS3_S5_NS_24const_host_device_scalarIT6_EEPKT4_S5_PKS7_SB_S5_SD_S8_SB_S5_SD_SB_PS3_PS7_21rocsparse_index_base_SG_SG_SG_bbb,comdat
	.globl	_ZN9rocsparseL26csrgemm_fill_block_per_rowILj1024ELj64ELj32768ELj137ELj32Eli21rocsparse_complex_numIfEEEvT5_PKS3_S5_NS_24const_host_device_scalarIT6_EEPKT4_S5_PKS7_SB_S5_SD_S8_SB_S5_SD_SB_PS3_PS7_21rocsparse_index_base_SG_SG_SG_bbb ; -- Begin function _ZN9rocsparseL26csrgemm_fill_block_per_rowILj1024ELj64ELj32768ELj137ELj32Eli21rocsparse_complex_numIfEEEvT5_PKS3_S5_NS_24const_host_device_scalarIT6_EEPKT4_S5_PKS7_SB_S5_SD_S8_SB_S5_SD_SB_PS3_PS7_21rocsparse_index_base_SG_SG_SG_bbb
	.p2align	8
	.type	_ZN9rocsparseL26csrgemm_fill_block_per_rowILj1024ELj64ELj32768ELj137ELj32Eli21rocsparse_complex_numIfEEEvT5_PKS3_S5_NS_24const_host_device_scalarIT6_EEPKT4_S5_PKS7_SB_S5_SD_S8_SB_S5_SD_SB_PS3_PS7_21rocsparse_index_base_SG_SG_SG_bbb,@function
_ZN9rocsparseL26csrgemm_fill_block_per_rowILj1024ELj64ELj32768ELj137ELj32Eli21rocsparse_complex_numIfEEEvT5_PKS3_S5_NS_24const_host_device_scalarIT6_EEPKT4_S5_PKS7_SB_S5_SD_S8_SB_S5_SD_SB_PS3_PS7_21rocsparse_index_base_SG_SG_SG_bbb: ; @_ZN9rocsparseL26csrgemm_fill_block_per_rowILj1024ELj64ELj32768ELj137ELj32Eli21rocsparse_complex_numIfEEEvT5_PKS3_S5_NS_24const_host_device_scalarIT6_EEPKT4_S5_PKS7_SB_S5_SD_S8_SB_S5_SD_SB_PS3_PS7_21rocsparse_index_base_SG_SG_SG_bbb
; %bb.0:
	s_clause 0x6
	s_load_b32 s12, s[0:1], 0x98
	s_load_b256 s[36:43], s[0:1], 0x60
	s_load_b256 s[4:11], s[0:1], 0x40
	s_load_b128 s[24:27], s[0:1], 0x8
	s_load_b256 s[16:23], s[0:1], 0x20
	s_load_b64 s[34:35], s[0:1], 0x80
	s_load_b128 s[44:47], s[0:1], 0x88
	s_mov_b32 s3, 0
	s_mov_b32 s13, 0
	s_waitcnt lgkmcnt(0)
	s_bitcmp1_b32 s12, 0
	s_cselect_b32 s28, -1, 0
	s_bitcmp1_b32 s12, 16
	s_cselect_b32 s2, -1, 0
	s_delay_alu instid0(SALU_CYCLE_1) | instskip(SKIP_2) | instid1(VALU_DEP_1)
	s_xor_b32 s14, s2, -1
	s_bitcmp0_b32 s12, 0
	v_cndmask_b32_e64 v1, 0, 1, s14
	v_cmp_ne_u32_e32 vcc_lo, 1, v1
	s_cbranch_scc1 .LBB234_5
; %bb.1:
	s_load_b64 s[2:3], s[0:1], 0x18
	s_and_b32 vcc_lo, exec_lo, vcc_lo
	s_waitcnt lgkmcnt(0)
	s_mov_b32 s13, s2
	s_cbranch_vccnz .LBB234_3
; %bb.2:
	s_load_b32 s13, s[2:3], 0x0
.LBB234_3:
	s_and_not1_b32 vcc_lo, exec_lo, s14
	s_cbranch_vccnz .LBB234_5
; %bb.4:
	s_load_b32 s3, s[2:3], 0x4
.LBB234_5:
	s_bitcmp1_b32 s12, 8
	s_cselect_b32 s14, -1, 0
	s_bfe_u32 s2, s12, 0x10008
	s_mov_b32 s12, 0
	s_cmp_eq_u32 s2, 0
	s_mov_b32 s2, 0
	s_cbranch_scc1 .LBB234_11
; %bb.6:
	v_cmp_ne_u32_e32 vcc_lo, 1, v1
	s_mov_b32 s2, s8
	s_cbranch_vccnz .LBB234_8
; %bb.7:
	s_load_b32 s2, s[8:9], 0x0
.LBB234_8:
	v_cmp_ne_u32_e32 vcc_lo, 1, v1
	s_cbranch_vccnz .LBB234_10
; %bb.9:
	s_load_b32 s9, s[8:9], 0x4
.LBB234_10:
	s_waitcnt lgkmcnt(0)
	s_mov_b32 s12, s9
.LBB234_11:
	s_load_b32 s33, s[0:1], 0x0
	v_lshlrev_b32_e32 v9, 3, v0
	v_lshl_add_u32 v7, v0, 2, 0
	v_or_b32_e32 v8, 0xfffffc00, v0
	v_mov_b32_e32 v1, 0
	s_mov_b32 s0, 0
	s_delay_alu instid0(VALU_DEP_3)
	v_mov_b32_e32 v3, v7
	s_waitcnt lgkmcnt(0)
	v_dual_mov_b32 v5, v8 :: v_dual_mov_b32 v4, s33
	v_add3_u32 v2, v9, 0, 0x20004
.LBB234_12:                             ; =>This Inner Loop Header: Depth=1
	s_delay_alu instid0(VALU_DEP_2)
	v_add_nc_u32_e32 v5, 0x400, v5
	ds_store_b32 v3, v4
	v_add_nc_u32_e32 v6, -4, v2
	v_add_nc_u32_e32 v2, 0x2000, v2
	v_add_nc_u32_e32 v3, 0x1000, v3
	v_cmp_lt_u32_e32 vcc_lo, 0x7bff, v5
	ds_store_2addr_b32 v6, v1, v1 offset1:1
	s_or_b32 s0, vcc_lo, s0
	s_delay_alu instid0(SALU_CYCLE_1)
	s_and_not1_b32 exec_lo, exec_lo, s0
	s_cbranch_execnz .LBB234_12
; %bb.13:
	s_or_b32 exec_lo, exec_lo, s0
	s_waitcnt lgkmcnt(0)
	s_barrier
	buffer_gl0_inv
	s_load_b32 s0, s[24:25], 0x0
	s_mov_b32 s1, 0
	s_waitcnt lgkmcnt(0)
	s_add_i32 s0, s0, s15
	s_delay_alu instid0(SALU_CYCLE_1) | instskip(NEXT) | instid1(SALU_CYCLE_1)
	s_lshl_b64 s[0:1], s[0:1], 2
	s_add_u32 s0, s26, s0
	s_addc_u32 s1, s27, s1
	s_and_b32 vcc_lo, exec_lo, s28
	s_load_b32 s48, s[0:1], 0x0
	s_cbranch_vccz .LBB234_33
; %bb.14:
	s_waitcnt lgkmcnt(0)
	s_ashr_i32 s49, s48, 31
	v_lshrrev_b32_e32 v1, 6, v0
	s_lshl_b64 s[0:1], s[48:49], 3
	s_mov_b32 s8, exec_lo
	s_add_u32 s0, s16, s0
	s_addc_u32 s1, s17, s1
	s_load_b128 s[24:27], s[0:1], 0x0
	v_sub_co_u32 v1, s0, v1, s44
	s_delay_alu instid0(VALU_DEP_1) | instskip(SKIP_1) | instid1(VALU_DEP_2)
	v_sub_co_ci_u32_e64 v2, null, 0, 0, s0
	s_waitcnt lgkmcnt(0)
	v_add_co_u32 v1, vcc_lo, s24, v1
	s_delay_alu instid0(VALU_DEP_2)
	v_add_co_ci_u32_e32 v2, vcc_lo, s25, v2, vcc_lo
	s_sub_u32 s0, s26, s44
	s_subb_u32 s1, s27, 0
	s_delay_alu instid0(VALU_DEP_1) | instid1(SALU_CYCLE_1)
	v_cmpx_gt_i64_e64 s[0:1], v[1:2]
	s_cbranch_execz .LBB234_32
; %bb.15:
	v_and_b32_e32 v3, 63, v0
	s_mov_b32 s15, s45
	s_delay_alu instid0(VALU_DEP_1) | instskip(NEXT) | instid1(VALU_DEP_1)
	v_sub_co_u32 v10, s9, v3, s45
	v_sub_co_ci_u32_e64 v11, null, 0, 0, s9
	s_mov_b32 s9, 0
	s_branch .LBB234_17
.LBB234_16:                             ;   in Loop: Header=BB234_17 Depth=1
	s_or_b32 exec_lo, exec_lo, s16
	v_add_co_u32 v1, vcc_lo, v1, 16
	v_add_co_ci_u32_e32 v2, vcc_lo, 0, v2, vcc_lo
	s_delay_alu instid0(VALU_DEP_1) | instskip(SKIP_1) | instid1(SALU_CYCLE_1)
	v_cmp_le_i64_e32 vcc_lo, s[0:1], v[1:2]
	s_or_b32 s9, vcc_lo, s9
	s_and_not1_b32 exec_lo, exec_lo, s9
	s_cbranch_execz .LBB234_32
.LBB234_17:                             ; =>This Loop Header: Depth=1
                                        ;     Child Loop BB234_20 Depth 2
                                        ;       Child Loop BB234_22 Depth 3
	v_lshlrev_b64 v[3:4], 2, v[1:2]
	s_mov_b32 s16, exec_lo
	s_delay_alu instid0(VALU_DEP_1) | instskip(NEXT) | instid1(VALU_DEP_2)
	v_add_co_u32 v3, vcc_lo, s18, v3
	v_add_co_ci_u32_e32 v4, vcc_lo, s19, v4, vcc_lo
	global_load_b32 v3, v[3:4], off
	s_waitcnt vmcnt(0)
	v_subrev_nc_u32_e32 v3, s44, v3
	s_delay_alu instid0(VALU_DEP_1) | instskip(NEXT) | instid1(VALU_DEP_1)
	v_ashrrev_i32_e32 v4, 31, v3
	v_lshlrev_b64 v[3:4], 3, v[3:4]
	s_delay_alu instid0(VALU_DEP_1) | instskip(NEXT) | instid1(VALU_DEP_2)
	v_add_co_u32 v3, vcc_lo, s22, v3
	v_add_co_ci_u32_e32 v4, vcc_lo, s23, v4, vcc_lo
	global_load_b128 v[12:15], v[3:4], off
	s_waitcnt vmcnt(0)
	v_sub_co_u32 v3, vcc_lo, v14, s15
	v_subrev_co_ci_u32_e32 v4, vcc_lo, 0, v15, vcc_lo
	v_add_co_u32 v5, vcc_lo, v12, v10
	v_add_co_ci_u32_e32 v6, vcc_lo, v13, v11, vcc_lo
	s_delay_alu instid0(VALU_DEP_1)
	v_cmpx_lt_i64_e64 v[5:6], v[3:4]
	s_cbranch_execz .LBB234_16
; %bb.18:                               ;   in Loop: Header=BB234_17 Depth=1
	v_lshlrev_b64 v[12:13], 3, v[1:2]
	s_mov_b32 s17, 0
	s_delay_alu instid0(VALU_DEP_1) | instskip(NEXT) | instid1(VALU_DEP_2)
	v_add_co_u32 v12, vcc_lo, s20, v12
	v_add_co_ci_u32_e32 v13, vcc_lo, s21, v13, vcc_lo
	global_load_b64 v[14:15], v[12:13], off
	s_waitcnt vmcnt(0)
	v_mul_f32_e64 v12, v15, -s3
	s_delay_alu instid0(VALU_DEP_1) | instskip(NEXT) | instid1(VALU_DEP_1)
	v_dual_mul_f32 v13, s13, v15 :: v_dual_fmac_f32 v12, s13, v14
	v_fmac_f32_e32 v13, s3, v14
	s_branch .LBB234_20
.LBB234_19:                             ;   in Loop: Header=BB234_20 Depth=2
	s_or_b32 exec_lo, exec_lo, s24
	v_add_co_u32 v5, vcc_lo, v5, 64
	v_add_co_ci_u32_e32 v6, vcc_lo, 0, v6, vcc_lo
	s_delay_alu instid0(VALU_DEP_1) | instskip(SKIP_1) | instid1(SALU_CYCLE_1)
	v_cmp_ge_i64_e32 vcc_lo, v[5:6], v[3:4]
	s_or_b32 s17, vcc_lo, s17
	s_and_not1_b32 exec_lo, exec_lo, s17
	s_cbranch_execz .LBB234_16
.LBB234_20:                             ;   Parent Loop BB234_17 Depth=1
                                        ; =>  This Loop Header: Depth=2
                                        ;       Child Loop BB234_22 Depth 3
	v_lshlrev_b64 v[14:15], 2, v[5:6]
	v_lshlrev_b64 v[16:17], 3, v[5:6]
	s_mov_b32 s24, 0
	s_delay_alu instid0(VALU_DEP_2) | instskip(NEXT) | instid1(VALU_DEP_3)
	v_add_co_u32 v14, vcc_lo, s4, v14
	v_add_co_ci_u32_e32 v15, vcc_lo, s5, v15, vcc_lo
	global_load_b32 v19, v[14:15], off
	v_add_co_u32 v14, vcc_lo, s6, v16
	v_add_co_ci_u32_e32 v15, vcc_lo, s7, v17, vcc_lo
	global_load_b64 v[17:18], v[14:15], off
	s_waitcnt vmcnt(1)
	v_subrev_nc_u32_e32 v14, s45, v19
	s_delay_alu instid0(VALU_DEP_1) | instskip(SKIP_3) | instid1(VALU_DEP_2)
	v_mul_lo_u32 v19, 0x89, v14
	s_waitcnt vmcnt(0)
	v_mul_f32_e64 v15, v18, -v13
	v_mul_f32_e32 v16, v12, v18
	v_fmac_f32_e32 v15, v12, v17
	s_delay_alu instid0(VALU_DEP_2)
	v_dual_fmac_f32 v16, v13, v17 :: v_dual_and_b32 v17, 0x7fff, v19
	s_branch .LBB234_22
.LBB234_21:                             ;   in Loop: Header=BB234_22 Depth=3
	s_or_b32 exec_lo, exec_lo, s25
	s_xor_b32 s25, s26, -1
	s_delay_alu instid0(SALU_CYCLE_1) | instskip(NEXT) | instid1(SALU_CYCLE_1)
	s_and_b32 s25, exec_lo, s25
	s_or_b32 s24, s25, s24
	s_delay_alu instid0(SALU_CYCLE_1)
	s_and_not1_b32 exec_lo, exec_lo, s24
	s_cbranch_execz .LBB234_19
.LBB234_22:                             ;   Parent Loop BB234_17 Depth=1
                                        ;     Parent Loop BB234_20 Depth=2
                                        ; =>    This Inner Loop Header: Depth=3
	s_delay_alu instid0(VALU_DEP_1)
	v_lshl_add_u32 v18, v17, 2, 0
	s_mov_b32 s25, exec_lo
                                        ; implicit-def: $sgpr26
	ds_load_b32 v19, v18
	s_waitcnt lgkmcnt(0)
	v_cmpx_ne_u32_e64 v19, v14
	s_xor_b32 s25, exec_lo, s25
	s_cbranch_execz .LBB234_30
; %bb.23:                               ;   in Loop: Header=BB234_22 Depth=3
	s_mov_b32 s27, exec_lo
                                        ; implicit-def: $sgpr26
	v_cmpx_ne_u32_e64 s33, v19
	s_xor_b32 s27, exec_lo, s27
; %bb.24:                               ;   in Loop: Header=BB234_22 Depth=3
	v_add_nc_u32_e32 v17, 1, v17
	s_mov_b32 s26, -1
                                        ; implicit-def: $vgpr18
	s_delay_alu instid0(VALU_DEP_1)
	v_and_b32_e32 v17, 0x7fff, v17
; %bb.25:                               ;   in Loop: Header=BB234_22 Depth=3
	s_and_not1_saveexec_b32 s27, s27
	s_cbranch_execz .LBB234_29
; %bb.26:                               ;   in Loop: Header=BB234_22 Depth=3
	v_mov_b32_e32 v19, s33
	s_mov_b32 s29, -1
	s_mov_b32 s28, exec_lo
	ds_cmpstore_rtn_b32 v18, v18, v14, v19
	s_waitcnt lgkmcnt(0)
	v_cmpx_eq_u32_e64 s33, v18
	s_cbranch_execz .LBB234_28
; %bb.27:                               ;   in Loop: Header=BB234_22 Depth=3
	v_lshlrev_b32_e32 v18, 3, v17
	s_xor_b32 s29, exec_lo, -1
	s_delay_alu instid0(VALU_DEP_1)
	v_add3_u32 v18, 0, v18, 0x20000
	ds_add_f32 v18, v15
	ds_add_f32 v18, v16 offset:4
.LBB234_28:                             ;   in Loop: Header=BB234_22 Depth=3
	s_or_b32 exec_lo, exec_lo, s28
	s_delay_alu instid0(SALU_CYCLE_1) | instskip(SKIP_1) | instid1(SALU_CYCLE_1)
	s_and_not1_b32 s26, s26, exec_lo
	s_and_b32 s28, s29, exec_lo
	s_or_b32 s26, s26, s28
.LBB234_29:                             ;   in Loop: Header=BB234_22 Depth=3
	s_or_b32 exec_lo, exec_lo, s27
	s_delay_alu instid0(SALU_CYCLE_1)
	s_and_b32 s26, s26, exec_lo
.LBB234_30:                             ;   in Loop: Header=BB234_22 Depth=3
	s_and_not1_saveexec_b32 s25, s25
	s_cbranch_execz .LBB234_21
; %bb.31:                               ;   in Loop: Header=BB234_22 Depth=3
	v_lshlrev_b32_e32 v18, 3, v17
	s_and_not1_b32 s26, s26, exec_lo
	s_delay_alu instid0(VALU_DEP_1)
	v_add3_u32 v18, 0, v18, 0x20000
	ds_add_f32 v18, v15
	ds_add_f32 v18, v16 offset:4
	s_branch .LBB234_21
.LBB234_32:
	s_or_b32 exec_lo, exec_lo, s8
.LBB234_33:
	s_delay_alu instid0(SALU_CYCLE_1)
	s_and_not1_b32 vcc_lo, exec_lo, s14
	s_cbranch_vccnz .LBB234_36
; %bb.34:
	s_waitcnt lgkmcnt(0)
	s_ashr_i32 s49, s48, 31
	s_mov_b32 s3, exec_lo
	s_lshl_b64 s[0:1], s[48:49], 3
	s_delay_alu instid0(SALU_CYCLE_1) | instskip(SKIP_3) | instid1(VALU_DEP_1)
	s_add_u32 s0, s10, s0
	s_addc_u32 s1, s11, s1
	s_load_b128 s[4:7], s[0:1], 0x0
	v_sub_co_u32 v1, s0, v0, s47
	v_sub_co_ci_u32_e64 v2, null, 0, 0, s0
	s_waitcnt lgkmcnt(0)
	s_delay_alu instid0(VALU_DEP_2) | instskip(NEXT) | instid1(VALU_DEP_2)
	v_add_co_u32 v1, vcc_lo, s4, v1
	v_add_co_ci_u32_e32 v2, vcc_lo, s5, v2, vcc_lo
	s_sub_u32 s0, s6, s47
	s_subb_u32 s1, s7, 0
	s_mov_b32 s4, 0
	s_delay_alu instid0(VALU_DEP_1)
	v_cmpx_gt_i64_e64 s[0:1], v[1:2]
	s_cbranch_execnz .LBB234_105
.LBB234_35:
	s_or_b32 exec_lo, exec_lo, s3
.LBB234_36:
	v_mbcnt_lo_u32_b32 v1, -1, 0
	v_lshrrev_b32_e32 v2, 3, v0
	s_add_i32 s70, 0, 0x6007c
	v_cmp_eq_u32_e32 vcc_lo, 0x3ff, v0
	v_cmp_lt_u32_e64 s0, 31, v0
	v_xor_b32_e32 v1, 63, v1
	v_dual_mov_b32 v6, 0 :: v_dual_and_b32 v3, 0x7c, v2
	v_cmp_lt_u32_e64 s1, 63, v0
	v_cmp_lt_u32_e64 s2, 0x5f, v0
	s_delay_alu instid0(VALU_DEP_4) | instskip(NEXT) | instid1(VALU_DEP_4)
	v_lshrrev_b64 v[1:2], v1, -1
	v_add3_u32 v4, 0, 0x60000, v3
	v_cmp_lt_u32_e64 s3, 0x7f, v0
	v_cmp_lt_u32_e64 s4, 0x9f, v0
	;; [unrolled: 1-line block ×28, first 2 shown]
	v_add3_u32 v5, v9, 0, 0x20000
	v_mov_b32_e32 v9, s70
	s_mov_b32 s36, 0
	s_add_i32 s37, 0, 0x60000
	s_add_i32 s38, 0, 0x60004
	;; [unrolled: 1-line block ×31, first 2 shown]
	s_waitcnt lgkmcnt(0)
	s_barrier
	buffer_gl0_inv
	s_branch .LBB234_38
.LBB234_37:                             ;   in Loop: Header=BB234_38 Depth=1
	s_or_b32 exec_lo, exec_lo, s31
	s_waitcnt lgkmcnt(0)
	s_barrier
	buffer_gl0_inv
	ds_load_b32 v2, v9
	v_add_nc_u32_e32 v8, 0x400, v8
	v_add_nc_u32_e32 v5, 0x2000, v5
	;; [unrolled: 1-line block ×3, first 2 shown]
	s_delay_alu instid0(VALU_DEP_3) | instskip(NEXT) | instid1(VALU_DEP_1)
	v_cmp_lt_u32_e64 s31, 0x7bff, v8
	s_or_b32 s36, s31, s36
	s_waitcnt lgkmcnt(0)
	v_add_nc_u32_e32 v6, v2, v6
	s_and_not1_b32 exec_lo, exec_lo, s36
	s_cbranch_execz .LBB234_117
.LBB234_38:                             ; =>This Inner Loop Header: Depth=1
	ds_load_b32 v10, v7
	ds_load_2addr_b32 v[2:3], v5 offset1:1
	s_waitcnt lgkmcnt(0)
	s_barrier
	buffer_gl0_inv
	v_cmp_gt_i32_e64 s31, s33, v10
	s_delay_alu instid0(VALU_DEP_1) | instskip(NEXT) | instid1(SALU_CYCLE_1)
	s_bcnt1_i32_b32 s75, s31
	v_dual_mov_b32 v12, s75 :: v_dual_and_b32 v11, s31, v1
	s_delay_alu instid0(VALU_DEP_1)
	v_bcnt_u32_b32 v11, v11, 0
	ds_store_b32 v4, v12
	s_waitcnt lgkmcnt(0)
	s_barrier
	buffer_gl0_inv
	s_and_saveexec_b32 s75, s0
	s_cbranch_execnz .LBB234_71
; %bb.39:                               ;   in Loop: Header=BB234_38 Depth=1
	s_or_b32 exec_lo, exec_lo, s75
	s_and_saveexec_b32 s75, s1
	s_cbranch_execnz .LBB234_72
.LBB234_40:                             ;   in Loop: Header=BB234_38 Depth=1
	s_or_b32 exec_lo, exec_lo, s75
	s_and_saveexec_b32 s75, s2
	s_cbranch_execnz .LBB234_73
.LBB234_41:                             ;   in Loop: Header=BB234_38 Depth=1
	s_or_b32 exec_lo, exec_lo, s75
	s_and_saveexec_b32 s75, s3
	s_cbranch_execnz .LBB234_74
.LBB234_42:                             ;   in Loop: Header=BB234_38 Depth=1
	s_or_b32 exec_lo, exec_lo, s75
	s_and_saveexec_b32 s75, s4
	s_cbranch_execnz .LBB234_75
.LBB234_43:                             ;   in Loop: Header=BB234_38 Depth=1
	s_or_b32 exec_lo, exec_lo, s75
	s_and_saveexec_b32 s75, s5
	s_cbranch_execnz .LBB234_76
.LBB234_44:                             ;   in Loop: Header=BB234_38 Depth=1
	s_or_b32 exec_lo, exec_lo, s75
	s_and_saveexec_b32 s75, s6
	s_cbranch_execnz .LBB234_77
.LBB234_45:                             ;   in Loop: Header=BB234_38 Depth=1
	s_or_b32 exec_lo, exec_lo, s75
	s_and_saveexec_b32 s75, s7
	s_cbranch_execnz .LBB234_78
.LBB234_46:                             ;   in Loop: Header=BB234_38 Depth=1
	s_or_b32 exec_lo, exec_lo, s75
	s_and_saveexec_b32 s75, s8
	s_cbranch_execnz .LBB234_79
.LBB234_47:                             ;   in Loop: Header=BB234_38 Depth=1
	s_or_b32 exec_lo, exec_lo, s75
	s_and_saveexec_b32 s75, s9
	s_cbranch_execnz .LBB234_80
.LBB234_48:                             ;   in Loop: Header=BB234_38 Depth=1
	s_or_b32 exec_lo, exec_lo, s75
	s_and_saveexec_b32 s75, s10
	s_cbranch_execnz .LBB234_81
.LBB234_49:                             ;   in Loop: Header=BB234_38 Depth=1
	s_or_b32 exec_lo, exec_lo, s75
	s_and_saveexec_b32 s75, s11
	s_cbranch_execnz .LBB234_82
.LBB234_50:                             ;   in Loop: Header=BB234_38 Depth=1
	s_or_b32 exec_lo, exec_lo, s75
	s_and_saveexec_b32 s75, s12
	s_cbranch_execnz .LBB234_83
.LBB234_51:                             ;   in Loop: Header=BB234_38 Depth=1
	s_or_b32 exec_lo, exec_lo, s75
	s_and_saveexec_b32 s75, s13
	s_cbranch_execnz .LBB234_84
.LBB234_52:                             ;   in Loop: Header=BB234_38 Depth=1
	s_or_b32 exec_lo, exec_lo, s75
	s_and_saveexec_b32 s75, s14
	s_cbranch_execnz .LBB234_85
.LBB234_53:                             ;   in Loop: Header=BB234_38 Depth=1
	s_or_b32 exec_lo, exec_lo, s75
	s_and_saveexec_b32 s75, s15
	s_cbranch_execnz .LBB234_86
.LBB234_54:                             ;   in Loop: Header=BB234_38 Depth=1
	s_or_b32 exec_lo, exec_lo, s75
	s_and_saveexec_b32 s75, s16
	s_cbranch_execnz .LBB234_87
.LBB234_55:                             ;   in Loop: Header=BB234_38 Depth=1
	s_or_b32 exec_lo, exec_lo, s75
	s_and_saveexec_b32 s75, s17
	s_cbranch_execnz .LBB234_88
.LBB234_56:                             ;   in Loop: Header=BB234_38 Depth=1
	s_or_b32 exec_lo, exec_lo, s75
	s_and_saveexec_b32 s75, s18
	s_cbranch_execnz .LBB234_89
.LBB234_57:                             ;   in Loop: Header=BB234_38 Depth=1
	s_or_b32 exec_lo, exec_lo, s75
	s_and_saveexec_b32 s75, s19
	s_cbranch_execnz .LBB234_90
.LBB234_58:                             ;   in Loop: Header=BB234_38 Depth=1
	s_or_b32 exec_lo, exec_lo, s75
	s_and_saveexec_b32 s75, s20
	s_cbranch_execnz .LBB234_91
.LBB234_59:                             ;   in Loop: Header=BB234_38 Depth=1
	s_or_b32 exec_lo, exec_lo, s75
	s_and_saveexec_b32 s75, s21
	s_cbranch_execnz .LBB234_92
.LBB234_60:                             ;   in Loop: Header=BB234_38 Depth=1
	s_or_b32 exec_lo, exec_lo, s75
	s_and_saveexec_b32 s75, s22
	s_cbranch_execnz .LBB234_93
.LBB234_61:                             ;   in Loop: Header=BB234_38 Depth=1
	s_or_b32 exec_lo, exec_lo, s75
	s_and_saveexec_b32 s75, s23
	s_cbranch_execnz .LBB234_94
.LBB234_62:                             ;   in Loop: Header=BB234_38 Depth=1
	s_or_b32 exec_lo, exec_lo, s75
	s_and_saveexec_b32 s75, s24
	s_cbranch_execnz .LBB234_95
.LBB234_63:                             ;   in Loop: Header=BB234_38 Depth=1
	s_or_b32 exec_lo, exec_lo, s75
	s_and_saveexec_b32 s75, s25
	s_cbranch_execnz .LBB234_96
.LBB234_64:                             ;   in Loop: Header=BB234_38 Depth=1
	s_or_b32 exec_lo, exec_lo, s75
	s_and_saveexec_b32 s75, s26
	s_cbranch_execnz .LBB234_97
.LBB234_65:                             ;   in Loop: Header=BB234_38 Depth=1
	s_or_b32 exec_lo, exec_lo, s75
	s_and_saveexec_b32 s75, s27
	s_cbranch_execnz .LBB234_98
.LBB234_66:                             ;   in Loop: Header=BB234_38 Depth=1
	s_or_b32 exec_lo, exec_lo, s75
	s_and_saveexec_b32 s75, s28
	s_cbranch_execnz .LBB234_99
.LBB234_67:                             ;   in Loop: Header=BB234_38 Depth=1
	s_or_b32 exec_lo, exec_lo, s75
	s_and_saveexec_b32 s75, s29
	s_cbranch_execnz .LBB234_100
.LBB234_68:                             ;   in Loop: Header=BB234_38 Depth=1
	s_or_b32 exec_lo, exec_lo, s75
	s_and_saveexec_b32 s75, s30
	s_cbranch_execnz .LBB234_101
.LBB234_69:                             ;   in Loop: Header=BB234_38 Depth=1
	s_or_b32 exec_lo, exec_lo, s75
	s_and_saveexec_b32 s75, s31
	s_cbranch_execnz .LBB234_102
.LBB234_70:                             ;   in Loop: Header=BB234_38 Depth=1
	s_or_b32 exec_lo, exec_lo, s75
	s_and_saveexec_b32 s31, vcc_lo
	s_cbranch_execz .LBB234_37
	s_branch .LBB234_103
.LBB234_71:                             ;   in Loop: Header=BB234_38 Depth=1
	v_mov_b32_e32 v12, s37
	ds_load_b32 v12, v12
	s_waitcnt lgkmcnt(0)
	v_add_nc_u32_e32 v11, v12, v11
	s_or_b32 exec_lo, exec_lo, s75
	s_and_saveexec_b32 s75, s1
	s_cbranch_execz .LBB234_40
.LBB234_72:                             ;   in Loop: Header=BB234_38 Depth=1
	v_mov_b32_e32 v12, s38
	ds_load_b32 v12, v12
	s_waitcnt lgkmcnt(0)
	v_add_nc_u32_e32 v11, v12, v11
	s_or_b32 exec_lo, exec_lo, s75
	s_and_saveexec_b32 s75, s2
	s_cbranch_execz .LBB234_41
.LBB234_73:                             ;   in Loop: Header=BB234_38 Depth=1
	v_mov_b32_e32 v12, s39
	ds_load_b32 v12, v12
	s_waitcnt lgkmcnt(0)
	v_add_nc_u32_e32 v11, v12, v11
	s_or_b32 exec_lo, exec_lo, s75
	s_and_saveexec_b32 s75, s3
	s_cbranch_execz .LBB234_42
.LBB234_74:                             ;   in Loop: Header=BB234_38 Depth=1
	v_mov_b32_e32 v12, s44
	ds_load_b32 v12, v12
	s_waitcnt lgkmcnt(0)
	v_add_nc_u32_e32 v11, v12, v11
	s_or_b32 exec_lo, exec_lo, s75
	s_and_saveexec_b32 s75, s4
	s_cbranch_execz .LBB234_43
.LBB234_75:                             ;   in Loop: Header=BB234_38 Depth=1
	v_mov_b32_e32 v12, s45
	ds_load_b32 v12, v12
	s_waitcnt lgkmcnt(0)
	v_add_nc_u32_e32 v11, v12, v11
	s_or_b32 exec_lo, exec_lo, s75
	s_and_saveexec_b32 s75, s5
	s_cbranch_execz .LBB234_44
.LBB234_76:                             ;   in Loop: Header=BB234_38 Depth=1
	v_mov_b32_e32 v12, s47
	ds_load_b32 v12, v12
	s_waitcnt lgkmcnt(0)
	v_add_nc_u32_e32 v11, v12, v11
	s_or_b32 exec_lo, exec_lo, s75
	s_and_saveexec_b32 s75, s6
	s_cbranch_execz .LBB234_45
.LBB234_77:                             ;   in Loop: Header=BB234_38 Depth=1
	v_mov_b32_e32 v12, s49
	ds_load_b32 v12, v12
	s_waitcnt lgkmcnt(0)
	v_add_nc_u32_e32 v11, v12, v11
	s_or_b32 exec_lo, exec_lo, s75
	s_and_saveexec_b32 s75, s7
	s_cbranch_execz .LBB234_46
.LBB234_78:                             ;   in Loop: Header=BB234_38 Depth=1
	v_mov_b32_e32 v12, s50
	ds_load_b32 v12, v12
	s_waitcnt lgkmcnt(0)
	v_add_nc_u32_e32 v11, v12, v11
	s_or_b32 exec_lo, exec_lo, s75
	s_and_saveexec_b32 s75, s8
	s_cbranch_execz .LBB234_47
.LBB234_79:                             ;   in Loop: Header=BB234_38 Depth=1
	v_mov_b32_e32 v12, s51
	ds_load_b32 v12, v12
	s_waitcnt lgkmcnt(0)
	v_add_nc_u32_e32 v11, v12, v11
	s_or_b32 exec_lo, exec_lo, s75
	s_and_saveexec_b32 s75, s9
	s_cbranch_execz .LBB234_48
.LBB234_80:                             ;   in Loop: Header=BB234_38 Depth=1
	v_mov_b32_e32 v12, s52
	ds_load_b32 v12, v12
	s_waitcnt lgkmcnt(0)
	v_add_nc_u32_e32 v11, v12, v11
	s_or_b32 exec_lo, exec_lo, s75
	s_and_saveexec_b32 s75, s10
	s_cbranch_execz .LBB234_49
.LBB234_81:                             ;   in Loop: Header=BB234_38 Depth=1
	v_mov_b32_e32 v12, s53
	ds_load_b32 v12, v12
	s_waitcnt lgkmcnt(0)
	v_add_nc_u32_e32 v11, v12, v11
	s_or_b32 exec_lo, exec_lo, s75
	s_and_saveexec_b32 s75, s11
	s_cbranch_execz .LBB234_50
.LBB234_82:                             ;   in Loop: Header=BB234_38 Depth=1
	v_mov_b32_e32 v12, s54
	ds_load_b32 v12, v12
	s_waitcnt lgkmcnt(0)
	v_add_nc_u32_e32 v11, v12, v11
	s_or_b32 exec_lo, exec_lo, s75
	s_and_saveexec_b32 s75, s12
	s_cbranch_execz .LBB234_51
.LBB234_83:                             ;   in Loop: Header=BB234_38 Depth=1
	v_mov_b32_e32 v12, s55
	ds_load_b32 v12, v12
	s_waitcnt lgkmcnt(0)
	v_add_nc_u32_e32 v11, v12, v11
	s_or_b32 exec_lo, exec_lo, s75
	s_and_saveexec_b32 s75, s13
	s_cbranch_execz .LBB234_52
.LBB234_84:                             ;   in Loop: Header=BB234_38 Depth=1
	v_mov_b32_e32 v12, s56
	ds_load_b32 v12, v12
	s_waitcnt lgkmcnt(0)
	v_add_nc_u32_e32 v11, v12, v11
	s_or_b32 exec_lo, exec_lo, s75
	s_and_saveexec_b32 s75, s14
	s_cbranch_execz .LBB234_53
.LBB234_85:                             ;   in Loop: Header=BB234_38 Depth=1
	v_mov_b32_e32 v12, s57
	ds_load_b32 v12, v12
	s_waitcnt lgkmcnt(0)
	v_add_nc_u32_e32 v11, v12, v11
	s_or_b32 exec_lo, exec_lo, s75
	s_and_saveexec_b32 s75, s15
	s_cbranch_execz .LBB234_54
.LBB234_86:                             ;   in Loop: Header=BB234_38 Depth=1
	v_mov_b32_e32 v12, s58
	ds_load_b32 v12, v12
	s_waitcnt lgkmcnt(0)
	v_add_nc_u32_e32 v11, v12, v11
	s_or_b32 exec_lo, exec_lo, s75
	s_and_saveexec_b32 s75, s16
	s_cbranch_execz .LBB234_55
.LBB234_87:                             ;   in Loop: Header=BB234_38 Depth=1
	v_mov_b32_e32 v12, s59
	ds_load_b32 v12, v12
	s_waitcnt lgkmcnt(0)
	v_add_nc_u32_e32 v11, v12, v11
	s_or_b32 exec_lo, exec_lo, s75
	s_and_saveexec_b32 s75, s17
	s_cbranch_execz .LBB234_56
.LBB234_88:                             ;   in Loop: Header=BB234_38 Depth=1
	v_mov_b32_e32 v12, s60
	ds_load_b32 v12, v12
	s_waitcnt lgkmcnt(0)
	v_add_nc_u32_e32 v11, v12, v11
	s_or_b32 exec_lo, exec_lo, s75
	s_and_saveexec_b32 s75, s18
	s_cbranch_execz .LBB234_57
.LBB234_89:                             ;   in Loop: Header=BB234_38 Depth=1
	v_mov_b32_e32 v12, s61
	ds_load_b32 v12, v12
	s_waitcnt lgkmcnt(0)
	v_add_nc_u32_e32 v11, v12, v11
	s_or_b32 exec_lo, exec_lo, s75
	s_and_saveexec_b32 s75, s19
	s_cbranch_execz .LBB234_58
.LBB234_90:                             ;   in Loop: Header=BB234_38 Depth=1
	v_mov_b32_e32 v12, s62
	ds_load_b32 v12, v12
	s_waitcnt lgkmcnt(0)
	v_add_nc_u32_e32 v11, v12, v11
	s_or_b32 exec_lo, exec_lo, s75
	s_and_saveexec_b32 s75, s20
	s_cbranch_execz .LBB234_59
.LBB234_91:                             ;   in Loop: Header=BB234_38 Depth=1
	v_mov_b32_e32 v12, s63
	ds_load_b32 v12, v12
	s_waitcnt lgkmcnt(0)
	v_add_nc_u32_e32 v11, v12, v11
	s_or_b32 exec_lo, exec_lo, s75
	s_and_saveexec_b32 s75, s21
	s_cbranch_execz .LBB234_60
.LBB234_92:                             ;   in Loop: Header=BB234_38 Depth=1
	v_mov_b32_e32 v12, s64
	ds_load_b32 v12, v12
	s_waitcnt lgkmcnt(0)
	v_add_nc_u32_e32 v11, v12, v11
	s_or_b32 exec_lo, exec_lo, s75
	s_and_saveexec_b32 s75, s22
	s_cbranch_execz .LBB234_61
.LBB234_93:                             ;   in Loop: Header=BB234_38 Depth=1
	v_mov_b32_e32 v12, s65
	ds_load_b32 v12, v12
	s_waitcnt lgkmcnt(0)
	v_add_nc_u32_e32 v11, v12, v11
	s_or_b32 exec_lo, exec_lo, s75
	s_and_saveexec_b32 s75, s23
	s_cbranch_execz .LBB234_62
.LBB234_94:                             ;   in Loop: Header=BB234_38 Depth=1
	v_mov_b32_e32 v12, s66
	ds_load_b32 v12, v12
	s_waitcnt lgkmcnt(0)
	v_add_nc_u32_e32 v11, v12, v11
	s_or_b32 exec_lo, exec_lo, s75
	s_and_saveexec_b32 s75, s24
	s_cbranch_execz .LBB234_63
.LBB234_95:                             ;   in Loop: Header=BB234_38 Depth=1
	v_mov_b32_e32 v12, s67
	ds_load_b32 v12, v12
	s_waitcnt lgkmcnt(0)
	v_add_nc_u32_e32 v11, v12, v11
	s_or_b32 exec_lo, exec_lo, s75
	s_and_saveexec_b32 s75, s25
	s_cbranch_execz .LBB234_64
.LBB234_96:                             ;   in Loop: Header=BB234_38 Depth=1
	v_mov_b32_e32 v12, s68
	ds_load_b32 v12, v12
	s_waitcnt lgkmcnt(0)
	v_add_nc_u32_e32 v11, v12, v11
	s_or_b32 exec_lo, exec_lo, s75
	s_and_saveexec_b32 s75, s26
	s_cbranch_execz .LBB234_65
.LBB234_97:                             ;   in Loop: Header=BB234_38 Depth=1
	v_mov_b32_e32 v12, s69
	ds_load_b32 v12, v12
	s_waitcnt lgkmcnt(0)
	v_add_nc_u32_e32 v11, v12, v11
	s_or_b32 exec_lo, exec_lo, s75
	s_and_saveexec_b32 s75, s27
	s_cbranch_execz .LBB234_66
.LBB234_98:                             ;   in Loop: Header=BB234_38 Depth=1
	v_mov_b32_e32 v12, s71
	ds_load_b32 v12, v12
	s_waitcnt lgkmcnt(0)
	v_add_nc_u32_e32 v11, v12, v11
	s_or_b32 exec_lo, exec_lo, s75
	s_and_saveexec_b32 s75, s28
	s_cbranch_execz .LBB234_67
.LBB234_99:                             ;   in Loop: Header=BB234_38 Depth=1
	v_mov_b32_e32 v12, s72
	ds_load_b32 v12, v12
	s_waitcnt lgkmcnt(0)
	v_add_nc_u32_e32 v11, v12, v11
	s_or_b32 exec_lo, exec_lo, s75
	s_and_saveexec_b32 s75, s29
	s_cbranch_execz .LBB234_68
.LBB234_100:                            ;   in Loop: Header=BB234_38 Depth=1
	v_mov_b32_e32 v12, s73
	ds_load_b32 v12, v12
	s_waitcnt lgkmcnt(0)
	v_add_nc_u32_e32 v11, v12, v11
	s_or_b32 exec_lo, exec_lo, s75
	s_and_saveexec_b32 s75, s30
	s_cbranch_execz .LBB234_69
.LBB234_101:                            ;   in Loop: Header=BB234_38 Depth=1
	v_mov_b32_e32 v12, s74
	ds_load_b32 v12, v12
	s_waitcnt lgkmcnt(0)
	v_add_nc_u32_e32 v11, v12, v11
	s_or_b32 exec_lo, exec_lo, s75
	s_and_saveexec_b32 s75, s31
	s_cbranch_execz .LBB234_70
.LBB234_102:                            ;   in Loop: Header=BB234_38 Depth=1
	s_delay_alu instid0(VALU_DEP_1) | instskip(NEXT) | instid1(VALU_DEP_1)
	v_add3_u32 v12, v6, -1, v11
	v_lshlrev_b32_e32 v13, 3, v12
	v_lshl_add_u32 v12, v12, 2, 0
	s_delay_alu instid0(VALU_DEP_2)
	v_add3_u32 v13, 0, v13, 0x20000
	ds_store_b32 v12, v10
	ds_store_2addr_b32 v13, v2, v3 offset1:1
	s_or_b32 exec_lo, exec_lo, s75
	s_and_saveexec_b32 s31, vcc_lo
	s_cbranch_execz .LBB234_37
.LBB234_103:                            ;   in Loop: Header=BB234_38 Depth=1
	v_mov_b32_e32 v2, s70
	ds_store_b32 v2, v11
	s_branch .LBB234_37
.LBB234_104:                            ;   in Loop: Header=BB234_105 Depth=1
	s_or_b32 exec_lo, exec_lo, s5
	v_add_co_u32 v1, vcc_lo, 0x400, v1
	v_add_co_ci_u32_e32 v2, vcc_lo, 0, v2, vcc_lo
	s_delay_alu instid0(VALU_DEP_1) | instskip(SKIP_1) | instid1(SALU_CYCLE_1)
	v_cmp_le_i64_e32 vcc_lo, s[0:1], v[1:2]
	s_or_b32 s4, vcc_lo, s4
	s_and_not1_b32 exec_lo, exec_lo, s4
	s_cbranch_execz .LBB234_35
.LBB234_105:                            ; =>This Loop Header: Depth=1
                                        ;     Child Loop BB234_107 Depth 2
	v_lshlrev_b64 v[3:4], 2, v[1:2]
	v_lshlrev_b64 v[5:6], 3, v[1:2]
	s_mov_b32 s5, 0
	s_delay_alu instid0(VALU_DEP_2) | instskip(NEXT) | instid1(VALU_DEP_3)
	v_add_co_u32 v3, vcc_lo, s36, v3
	v_add_co_ci_u32_e32 v4, vcc_lo, s37, v4, vcc_lo
	global_load_b32 v12, v[3:4], off
	v_add_co_u32 v3, vcc_lo, s38, v5
	v_add_co_ci_u32_e32 v4, vcc_lo, s39, v6, vcc_lo
	global_load_b64 v[10:11], v[3:4], off
	s_waitcnt vmcnt(1)
	v_subrev_nc_u32_e32 v3, s47, v12
	s_delay_alu instid0(VALU_DEP_1) | instskip(SKIP_2) | instid1(VALU_DEP_1)
	v_mul_lo_u32 v6, 0x89, v3
	s_waitcnt vmcnt(0)
	v_mul_f32_e64 v4, v11, -s12
	v_dual_mul_f32 v5, s2, v11 :: v_dual_fmac_f32 v4, s2, v10
	s_delay_alu instid0(VALU_DEP_1) | instskip(NEXT) | instid1(VALU_DEP_4)
	v_fmac_f32_e32 v5, s12, v10
	v_and_b32_e32 v6, 0x7fff, v6
	s_branch .LBB234_107
.LBB234_106:                            ;   in Loop: Header=BB234_107 Depth=2
	s_or_b32 exec_lo, exec_lo, s6
	s_xor_b32 s6, s7, -1
	s_delay_alu instid0(SALU_CYCLE_1) | instskip(NEXT) | instid1(SALU_CYCLE_1)
	s_and_b32 s6, exec_lo, s6
	s_or_b32 s5, s6, s5
	s_delay_alu instid0(SALU_CYCLE_1)
	s_and_not1_b32 exec_lo, exec_lo, s5
	s_cbranch_execz .LBB234_104
.LBB234_107:                            ;   Parent Loop BB234_105 Depth=1
                                        ; =>  This Inner Loop Header: Depth=2
	s_delay_alu instid0(VALU_DEP_1)
	v_lshl_add_u32 v10, v6, 2, 0
	s_mov_b32 s6, exec_lo
                                        ; implicit-def: $sgpr7
	ds_load_b32 v11, v10
	s_waitcnt lgkmcnt(0)
	v_cmpx_ne_u32_e64 v11, v3
	s_xor_b32 s6, exec_lo, s6
	s_cbranch_execz .LBB234_115
; %bb.108:                              ;   in Loop: Header=BB234_107 Depth=2
	s_mov_b32 s8, exec_lo
                                        ; implicit-def: $sgpr7
	v_cmpx_ne_u32_e64 s33, v11
	s_xor_b32 s8, exec_lo, s8
; %bb.109:                              ;   in Loop: Header=BB234_107 Depth=2
	v_add_nc_u32_e32 v6, 1, v6
	s_mov_b32 s7, -1
                                        ; implicit-def: $vgpr10
	s_delay_alu instid0(VALU_DEP_1)
	v_and_b32_e32 v6, 0x7fff, v6
; %bb.110:                              ;   in Loop: Header=BB234_107 Depth=2
	s_and_not1_saveexec_b32 s8, s8
	s_cbranch_execz .LBB234_114
; %bb.111:                              ;   in Loop: Header=BB234_107 Depth=2
	v_mov_b32_e32 v11, s33
	s_mov_b32 s10, -1
	s_mov_b32 s9, exec_lo
	ds_cmpstore_rtn_b32 v10, v10, v3, v11
	s_waitcnt lgkmcnt(0)
	v_cmpx_eq_u32_e64 s33, v10
	s_cbranch_execz .LBB234_113
; %bb.112:                              ;   in Loop: Header=BB234_107 Depth=2
	v_lshlrev_b32_e32 v10, 3, v6
	s_xor_b32 s10, exec_lo, -1
	s_delay_alu instid0(VALU_DEP_1)
	v_add3_u32 v10, 0, v10, 0x20000
	ds_add_f32 v10, v4
	ds_add_f32 v10, v5 offset:4
.LBB234_113:                            ;   in Loop: Header=BB234_107 Depth=2
	s_or_b32 exec_lo, exec_lo, s9
	s_delay_alu instid0(SALU_CYCLE_1) | instskip(SKIP_1) | instid1(SALU_CYCLE_1)
	s_and_not1_b32 s7, s7, exec_lo
	s_and_b32 s9, s10, exec_lo
	s_or_b32 s7, s7, s9
.LBB234_114:                            ;   in Loop: Header=BB234_107 Depth=2
	s_or_b32 exec_lo, exec_lo, s8
	s_delay_alu instid0(SALU_CYCLE_1)
	s_and_b32 s7, s7, exec_lo
.LBB234_115:                            ;   in Loop: Header=BB234_107 Depth=2
	s_and_not1_saveexec_b32 s6, s6
	s_cbranch_execz .LBB234_106
; %bb.116:                              ;   in Loop: Header=BB234_107 Depth=2
	v_lshlrev_b32_e32 v10, 3, v6
	s_and_not1_b32 s7, s7, exec_lo
	s_delay_alu instid0(VALU_DEP_1)
	v_add3_u32 v10, 0, v10, 0x20000
	ds_add_f32 v10, v4
	ds_add_f32 v10, v5 offset:4
	s_branch .LBB234_106
.LBB234_117:
	s_or_b32 exec_lo, exec_lo, s36
	s_ashr_i32 s49, s48, 31
	s_mov_b32 s4, exec_lo
	s_lshl_b64 s[0:1], s[48:49], 3
	s_delay_alu instid0(SALU_CYCLE_1) | instskip(SKIP_4) | instid1(SALU_CYCLE_1)
	s_add_u32 s0, s40, s0
	s_addc_u32 s1, s41, s1
	s_load_b128 s[0:3], s[0:1], 0x0
	s_waitcnt lgkmcnt(0)
	s_sub_i32 s3, s2, s0
	v_cmpx_gt_i32_e64 s3, v0
	s_cbranch_execz .LBB234_127
; %bb.118:
	s_sub_u32 s4, s0, s46
	s_subb_u32 s5, s1, 0
	s_sub_i32 s0, s0, s2
	s_and_b32 s1, s3, 7
	s_cmp_lt_u32 s0, -7
	s_mov_b32 s8, 0
	s_cselect_b32 s2, -1, 0
	s_and_b32 s6, s3, -8
	s_cmp_lg_u32 s1, 0
	s_cselect_b32 s7, -1, 0
	s_branch .LBB234_120
.LBB234_119:                            ;   in Loop: Header=BB234_120 Depth=1
	s_delay_alu instid0(VALU_DEP_1) | instskip(SKIP_4) | instid1(VALU_DEP_4)
	v_lshlrev_b64 v[6:7], 2, v[3:4]
	v_lshlrev_b64 v[3:4], 3, v[3:4]
	v_add_nc_u32_e32 v0, 0x400, v0
	s_waitcnt lgkmcnt(1)
	v_add_nc_u32_e32 v8, s46, v5
	v_add_co_u32 v5, vcc_lo, s42, v6
	v_add_co_ci_u32_e32 v6, vcc_lo, s43, v7, vcc_lo
	v_cmp_le_i32_e32 vcc_lo, s3, v0
	v_add_co_u32 v3, s0, s34, v3
	s_delay_alu instid0(VALU_DEP_1)
	v_add_co_ci_u32_e64 v4, s0, s35, v4, s0
	s_or_b32 s8, vcc_lo, s8
	global_store_b32 v[5:6], v8, off
	s_waitcnt lgkmcnt(0)
	global_store_b64 v[3:4], v[1:2], off
	s_and_not1_b32 exec_lo, exec_lo, s8
	s_cbranch_execz .LBB234_127
.LBB234_120:                            ; =>This Loop Header: Depth=1
                                        ;     Child Loop BB234_122 Depth 2
                                        ;     Child Loop BB234_126 Depth 2
	v_lshlrev_b32_e32 v1, 3, v0
	v_lshl_add_u32 v2, v0, 2, 0
	v_dual_mov_b32 v3, s4 :: v_dual_mov_b32 v4, s5
	s_and_not1_b32 vcc_lo, exec_lo, s2
	s_delay_alu instid0(VALU_DEP_3)
	v_add3_u32 v1, 0, v1, 0x20000
	s_mov_b32 s0, 0
	ds_load_b32 v5, v2
	ds_load_2addr_b32 v[1:2], v1 offset1:1
	s_cbranch_vccnz .LBB234_124
; %bb.121:                              ;   in Loop: Header=BB234_120 Depth=1
	v_dual_mov_b32 v3, s4 :: v_dual_mov_b32 v4, s5
	s_mov_b32 s9, 0
	s_mov_b32 s10, 0
.LBB234_122:                            ;   Parent Loop BB234_120 Depth=1
                                        ; =>  This Inner Loop Header: Depth=2
	s_delay_alu instid0(SALU_CYCLE_1)
	v_mov_b32_e32 v12, s10
	s_add_i32 s9, s9, 8
	s_add_i32 s10, s10, 32
	s_cmp_eq_u32 s6, s9
	ds_load_2addr_b32 v[6:7], v12 offset1:1
	ds_load_2addr_b32 v[8:9], v12 offset0:2 offset1:3
	ds_load_2addr_b32 v[10:11], v12 offset0:4 offset1:5
	ds_load_2addr_b32 v[12:13], v12 offset0:6 offset1:7
	s_waitcnt lgkmcnt(3)
	v_cmp_gt_i32_e32 vcc_lo, v5, v6
	v_cndmask_b32_e64 v6, 0, 1, vcc_lo
	v_cmp_gt_i32_e32 vcc_lo, v5, v7
	v_cndmask_b32_e64 v7, 0, 1, vcc_lo
	s_waitcnt lgkmcnt(2)
	v_cmp_gt_i32_e32 vcc_lo, v5, v8
	v_cndmask_b32_e64 v8, 0, 1, vcc_lo
	v_cmp_gt_i32_e32 vcc_lo, v5, v9
	v_cndmask_b32_e64 v9, 0, 1, vcc_lo
	s_waitcnt lgkmcnt(1)
	v_cmp_gt_i32_e32 vcc_lo, v5, v10
	v_cndmask_b32_e64 v10, 0, 1, vcc_lo
	v_add_co_u32 v3, vcc_lo, v3, v6
	v_add_co_ci_u32_e32 v4, vcc_lo, 0, v4, vcc_lo
	v_cmp_gt_i32_e32 vcc_lo, v5, v11
	s_delay_alu instid0(VALU_DEP_3) | instskip(NEXT) | instid1(VALU_DEP_1)
	v_add_co_u32 v3, s0, v3, v7
	v_add_co_ci_u32_e64 v4, s0, 0, v4, s0
	v_cndmask_b32_e64 v6, 0, 1, vcc_lo
	s_delay_alu instid0(VALU_DEP_3) | instskip(NEXT) | instid1(VALU_DEP_3)
	v_add_co_u32 v3, vcc_lo, v3, v8
	v_add_co_ci_u32_e32 v4, vcc_lo, 0, v4, vcc_lo
	s_waitcnt lgkmcnt(0)
	v_cmp_gt_i32_e32 vcc_lo, v5, v12
	s_delay_alu instid0(VALU_DEP_3) | instskip(NEXT) | instid1(VALU_DEP_1)
	v_add_co_u32 v3, s0, v3, v9
	v_add_co_ci_u32_e64 v4, s0, 0, v4, s0
	v_cndmask_b32_e64 v7, 0, 1, vcc_lo
	s_delay_alu instid0(VALU_DEP_3) | instskip(NEXT) | instid1(VALU_DEP_3)
	v_add_co_u32 v3, vcc_lo, v3, v10
	v_add_co_ci_u32_e32 v4, vcc_lo, 0, v4, vcc_lo
	v_cmp_gt_i32_e32 vcc_lo, v5, v13
	s_delay_alu instid0(VALU_DEP_3) | instskip(NEXT) | instid1(VALU_DEP_1)
	v_add_co_u32 v3, s0, v3, v6
	v_add_co_ci_u32_e64 v4, s0, 0, v4, s0
	v_cndmask_b32_e64 v6, 0, 1, vcc_lo
	s_delay_alu instid0(VALU_DEP_3) | instskip(NEXT) | instid1(VALU_DEP_3)
	v_add_co_u32 v3, vcc_lo, v3, v7
	v_add_co_ci_u32_e32 v4, vcc_lo, 0, v4, vcc_lo
	s_delay_alu instid0(VALU_DEP_2) | instskip(NEXT) | instid1(VALU_DEP_2)
	v_add_co_u32 v3, vcc_lo, v3, v6
	v_add_co_ci_u32_e32 v4, vcc_lo, 0, v4, vcc_lo
	s_cbranch_scc0 .LBB234_122
; %bb.123:                              ;   in Loop: Header=BB234_120 Depth=1
	s_mov_b32 s0, s6
.LBB234_124:                            ;   in Loop: Header=BB234_120 Depth=1
	s_and_not1_b32 vcc_lo, exec_lo, s7
	s_cbranch_vccnz .LBB234_119
; %bb.125:                              ;   in Loop: Header=BB234_120 Depth=1
	s_lshl_b32 s0, s0, 2
	s_mov_b32 s9, s1
	s_add_i32 s0, s0, 0
.LBB234_126:                            ;   Parent Loop BB234_120 Depth=1
                                        ; =>  This Inner Loop Header: Depth=2
	s_delay_alu instid0(SALU_CYCLE_1)
	v_mov_b32_e32 v6, s0
	s_add_i32 s9, s9, -1
	s_add_i32 s0, s0, 4
	s_cmp_lg_u32 s9, 0
	ds_load_b32 v6, v6
	s_waitcnt lgkmcnt(0)
	v_cmp_gt_i32_e32 vcc_lo, v5, v6
	v_cndmask_b32_e64 v6, 0, 1, vcc_lo
	s_delay_alu instid0(VALU_DEP_1)
	v_add_co_u32 v3, vcc_lo, v3, v6
	v_add_co_ci_u32_e32 v4, vcc_lo, 0, v4, vcc_lo
	s_cbranch_scc1 .LBB234_126
	s_branch .LBB234_119
.LBB234_127:
	s_nop 0
	s_sendmsg sendmsg(MSG_DEALLOC_VGPRS)
	s_endpgm
	.section	.rodata,"a",@progbits
	.p2align	6, 0x0
	.amdhsa_kernel _ZN9rocsparseL26csrgemm_fill_block_per_rowILj1024ELj64ELj32768ELj137ELj32Eli21rocsparse_complex_numIfEEEvT5_PKS3_S5_NS_24const_host_device_scalarIT6_EEPKT4_S5_PKS7_SB_S5_SD_S8_SB_S5_SD_SB_PS3_PS7_21rocsparse_index_base_SG_SG_SG_bbb
		.amdhsa_group_segment_fixed_size 0
		.amdhsa_private_segment_fixed_size 0
		.amdhsa_kernarg_size 156
		.amdhsa_user_sgpr_count 15
		.amdhsa_user_sgpr_dispatch_ptr 0
		.amdhsa_user_sgpr_queue_ptr 0
		.amdhsa_user_sgpr_kernarg_segment_ptr 1
		.amdhsa_user_sgpr_dispatch_id 0
		.amdhsa_user_sgpr_private_segment_size 0
		.amdhsa_wavefront_size32 1
		.amdhsa_uses_dynamic_stack 0
		.amdhsa_enable_private_segment 0
		.amdhsa_system_sgpr_workgroup_id_x 1
		.amdhsa_system_sgpr_workgroup_id_y 0
		.amdhsa_system_sgpr_workgroup_id_z 0
		.amdhsa_system_sgpr_workgroup_info 0
		.amdhsa_system_vgpr_workitem_id 0
		.amdhsa_next_free_vgpr 20
		.amdhsa_next_free_sgpr 76
		.amdhsa_reserve_vcc 1
		.amdhsa_float_round_mode_32 0
		.amdhsa_float_round_mode_16_64 0
		.amdhsa_float_denorm_mode_32 3
		.amdhsa_float_denorm_mode_16_64 3
		.amdhsa_dx10_clamp 1
		.amdhsa_ieee_mode 1
		.amdhsa_fp16_overflow 0
		.amdhsa_workgroup_processor_mode 1
		.amdhsa_memory_ordered 1
		.amdhsa_forward_progress 0
		.amdhsa_shared_vgpr_count 0
		.amdhsa_exception_fp_ieee_invalid_op 0
		.amdhsa_exception_fp_denorm_src 0
		.amdhsa_exception_fp_ieee_div_zero 0
		.amdhsa_exception_fp_ieee_overflow 0
		.amdhsa_exception_fp_ieee_underflow 0
		.amdhsa_exception_fp_ieee_inexact 0
		.amdhsa_exception_int_div_zero 0
	.end_amdhsa_kernel
	.section	.text._ZN9rocsparseL26csrgemm_fill_block_per_rowILj1024ELj64ELj32768ELj137ELj32Eli21rocsparse_complex_numIfEEEvT5_PKS3_S5_NS_24const_host_device_scalarIT6_EEPKT4_S5_PKS7_SB_S5_SD_S8_SB_S5_SD_SB_PS3_PS7_21rocsparse_index_base_SG_SG_SG_bbb,"axG",@progbits,_ZN9rocsparseL26csrgemm_fill_block_per_rowILj1024ELj64ELj32768ELj137ELj32Eli21rocsparse_complex_numIfEEEvT5_PKS3_S5_NS_24const_host_device_scalarIT6_EEPKT4_S5_PKS7_SB_S5_SD_S8_SB_S5_SD_SB_PS3_PS7_21rocsparse_index_base_SG_SG_SG_bbb,comdat
.Lfunc_end234:
	.size	_ZN9rocsparseL26csrgemm_fill_block_per_rowILj1024ELj64ELj32768ELj137ELj32Eli21rocsparse_complex_numIfEEEvT5_PKS3_S5_NS_24const_host_device_scalarIT6_EEPKT4_S5_PKS7_SB_S5_SD_S8_SB_S5_SD_SB_PS3_PS7_21rocsparse_index_base_SG_SG_SG_bbb, .Lfunc_end234-_ZN9rocsparseL26csrgemm_fill_block_per_rowILj1024ELj64ELj32768ELj137ELj32Eli21rocsparse_complex_numIfEEEvT5_PKS3_S5_NS_24const_host_device_scalarIT6_EEPKT4_S5_PKS7_SB_S5_SD_S8_SB_S5_SD_SB_PS3_PS7_21rocsparse_index_base_SG_SG_SG_bbb
                                        ; -- End function
	.section	.AMDGPU.csdata,"",@progbits
; Kernel info:
; codeLenInByte = 4896
; NumSgprs: 78
; NumVgprs: 20
; ScratchSize: 0
; MemoryBound: 0
; FloatMode: 240
; IeeeMode: 1
; LDSByteSize: 0 bytes/workgroup (compile time only)
; SGPRBlocks: 9
; VGPRBlocks: 2
; NumSGPRsForWavesPerEU: 78
; NumVGPRsForWavesPerEU: 20
; Occupancy: 16
; WaveLimiterHint : 1
; COMPUTE_PGM_RSRC2:SCRATCH_EN: 0
; COMPUTE_PGM_RSRC2:USER_SGPR: 15
; COMPUTE_PGM_RSRC2:TRAP_HANDLER: 0
; COMPUTE_PGM_RSRC2:TGID_X_EN: 1
; COMPUTE_PGM_RSRC2:TGID_Y_EN: 0
; COMPUTE_PGM_RSRC2:TGID_Z_EN: 0
; COMPUTE_PGM_RSRC2:TIDIG_COMP_CNT: 0
	.section	.text._ZN9rocsparseL26csrgemm_fill_block_per_rowILj1024ELj64ELj32768ELj137ELj64Eli21rocsparse_complex_numIfEEEvT5_PKS3_S5_NS_24const_host_device_scalarIT6_EEPKT4_S5_PKS7_SB_S5_SD_S8_SB_S5_SD_SB_PS3_PS7_21rocsparse_index_base_SG_SG_SG_bbb,"axG",@progbits,_ZN9rocsparseL26csrgemm_fill_block_per_rowILj1024ELj64ELj32768ELj137ELj64Eli21rocsparse_complex_numIfEEEvT5_PKS3_S5_NS_24const_host_device_scalarIT6_EEPKT4_S5_PKS7_SB_S5_SD_S8_SB_S5_SD_SB_PS3_PS7_21rocsparse_index_base_SG_SG_SG_bbb,comdat
	.globl	_ZN9rocsparseL26csrgemm_fill_block_per_rowILj1024ELj64ELj32768ELj137ELj64Eli21rocsparse_complex_numIfEEEvT5_PKS3_S5_NS_24const_host_device_scalarIT6_EEPKT4_S5_PKS7_SB_S5_SD_S8_SB_S5_SD_SB_PS3_PS7_21rocsparse_index_base_SG_SG_SG_bbb ; -- Begin function _ZN9rocsparseL26csrgemm_fill_block_per_rowILj1024ELj64ELj32768ELj137ELj64Eli21rocsparse_complex_numIfEEEvT5_PKS3_S5_NS_24const_host_device_scalarIT6_EEPKT4_S5_PKS7_SB_S5_SD_S8_SB_S5_SD_SB_PS3_PS7_21rocsparse_index_base_SG_SG_SG_bbb
	.p2align	8
	.type	_ZN9rocsparseL26csrgemm_fill_block_per_rowILj1024ELj64ELj32768ELj137ELj64Eli21rocsparse_complex_numIfEEEvT5_PKS3_S5_NS_24const_host_device_scalarIT6_EEPKT4_S5_PKS7_SB_S5_SD_S8_SB_S5_SD_SB_PS3_PS7_21rocsparse_index_base_SG_SG_SG_bbb,@function
_ZN9rocsparseL26csrgemm_fill_block_per_rowILj1024ELj64ELj32768ELj137ELj64Eli21rocsparse_complex_numIfEEEvT5_PKS3_S5_NS_24const_host_device_scalarIT6_EEPKT4_S5_PKS7_SB_S5_SD_S8_SB_S5_SD_SB_PS3_PS7_21rocsparse_index_base_SG_SG_SG_bbb: ; @_ZN9rocsparseL26csrgemm_fill_block_per_rowILj1024ELj64ELj32768ELj137ELj64Eli21rocsparse_complex_numIfEEEvT5_PKS3_S5_NS_24const_host_device_scalarIT6_EEPKT4_S5_PKS7_SB_S5_SD_S8_SB_S5_SD_SB_PS3_PS7_21rocsparse_index_base_SG_SG_SG_bbb
; %bb.0:
	s_clause 0x6
	s_load_b32 s12, s[0:1], 0x98
	s_load_b256 s[16:23], s[0:1], 0x60
	s_load_b256 s[4:11], s[0:1], 0x40
	s_load_b128 s[40:43], s[0:1], 0x8
	s_load_b256 s[24:31], s[0:1], 0x20
	s_load_b64 s[34:35], s[0:1], 0x80
	s_load_b128 s[36:39], s[0:1], 0x88
	s_mov_b32 s3, 0
	s_mov_b32 s13, 0
	s_waitcnt lgkmcnt(0)
	s_bitcmp1_b32 s12, 0
	s_cselect_b32 s44, -1, 0
	s_bitcmp1_b32 s12, 16
	s_cselect_b32 s2, -1, 0
	s_delay_alu instid0(SALU_CYCLE_1) | instskip(SKIP_2) | instid1(VALU_DEP_1)
	s_xor_b32 s14, s2, -1
	s_bitcmp0_b32 s12, 0
	v_cndmask_b32_e64 v1, 0, 1, s14
	v_cmp_ne_u32_e32 vcc_lo, 1, v1
	s_cbranch_scc1 .LBB235_5
; %bb.1:
	s_load_b64 s[2:3], s[0:1], 0x18
	s_and_b32 vcc_lo, exec_lo, vcc_lo
	s_waitcnt lgkmcnt(0)
	s_mov_b32 s13, s2
	s_cbranch_vccnz .LBB235_3
; %bb.2:
	s_load_b32 s13, s[2:3], 0x0
.LBB235_3:
	s_and_not1_b32 vcc_lo, exec_lo, s14
	s_cbranch_vccnz .LBB235_5
; %bb.4:
	s_load_b32 s3, s[2:3], 0x4
.LBB235_5:
	s_bitcmp1_b32 s12, 8
	s_cselect_b32 s14, -1, 0
	s_bfe_u32 s2, s12, 0x10008
	s_mov_b32 s12, 0
	s_cmp_eq_u32 s2, 0
	s_mov_b32 s2, 0
	s_cbranch_scc1 .LBB235_11
; %bb.6:
	v_cmp_ne_u32_e32 vcc_lo, 1, v1
	s_mov_b32 s2, s8
	s_cbranch_vccnz .LBB235_8
; %bb.7:
	s_load_b32 s2, s[8:9], 0x0
.LBB235_8:
	v_cmp_ne_u32_e32 vcc_lo, 1, v1
	s_cbranch_vccnz .LBB235_10
; %bb.9:
	s_load_b32 s9, s[8:9], 0x4
.LBB235_10:
	s_waitcnt lgkmcnt(0)
	s_mov_b32 s12, s9
.LBB235_11:
	s_load_b32 s33, s[0:1], 0x0
	v_lshlrev_b32_e32 v9, 3, v0
	v_lshl_add_u32 v7, v0, 2, 0
	v_or_b32_e32 v8, 0xfffffc00, v0
	v_mov_b32_e32 v1, 0
	s_mov_b32 s0, 0
	s_delay_alu instid0(VALU_DEP_3)
	v_mov_b32_e32 v3, v7
	s_waitcnt lgkmcnt(0)
	v_dual_mov_b32 v5, v8 :: v_dual_mov_b32 v4, s33
	v_add3_u32 v2, v9, 0, 0x20004
.LBB235_12:                             ; =>This Inner Loop Header: Depth=1
	s_delay_alu instid0(VALU_DEP_2)
	v_add_nc_u32_e32 v5, 0x400, v5
	ds_store_b32 v3, v4
	v_add_nc_u32_e32 v6, -4, v2
	v_add_nc_u32_e32 v2, 0x2000, v2
	v_add_nc_u32_e32 v3, 0x1000, v3
	v_cmp_lt_u32_e32 vcc_lo, 0x7bff, v5
	ds_store_2addr_b32 v6, v1, v1 offset1:1
	s_or_b32 s0, vcc_lo, s0
	s_delay_alu instid0(SALU_CYCLE_1)
	s_and_not1_b32 exec_lo, exec_lo, s0
	s_cbranch_execnz .LBB235_12
; %bb.13:
	s_or_b32 exec_lo, exec_lo, s0
	s_waitcnt lgkmcnt(0)
	s_barrier
	buffer_gl0_inv
	s_load_b32 s0, s[40:41], 0x0
	s_mov_b32 s1, 0
	v_lshrrev_b32_e32 v10, 6, v0
	s_waitcnt lgkmcnt(0)
	s_add_i32 s0, s0, s15
	s_delay_alu instid0(SALU_CYCLE_1) | instskip(NEXT) | instid1(SALU_CYCLE_1)
	s_lshl_b64 s[0:1], s[0:1], 2
	s_add_u32 s0, s42, s0
	s_addc_u32 s1, s43, s1
	s_and_b32 vcc_lo, exec_lo, s44
	s_load_b32 s40, s[0:1], 0x0
	s_cbranch_vccz .LBB235_33
; %bb.14:
	s_waitcnt lgkmcnt(0)
	s_ashr_i32 s41, s40, 31
	s_mov_b32 s8, exec_lo
	s_lshl_b64 s[0:1], s[40:41], 3
	s_delay_alu instid0(SALU_CYCLE_1) | instskip(SKIP_3) | instid1(VALU_DEP_1)
	s_add_u32 s0, s24, s0
	s_addc_u32 s1, s25, s1
	s_load_b128 s[44:47], s[0:1], 0x0
	v_sub_co_u32 v1, s0, v10, s36
	v_sub_co_ci_u32_e64 v2, null, 0, 0, s0
	s_waitcnt lgkmcnt(0)
	s_delay_alu instid0(VALU_DEP_2) | instskip(NEXT) | instid1(VALU_DEP_2)
	v_add_co_u32 v1, vcc_lo, s44, v1
	v_add_co_ci_u32_e32 v2, vcc_lo, s45, v2, vcc_lo
	s_sub_u32 s0, s46, s36
	s_subb_u32 s1, s47, 0
	s_delay_alu instid0(VALU_DEP_1) | instid1(SALU_CYCLE_1)
	v_cmpx_gt_i64_e64 s[0:1], v[1:2]
	s_cbranch_execz .LBB235_32
; %bb.15:
	v_and_b32_e32 v3, 63, v0
	s_mov_b32 s15, s37
	s_delay_alu instid0(VALU_DEP_1) | instskip(NEXT) | instid1(VALU_DEP_1)
	v_sub_co_u32 v11, s9, v3, s37
	v_sub_co_ci_u32_e64 v12, null, 0, 0, s9
	s_mov_b32 s9, 0
	s_branch .LBB235_17
.LBB235_16:                             ;   in Loop: Header=BB235_17 Depth=1
	s_or_b32 exec_lo, exec_lo, s24
	v_add_co_u32 v1, vcc_lo, v1, 16
	v_add_co_ci_u32_e32 v2, vcc_lo, 0, v2, vcc_lo
	s_delay_alu instid0(VALU_DEP_1) | instskip(SKIP_1) | instid1(SALU_CYCLE_1)
	v_cmp_le_i64_e32 vcc_lo, s[0:1], v[1:2]
	s_or_b32 s9, vcc_lo, s9
	s_and_not1_b32 exec_lo, exec_lo, s9
	s_cbranch_execz .LBB235_32
.LBB235_17:                             ; =>This Loop Header: Depth=1
                                        ;     Child Loop BB235_20 Depth 2
                                        ;       Child Loop BB235_22 Depth 3
	v_lshlrev_b64 v[3:4], 2, v[1:2]
	s_mov_b32 s24, exec_lo
	s_delay_alu instid0(VALU_DEP_1) | instskip(NEXT) | instid1(VALU_DEP_2)
	v_add_co_u32 v3, vcc_lo, s26, v3
	v_add_co_ci_u32_e32 v4, vcc_lo, s27, v4, vcc_lo
	global_load_b32 v3, v[3:4], off
	s_waitcnt vmcnt(0)
	v_subrev_nc_u32_e32 v3, s36, v3
	s_delay_alu instid0(VALU_DEP_1) | instskip(NEXT) | instid1(VALU_DEP_1)
	v_ashrrev_i32_e32 v4, 31, v3
	v_lshlrev_b64 v[3:4], 3, v[3:4]
	s_delay_alu instid0(VALU_DEP_1) | instskip(NEXT) | instid1(VALU_DEP_2)
	v_add_co_u32 v3, vcc_lo, s30, v3
	v_add_co_ci_u32_e32 v4, vcc_lo, s31, v4, vcc_lo
	global_load_b128 v[13:16], v[3:4], off
	s_waitcnt vmcnt(0)
	v_sub_co_u32 v3, vcc_lo, v15, s15
	v_subrev_co_ci_u32_e32 v4, vcc_lo, 0, v16, vcc_lo
	v_add_co_u32 v5, vcc_lo, v13, v11
	v_add_co_ci_u32_e32 v6, vcc_lo, v14, v12, vcc_lo
	s_delay_alu instid0(VALU_DEP_1)
	v_cmpx_lt_i64_e64 v[5:6], v[3:4]
	s_cbranch_execz .LBB235_16
; %bb.18:                               ;   in Loop: Header=BB235_17 Depth=1
	v_lshlrev_b64 v[13:14], 3, v[1:2]
	s_mov_b32 s25, 0
	s_delay_alu instid0(VALU_DEP_1) | instskip(NEXT) | instid1(VALU_DEP_2)
	v_add_co_u32 v13, vcc_lo, s28, v13
	v_add_co_ci_u32_e32 v14, vcc_lo, s29, v14, vcc_lo
	global_load_b64 v[15:16], v[13:14], off
	s_waitcnt vmcnt(0)
	v_mul_f32_e64 v13, v16, -s3
	s_delay_alu instid0(VALU_DEP_1) | instskip(NEXT) | instid1(VALU_DEP_1)
	v_dual_mul_f32 v14, s13, v16 :: v_dual_fmac_f32 v13, s13, v15
	v_fmac_f32_e32 v14, s3, v15
	s_branch .LBB235_20
.LBB235_19:                             ;   in Loop: Header=BB235_20 Depth=2
	s_or_b32 exec_lo, exec_lo, s41
	v_add_co_u32 v5, vcc_lo, v5, 64
	v_add_co_ci_u32_e32 v6, vcc_lo, 0, v6, vcc_lo
	s_delay_alu instid0(VALU_DEP_1) | instskip(SKIP_1) | instid1(SALU_CYCLE_1)
	v_cmp_ge_i64_e32 vcc_lo, v[5:6], v[3:4]
	s_or_b32 s25, vcc_lo, s25
	s_and_not1_b32 exec_lo, exec_lo, s25
	s_cbranch_execz .LBB235_16
.LBB235_20:                             ;   Parent Loop BB235_17 Depth=1
                                        ; =>  This Loop Header: Depth=2
                                        ;       Child Loop BB235_22 Depth 3
	v_lshlrev_b64 v[15:16], 2, v[5:6]
	v_lshlrev_b64 v[17:18], 3, v[5:6]
	s_mov_b32 s41, 0
	s_delay_alu instid0(VALU_DEP_2) | instskip(NEXT) | instid1(VALU_DEP_3)
	v_add_co_u32 v15, vcc_lo, s4, v15
	v_add_co_ci_u32_e32 v16, vcc_lo, s5, v16, vcc_lo
	global_load_b32 v20, v[15:16], off
	v_add_co_u32 v15, vcc_lo, s6, v17
	v_add_co_ci_u32_e32 v16, vcc_lo, s7, v18, vcc_lo
	global_load_b64 v[18:19], v[15:16], off
	s_waitcnt vmcnt(1)
	v_subrev_nc_u32_e32 v15, s37, v20
	s_delay_alu instid0(VALU_DEP_1) | instskip(SKIP_3) | instid1(VALU_DEP_2)
	v_mul_lo_u32 v20, 0x89, v15
	s_waitcnt vmcnt(0)
	v_mul_f32_e64 v16, v19, -v14
	v_mul_f32_e32 v17, v13, v19
	v_fmac_f32_e32 v16, v13, v18
	s_delay_alu instid0(VALU_DEP_2)
	v_dual_fmac_f32 v17, v14, v18 :: v_dual_and_b32 v18, 0x7fff, v20
	s_branch .LBB235_22
.LBB235_21:                             ;   in Loop: Header=BB235_22 Depth=3
	s_or_b32 exec_lo, exec_lo, s42
	s_xor_b32 s42, s43, -1
	s_delay_alu instid0(SALU_CYCLE_1) | instskip(NEXT) | instid1(SALU_CYCLE_1)
	s_and_b32 s42, exec_lo, s42
	s_or_b32 s41, s42, s41
	s_delay_alu instid0(SALU_CYCLE_1)
	s_and_not1_b32 exec_lo, exec_lo, s41
	s_cbranch_execz .LBB235_19
.LBB235_22:                             ;   Parent Loop BB235_17 Depth=1
                                        ;     Parent Loop BB235_20 Depth=2
                                        ; =>    This Inner Loop Header: Depth=3
	s_delay_alu instid0(VALU_DEP_1)
	v_lshl_add_u32 v19, v18, 2, 0
	s_mov_b32 s42, exec_lo
                                        ; implicit-def: $sgpr43
	ds_load_b32 v20, v19
	s_waitcnt lgkmcnt(0)
	v_cmpx_ne_u32_e64 v20, v15
	s_xor_b32 s42, exec_lo, s42
	s_cbranch_execz .LBB235_30
; %bb.23:                               ;   in Loop: Header=BB235_22 Depth=3
	s_mov_b32 s44, exec_lo
                                        ; implicit-def: $sgpr43
	v_cmpx_ne_u32_e64 s33, v20
	s_xor_b32 s44, exec_lo, s44
; %bb.24:                               ;   in Loop: Header=BB235_22 Depth=3
	v_add_nc_u32_e32 v18, 1, v18
	s_mov_b32 s43, -1
                                        ; implicit-def: $vgpr19
	s_delay_alu instid0(VALU_DEP_1)
	v_and_b32_e32 v18, 0x7fff, v18
; %bb.25:                               ;   in Loop: Header=BB235_22 Depth=3
	s_and_not1_saveexec_b32 s44, s44
	s_cbranch_execz .LBB235_29
; %bb.26:                               ;   in Loop: Header=BB235_22 Depth=3
	v_mov_b32_e32 v20, s33
	s_mov_b32 s46, -1
	s_mov_b32 s45, exec_lo
	ds_cmpstore_rtn_b32 v19, v19, v15, v20
	s_waitcnt lgkmcnt(0)
	v_cmpx_eq_u32_e64 s33, v19
	s_cbranch_execz .LBB235_28
; %bb.27:                               ;   in Loop: Header=BB235_22 Depth=3
	v_lshlrev_b32_e32 v19, 3, v18
	s_xor_b32 s46, exec_lo, -1
	s_delay_alu instid0(VALU_DEP_1)
	v_add3_u32 v19, 0, v19, 0x20000
	ds_add_f32 v19, v16
	ds_add_f32 v19, v17 offset:4
.LBB235_28:                             ;   in Loop: Header=BB235_22 Depth=3
	s_or_b32 exec_lo, exec_lo, s45
	s_delay_alu instid0(SALU_CYCLE_1) | instskip(SKIP_1) | instid1(SALU_CYCLE_1)
	s_and_not1_b32 s43, s43, exec_lo
	s_and_b32 s45, s46, exec_lo
	s_or_b32 s43, s43, s45
.LBB235_29:                             ;   in Loop: Header=BB235_22 Depth=3
	s_or_b32 exec_lo, exec_lo, s44
	s_delay_alu instid0(SALU_CYCLE_1)
	s_and_b32 s43, s43, exec_lo
.LBB235_30:                             ;   in Loop: Header=BB235_22 Depth=3
	s_and_not1_saveexec_b32 s42, s42
	s_cbranch_execz .LBB235_21
; %bb.31:                               ;   in Loop: Header=BB235_22 Depth=3
	v_lshlrev_b32_e32 v19, 3, v18
	s_and_not1_b32 s43, s43, exec_lo
	s_delay_alu instid0(VALU_DEP_1)
	v_add3_u32 v19, 0, v19, 0x20000
	ds_add_f32 v19, v16
	ds_add_f32 v19, v17 offset:4
	s_branch .LBB235_21
.LBB235_32:
	s_or_b32 exec_lo, exec_lo, s8
.LBB235_33:
	s_delay_alu instid0(SALU_CYCLE_1)
	s_and_not1_b32 vcc_lo, exec_lo, s14
	s_cbranch_vccnz .LBB235_36
; %bb.34:
	s_waitcnt lgkmcnt(0)
	s_ashr_i32 s41, s40, 31
	s_mov_b32 s3, exec_lo
	s_lshl_b64 s[0:1], s[40:41], 3
	s_delay_alu instid0(SALU_CYCLE_1) | instskip(SKIP_3) | instid1(VALU_DEP_1)
	s_add_u32 s0, s10, s0
	s_addc_u32 s1, s11, s1
	s_load_b128 s[4:7], s[0:1], 0x0
	v_sub_co_u32 v1, s0, v0, s39
	v_sub_co_ci_u32_e64 v2, null, 0, 0, s0
	s_waitcnt lgkmcnt(0)
	s_delay_alu instid0(VALU_DEP_2) | instskip(NEXT) | instid1(VALU_DEP_2)
	v_add_co_u32 v1, vcc_lo, s4, v1
	v_add_co_ci_u32_e32 v2, vcc_lo, s5, v2, vcc_lo
	s_sub_u32 s0, s6, s39
	s_subb_u32 s1, s7, 0
	s_mov_b32 s4, 0
	s_delay_alu instid0(VALU_DEP_1)
	v_cmpx_gt_i64_e64 s[0:1], v[1:2]
	s_cbranch_execnz .LBB235_73
.LBB235_35:
	s_or_b32 exec_lo, exec_lo, s3
.LBB235_36:
	v_mbcnt_lo_u32_b32 v1, -1, 0
	s_add_i32 s36, 0, 0x6003c
	v_lshlrev_b32_e32 v2, 2, v10
	v_add3_u32 v5, v9, 0, 0x20000
	v_mov_b32_e32 v9, s36
	v_xor_b32_e32 v1, 63, v1
	v_cmp_eq_u32_e32 vcc_lo, 0x3ff, v0
	v_add3_u32 v4, 0, 0x60000, v2
	v_cmp_lt_u32_e64 s0, 63, v0
	v_cmp_lt_u32_e64 s1, 0x7f, v0
	v_lshrrev_b64 v[1:2], v1, -1
	v_cmp_lt_u32_e64 s2, 0xbf, v0
	v_cmp_lt_u32_e64 s3, 0xff, v0
	;; [unrolled: 1-line block ×13, first 2 shown]
	v_mov_b32_e32 v6, 0
	s_mov_b32 s16, 0
	s_add_i32 s17, 0, 0x60000
	s_add_i32 s18, 0, 0x60004
	;; [unrolled: 1-line block ×15, first 2 shown]
	s_waitcnt lgkmcnt(0)
	s_barrier
	buffer_gl0_inv
	s_branch .LBB235_38
.LBB235_37:                             ;   in Loop: Header=BB235_38 Depth=1
	s_or_b32 exec_lo, exec_lo, s15
	s_waitcnt lgkmcnt(0)
	s_barrier
	buffer_gl0_inv
	ds_load_b32 v2, v9
	v_add_nc_u32_e32 v8, 0x400, v8
	v_add_nc_u32_e32 v5, 0x2000, v5
	v_add_nc_u32_e32 v7, 0x1000, v7
	s_delay_alu instid0(VALU_DEP_3) | instskip(NEXT) | instid1(VALU_DEP_1)
	v_cmp_lt_u32_e64 s15, 0x7bff, v8
	s_or_b32 s16, s15, s16
	s_waitcnt lgkmcnt(0)
	v_add_nc_u32_e32 v6, v2, v6
	s_and_not1_b32 exec_lo, exec_lo, s16
	s_cbranch_execz .LBB235_85
.LBB235_38:                             ; =>This Inner Loop Header: Depth=1
	ds_load_b32 v10, v7
	ds_load_2addr_b32 v[2:3], v5 offset1:1
	s_waitcnt lgkmcnt(0)
	s_barrier
	buffer_gl0_inv
	v_cmp_gt_i32_e64 s15, s33, v10
	s_delay_alu instid0(VALU_DEP_1) | instskip(NEXT) | instid1(SALU_CYCLE_1)
	s_bcnt1_i32_b32 s43, s15
	v_dual_mov_b32 v12, s43 :: v_dual_and_b32 v11, s15, v1
	s_delay_alu instid0(VALU_DEP_1)
	v_bcnt_u32_b32 v11, v11, 0
	ds_store_b32 v4, v12
	s_waitcnt lgkmcnt(0)
	s_barrier
	buffer_gl0_inv
	s_and_saveexec_b32 s43, s0
	s_cbranch_execnz .LBB235_55
; %bb.39:                               ;   in Loop: Header=BB235_38 Depth=1
	s_or_b32 exec_lo, exec_lo, s43
	s_and_saveexec_b32 s43, s1
	s_cbranch_execnz .LBB235_56
.LBB235_40:                             ;   in Loop: Header=BB235_38 Depth=1
	s_or_b32 exec_lo, exec_lo, s43
	s_and_saveexec_b32 s43, s2
	s_cbranch_execnz .LBB235_57
.LBB235_41:                             ;   in Loop: Header=BB235_38 Depth=1
	s_or_b32 exec_lo, exec_lo, s43
	s_and_saveexec_b32 s43, s3
	s_cbranch_execnz .LBB235_58
.LBB235_42:                             ;   in Loop: Header=BB235_38 Depth=1
	s_or_b32 exec_lo, exec_lo, s43
	s_and_saveexec_b32 s43, s4
	s_cbranch_execnz .LBB235_59
.LBB235_43:                             ;   in Loop: Header=BB235_38 Depth=1
	s_or_b32 exec_lo, exec_lo, s43
	s_and_saveexec_b32 s43, s5
	s_cbranch_execnz .LBB235_60
.LBB235_44:                             ;   in Loop: Header=BB235_38 Depth=1
	s_or_b32 exec_lo, exec_lo, s43
	s_and_saveexec_b32 s43, s6
	s_cbranch_execnz .LBB235_61
.LBB235_45:                             ;   in Loop: Header=BB235_38 Depth=1
	s_or_b32 exec_lo, exec_lo, s43
	s_and_saveexec_b32 s43, s7
	s_cbranch_execnz .LBB235_62
.LBB235_46:                             ;   in Loop: Header=BB235_38 Depth=1
	s_or_b32 exec_lo, exec_lo, s43
	s_and_saveexec_b32 s43, s8
	s_cbranch_execnz .LBB235_63
.LBB235_47:                             ;   in Loop: Header=BB235_38 Depth=1
	s_or_b32 exec_lo, exec_lo, s43
	s_and_saveexec_b32 s43, s9
	s_cbranch_execnz .LBB235_64
.LBB235_48:                             ;   in Loop: Header=BB235_38 Depth=1
	s_or_b32 exec_lo, exec_lo, s43
	s_and_saveexec_b32 s43, s10
	s_cbranch_execnz .LBB235_65
.LBB235_49:                             ;   in Loop: Header=BB235_38 Depth=1
	s_or_b32 exec_lo, exec_lo, s43
	s_and_saveexec_b32 s43, s11
	s_cbranch_execnz .LBB235_66
.LBB235_50:                             ;   in Loop: Header=BB235_38 Depth=1
	s_or_b32 exec_lo, exec_lo, s43
	s_and_saveexec_b32 s43, s12
	s_cbranch_execnz .LBB235_67
.LBB235_51:                             ;   in Loop: Header=BB235_38 Depth=1
	s_or_b32 exec_lo, exec_lo, s43
	s_and_saveexec_b32 s43, s13
	s_cbranch_execnz .LBB235_68
.LBB235_52:                             ;   in Loop: Header=BB235_38 Depth=1
	s_or_b32 exec_lo, exec_lo, s43
	s_and_saveexec_b32 s43, s14
	s_cbranch_execnz .LBB235_69
.LBB235_53:                             ;   in Loop: Header=BB235_38 Depth=1
	s_or_b32 exec_lo, exec_lo, s43
	s_and_saveexec_b32 s43, s15
	s_cbranch_execnz .LBB235_70
.LBB235_54:                             ;   in Loop: Header=BB235_38 Depth=1
	s_or_b32 exec_lo, exec_lo, s43
	s_and_saveexec_b32 s15, vcc_lo
	s_cbranch_execz .LBB235_37
	s_branch .LBB235_71
.LBB235_55:                             ;   in Loop: Header=BB235_38 Depth=1
	v_mov_b32_e32 v12, s17
	ds_load_b32 v12, v12
	s_waitcnt lgkmcnt(0)
	v_add_nc_u32_e32 v11, v12, v11
	s_or_b32 exec_lo, exec_lo, s43
	s_and_saveexec_b32 s43, s1
	s_cbranch_execz .LBB235_40
.LBB235_56:                             ;   in Loop: Header=BB235_38 Depth=1
	v_mov_b32_e32 v12, s18
	ds_load_b32 v12, v12
	s_waitcnt lgkmcnt(0)
	v_add_nc_u32_e32 v11, v12, v11
	s_or_b32 exec_lo, exec_lo, s43
	s_and_saveexec_b32 s43, s2
	s_cbranch_execz .LBB235_41
.LBB235_57:                             ;   in Loop: Header=BB235_38 Depth=1
	v_mov_b32_e32 v12, s19
	ds_load_b32 v12, v12
	s_waitcnt lgkmcnt(0)
	v_add_nc_u32_e32 v11, v12, v11
	s_or_b32 exec_lo, exec_lo, s43
	s_and_saveexec_b32 s43, s3
	s_cbranch_execz .LBB235_42
.LBB235_58:                             ;   in Loop: Header=BB235_38 Depth=1
	v_mov_b32_e32 v12, s24
	ds_load_b32 v12, v12
	s_waitcnt lgkmcnt(0)
	v_add_nc_u32_e32 v11, v12, v11
	s_or_b32 exec_lo, exec_lo, s43
	s_and_saveexec_b32 s43, s4
	s_cbranch_execz .LBB235_43
.LBB235_59:                             ;   in Loop: Header=BB235_38 Depth=1
	v_mov_b32_e32 v12, s25
	ds_load_b32 v12, v12
	s_waitcnt lgkmcnt(0)
	v_add_nc_u32_e32 v11, v12, v11
	s_or_b32 exec_lo, exec_lo, s43
	s_and_saveexec_b32 s43, s5
	s_cbranch_execz .LBB235_44
.LBB235_60:                             ;   in Loop: Header=BB235_38 Depth=1
	v_mov_b32_e32 v12, s26
	ds_load_b32 v12, v12
	s_waitcnt lgkmcnt(0)
	v_add_nc_u32_e32 v11, v12, v11
	s_or_b32 exec_lo, exec_lo, s43
	s_and_saveexec_b32 s43, s6
	s_cbranch_execz .LBB235_45
.LBB235_61:                             ;   in Loop: Header=BB235_38 Depth=1
	v_mov_b32_e32 v12, s27
	ds_load_b32 v12, v12
	s_waitcnt lgkmcnt(0)
	v_add_nc_u32_e32 v11, v12, v11
	s_or_b32 exec_lo, exec_lo, s43
	s_and_saveexec_b32 s43, s7
	s_cbranch_execz .LBB235_46
.LBB235_62:                             ;   in Loop: Header=BB235_38 Depth=1
	v_mov_b32_e32 v12, s28
	ds_load_b32 v12, v12
	s_waitcnt lgkmcnt(0)
	v_add_nc_u32_e32 v11, v12, v11
	s_or_b32 exec_lo, exec_lo, s43
	s_and_saveexec_b32 s43, s8
	s_cbranch_execz .LBB235_47
.LBB235_63:                             ;   in Loop: Header=BB235_38 Depth=1
	v_mov_b32_e32 v12, s29
	ds_load_b32 v12, v12
	s_waitcnt lgkmcnt(0)
	v_add_nc_u32_e32 v11, v12, v11
	s_or_b32 exec_lo, exec_lo, s43
	s_and_saveexec_b32 s43, s9
	s_cbranch_execz .LBB235_48
.LBB235_64:                             ;   in Loop: Header=BB235_38 Depth=1
	v_mov_b32_e32 v12, s30
	ds_load_b32 v12, v12
	s_waitcnt lgkmcnt(0)
	v_add_nc_u32_e32 v11, v12, v11
	s_or_b32 exec_lo, exec_lo, s43
	s_and_saveexec_b32 s43, s10
	s_cbranch_execz .LBB235_49
.LBB235_65:                             ;   in Loop: Header=BB235_38 Depth=1
	v_mov_b32_e32 v12, s31
	ds_load_b32 v12, v12
	s_waitcnt lgkmcnt(0)
	v_add_nc_u32_e32 v11, v12, v11
	s_or_b32 exec_lo, exec_lo, s43
	s_and_saveexec_b32 s43, s11
	s_cbranch_execz .LBB235_50
.LBB235_66:                             ;   in Loop: Header=BB235_38 Depth=1
	v_mov_b32_e32 v12, s37
	ds_load_b32 v12, v12
	s_waitcnt lgkmcnt(0)
	v_add_nc_u32_e32 v11, v12, v11
	s_or_b32 exec_lo, exec_lo, s43
	s_and_saveexec_b32 s43, s12
	s_cbranch_execz .LBB235_51
.LBB235_67:                             ;   in Loop: Header=BB235_38 Depth=1
	v_mov_b32_e32 v12, s39
	ds_load_b32 v12, v12
	s_waitcnt lgkmcnt(0)
	v_add_nc_u32_e32 v11, v12, v11
	s_or_b32 exec_lo, exec_lo, s43
	s_and_saveexec_b32 s43, s13
	s_cbranch_execz .LBB235_52
.LBB235_68:                             ;   in Loop: Header=BB235_38 Depth=1
	v_mov_b32_e32 v12, s41
	ds_load_b32 v12, v12
	s_waitcnt lgkmcnt(0)
	v_add_nc_u32_e32 v11, v12, v11
	s_or_b32 exec_lo, exec_lo, s43
	s_and_saveexec_b32 s43, s14
	s_cbranch_execz .LBB235_53
.LBB235_69:                             ;   in Loop: Header=BB235_38 Depth=1
	v_mov_b32_e32 v12, s42
	ds_load_b32 v12, v12
	s_waitcnt lgkmcnt(0)
	v_add_nc_u32_e32 v11, v12, v11
	s_or_b32 exec_lo, exec_lo, s43
	s_and_saveexec_b32 s43, s15
	s_cbranch_execz .LBB235_54
.LBB235_70:                             ;   in Loop: Header=BB235_38 Depth=1
	s_delay_alu instid0(VALU_DEP_1) | instskip(NEXT) | instid1(VALU_DEP_1)
	v_add3_u32 v12, v6, -1, v11
	v_lshlrev_b32_e32 v13, 3, v12
	v_lshl_add_u32 v12, v12, 2, 0
	s_delay_alu instid0(VALU_DEP_2)
	v_add3_u32 v13, 0, v13, 0x20000
	ds_store_b32 v12, v10
	ds_store_2addr_b32 v13, v2, v3 offset1:1
	s_or_b32 exec_lo, exec_lo, s43
	s_and_saveexec_b32 s15, vcc_lo
	s_cbranch_execz .LBB235_37
.LBB235_71:                             ;   in Loop: Header=BB235_38 Depth=1
	v_mov_b32_e32 v2, s36
	ds_store_b32 v2, v11
	s_branch .LBB235_37
.LBB235_72:                             ;   in Loop: Header=BB235_73 Depth=1
	s_or_b32 exec_lo, exec_lo, s5
	v_add_co_u32 v1, vcc_lo, 0x400, v1
	v_add_co_ci_u32_e32 v2, vcc_lo, 0, v2, vcc_lo
	s_delay_alu instid0(VALU_DEP_1) | instskip(SKIP_1) | instid1(SALU_CYCLE_1)
	v_cmp_le_i64_e32 vcc_lo, s[0:1], v[1:2]
	s_or_b32 s4, vcc_lo, s4
	s_and_not1_b32 exec_lo, exec_lo, s4
	s_cbranch_execz .LBB235_35
.LBB235_73:                             ; =>This Loop Header: Depth=1
                                        ;     Child Loop BB235_75 Depth 2
	v_lshlrev_b64 v[3:4], 2, v[1:2]
	v_lshlrev_b64 v[5:6], 3, v[1:2]
	s_mov_b32 s5, 0
	s_delay_alu instid0(VALU_DEP_2) | instskip(NEXT) | instid1(VALU_DEP_3)
	v_add_co_u32 v3, vcc_lo, s16, v3
	v_add_co_ci_u32_e32 v4, vcc_lo, s17, v4, vcc_lo
	global_load_b32 v13, v[3:4], off
	v_add_co_u32 v3, vcc_lo, s18, v5
	v_add_co_ci_u32_e32 v4, vcc_lo, s19, v6, vcc_lo
	global_load_b64 v[11:12], v[3:4], off
	s_waitcnt vmcnt(1)
	v_subrev_nc_u32_e32 v3, s39, v13
	s_delay_alu instid0(VALU_DEP_1) | instskip(SKIP_2) | instid1(VALU_DEP_1)
	v_mul_lo_u32 v6, 0x89, v3
	s_waitcnt vmcnt(0)
	v_mul_f32_e64 v4, v12, -s12
	v_dual_mul_f32 v5, s2, v12 :: v_dual_fmac_f32 v4, s2, v11
	s_delay_alu instid0(VALU_DEP_1)
	v_dual_fmac_f32 v5, s12, v11 :: v_dual_and_b32 v6, 0x7fff, v6
	s_branch .LBB235_75
.LBB235_74:                             ;   in Loop: Header=BB235_75 Depth=2
	s_or_b32 exec_lo, exec_lo, s6
	s_xor_b32 s6, s7, -1
	s_delay_alu instid0(SALU_CYCLE_1) | instskip(NEXT) | instid1(SALU_CYCLE_1)
	s_and_b32 s6, exec_lo, s6
	s_or_b32 s5, s6, s5
	s_delay_alu instid0(SALU_CYCLE_1)
	s_and_not1_b32 exec_lo, exec_lo, s5
	s_cbranch_execz .LBB235_72
.LBB235_75:                             ;   Parent Loop BB235_73 Depth=1
                                        ; =>  This Inner Loop Header: Depth=2
	s_delay_alu instid0(VALU_DEP_1)
	v_lshl_add_u32 v11, v6, 2, 0
	s_mov_b32 s6, exec_lo
                                        ; implicit-def: $sgpr7
	ds_load_b32 v12, v11
	s_waitcnt lgkmcnt(0)
	v_cmpx_ne_u32_e64 v12, v3
	s_xor_b32 s6, exec_lo, s6
	s_cbranch_execz .LBB235_83
; %bb.76:                               ;   in Loop: Header=BB235_75 Depth=2
	s_mov_b32 s8, exec_lo
                                        ; implicit-def: $sgpr7
	v_cmpx_ne_u32_e64 s33, v12
	s_xor_b32 s8, exec_lo, s8
; %bb.77:                               ;   in Loop: Header=BB235_75 Depth=2
	v_add_nc_u32_e32 v6, 1, v6
	s_mov_b32 s7, -1
                                        ; implicit-def: $vgpr11
	s_delay_alu instid0(VALU_DEP_1)
	v_and_b32_e32 v6, 0x7fff, v6
; %bb.78:                               ;   in Loop: Header=BB235_75 Depth=2
	s_and_not1_saveexec_b32 s8, s8
	s_cbranch_execz .LBB235_82
; %bb.79:                               ;   in Loop: Header=BB235_75 Depth=2
	v_mov_b32_e32 v12, s33
	s_mov_b32 s10, -1
	s_mov_b32 s9, exec_lo
	ds_cmpstore_rtn_b32 v11, v11, v3, v12
	s_waitcnt lgkmcnt(0)
	v_cmpx_eq_u32_e64 s33, v11
	s_cbranch_execz .LBB235_81
; %bb.80:                               ;   in Loop: Header=BB235_75 Depth=2
	v_lshlrev_b32_e32 v11, 3, v6
	s_xor_b32 s10, exec_lo, -1
	s_delay_alu instid0(VALU_DEP_1)
	v_add3_u32 v11, 0, v11, 0x20000
	ds_add_f32 v11, v4
	ds_add_f32 v11, v5 offset:4
.LBB235_81:                             ;   in Loop: Header=BB235_75 Depth=2
	s_or_b32 exec_lo, exec_lo, s9
	s_delay_alu instid0(SALU_CYCLE_1) | instskip(SKIP_1) | instid1(SALU_CYCLE_1)
	s_and_not1_b32 s7, s7, exec_lo
	s_and_b32 s9, s10, exec_lo
	s_or_b32 s7, s7, s9
.LBB235_82:                             ;   in Loop: Header=BB235_75 Depth=2
	s_or_b32 exec_lo, exec_lo, s8
	s_delay_alu instid0(SALU_CYCLE_1)
	s_and_b32 s7, s7, exec_lo
.LBB235_83:                             ;   in Loop: Header=BB235_75 Depth=2
	s_and_not1_saveexec_b32 s6, s6
	s_cbranch_execz .LBB235_74
; %bb.84:                               ;   in Loop: Header=BB235_75 Depth=2
	v_lshlrev_b32_e32 v11, 3, v6
	s_and_not1_b32 s7, s7, exec_lo
	s_delay_alu instid0(VALU_DEP_1)
	v_add3_u32 v11, 0, v11, 0x20000
	ds_add_f32 v11, v4
	ds_add_f32 v11, v5 offset:4
	s_branch .LBB235_74
.LBB235_85:
	s_or_b32 exec_lo, exec_lo, s16
	s_ashr_i32 s41, s40, 31
	s_mov_b32 s4, exec_lo
	s_lshl_b64 s[0:1], s[40:41], 3
	s_delay_alu instid0(SALU_CYCLE_1) | instskip(SKIP_4) | instid1(SALU_CYCLE_1)
	s_add_u32 s0, s20, s0
	s_addc_u32 s1, s21, s1
	s_load_b128 s[0:3], s[0:1], 0x0
	s_waitcnt lgkmcnt(0)
	s_sub_i32 s3, s2, s0
	v_cmpx_gt_i32_e64 s3, v0
	s_cbranch_execz .LBB235_95
; %bb.86:
	s_sub_u32 s4, s0, s38
	s_subb_u32 s5, s1, 0
	s_sub_i32 s0, s0, s2
	s_and_b32 s1, s3, 7
	s_cmp_lt_u32 s0, -7
	s_mov_b32 s8, 0
	s_cselect_b32 s2, -1, 0
	s_and_b32 s6, s3, -8
	s_cmp_lg_u32 s1, 0
	s_cselect_b32 s7, -1, 0
	s_branch .LBB235_88
.LBB235_87:                             ;   in Loop: Header=BB235_88 Depth=1
	s_delay_alu instid0(VALU_DEP_1) | instskip(SKIP_4) | instid1(VALU_DEP_4)
	v_lshlrev_b64 v[6:7], 2, v[3:4]
	v_lshlrev_b64 v[3:4], 3, v[3:4]
	v_add_nc_u32_e32 v0, 0x400, v0
	s_waitcnt lgkmcnt(1)
	v_add_nc_u32_e32 v8, s38, v5
	v_add_co_u32 v5, vcc_lo, s22, v6
	v_add_co_ci_u32_e32 v6, vcc_lo, s23, v7, vcc_lo
	v_cmp_le_i32_e32 vcc_lo, s3, v0
	v_add_co_u32 v3, s0, s34, v3
	s_delay_alu instid0(VALU_DEP_1)
	v_add_co_ci_u32_e64 v4, s0, s35, v4, s0
	s_or_b32 s8, vcc_lo, s8
	global_store_b32 v[5:6], v8, off
	s_waitcnt lgkmcnt(0)
	global_store_b64 v[3:4], v[1:2], off
	s_and_not1_b32 exec_lo, exec_lo, s8
	s_cbranch_execz .LBB235_95
.LBB235_88:                             ; =>This Loop Header: Depth=1
                                        ;     Child Loop BB235_90 Depth 2
                                        ;     Child Loop BB235_94 Depth 2
	v_lshlrev_b32_e32 v1, 3, v0
	v_lshl_add_u32 v2, v0, 2, 0
	v_dual_mov_b32 v3, s4 :: v_dual_mov_b32 v4, s5
	s_and_not1_b32 vcc_lo, exec_lo, s2
	s_delay_alu instid0(VALU_DEP_3)
	v_add3_u32 v1, 0, v1, 0x20000
	s_mov_b32 s0, 0
	ds_load_b32 v5, v2
	ds_load_2addr_b32 v[1:2], v1 offset1:1
	s_cbranch_vccnz .LBB235_92
; %bb.89:                               ;   in Loop: Header=BB235_88 Depth=1
	v_dual_mov_b32 v3, s4 :: v_dual_mov_b32 v4, s5
	s_mov_b32 s9, 0
	s_mov_b32 s10, 0
.LBB235_90:                             ;   Parent Loop BB235_88 Depth=1
                                        ; =>  This Inner Loop Header: Depth=2
	s_delay_alu instid0(SALU_CYCLE_1)
	v_mov_b32_e32 v12, s10
	s_add_i32 s9, s9, 8
	s_add_i32 s10, s10, 32
	s_cmp_eq_u32 s6, s9
	ds_load_2addr_b32 v[6:7], v12 offset1:1
	ds_load_2addr_b32 v[8:9], v12 offset0:2 offset1:3
	ds_load_2addr_b32 v[10:11], v12 offset0:4 offset1:5
	;; [unrolled: 1-line block ×3, first 2 shown]
	s_waitcnt lgkmcnt(3)
	v_cmp_gt_i32_e32 vcc_lo, v5, v6
	v_cndmask_b32_e64 v6, 0, 1, vcc_lo
	v_cmp_gt_i32_e32 vcc_lo, v5, v7
	v_cndmask_b32_e64 v7, 0, 1, vcc_lo
	s_waitcnt lgkmcnt(2)
	v_cmp_gt_i32_e32 vcc_lo, v5, v8
	v_cndmask_b32_e64 v8, 0, 1, vcc_lo
	v_cmp_gt_i32_e32 vcc_lo, v5, v9
	v_cndmask_b32_e64 v9, 0, 1, vcc_lo
	s_waitcnt lgkmcnt(1)
	v_cmp_gt_i32_e32 vcc_lo, v5, v10
	v_cndmask_b32_e64 v10, 0, 1, vcc_lo
	v_add_co_u32 v3, vcc_lo, v3, v6
	v_add_co_ci_u32_e32 v4, vcc_lo, 0, v4, vcc_lo
	v_cmp_gt_i32_e32 vcc_lo, v5, v11
	s_delay_alu instid0(VALU_DEP_3) | instskip(NEXT) | instid1(VALU_DEP_1)
	v_add_co_u32 v3, s0, v3, v7
	v_add_co_ci_u32_e64 v4, s0, 0, v4, s0
	v_cndmask_b32_e64 v6, 0, 1, vcc_lo
	s_delay_alu instid0(VALU_DEP_3) | instskip(NEXT) | instid1(VALU_DEP_3)
	v_add_co_u32 v3, vcc_lo, v3, v8
	v_add_co_ci_u32_e32 v4, vcc_lo, 0, v4, vcc_lo
	s_waitcnt lgkmcnt(0)
	v_cmp_gt_i32_e32 vcc_lo, v5, v12
	s_delay_alu instid0(VALU_DEP_3) | instskip(NEXT) | instid1(VALU_DEP_1)
	v_add_co_u32 v3, s0, v3, v9
	v_add_co_ci_u32_e64 v4, s0, 0, v4, s0
	v_cndmask_b32_e64 v7, 0, 1, vcc_lo
	s_delay_alu instid0(VALU_DEP_3) | instskip(NEXT) | instid1(VALU_DEP_3)
	v_add_co_u32 v3, vcc_lo, v3, v10
	v_add_co_ci_u32_e32 v4, vcc_lo, 0, v4, vcc_lo
	v_cmp_gt_i32_e32 vcc_lo, v5, v13
	s_delay_alu instid0(VALU_DEP_3) | instskip(NEXT) | instid1(VALU_DEP_1)
	v_add_co_u32 v3, s0, v3, v6
	v_add_co_ci_u32_e64 v4, s0, 0, v4, s0
	v_cndmask_b32_e64 v6, 0, 1, vcc_lo
	s_delay_alu instid0(VALU_DEP_3) | instskip(NEXT) | instid1(VALU_DEP_3)
	v_add_co_u32 v3, vcc_lo, v3, v7
	v_add_co_ci_u32_e32 v4, vcc_lo, 0, v4, vcc_lo
	s_delay_alu instid0(VALU_DEP_2) | instskip(NEXT) | instid1(VALU_DEP_2)
	v_add_co_u32 v3, vcc_lo, v3, v6
	v_add_co_ci_u32_e32 v4, vcc_lo, 0, v4, vcc_lo
	s_cbranch_scc0 .LBB235_90
; %bb.91:                               ;   in Loop: Header=BB235_88 Depth=1
	s_mov_b32 s0, s6
.LBB235_92:                             ;   in Loop: Header=BB235_88 Depth=1
	s_and_not1_b32 vcc_lo, exec_lo, s7
	s_cbranch_vccnz .LBB235_87
; %bb.93:                               ;   in Loop: Header=BB235_88 Depth=1
	s_lshl_b32 s0, s0, 2
	s_mov_b32 s9, s1
	s_add_i32 s0, s0, 0
.LBB235_94:                             ;   Parent Loop BB235_88 Depth=1
                                        ; =>  This Inner Loop Header: Depth=2
	s_delay_alu instid0(SALU_CYCLE_1)
	v_mov_b32_e32 v6, s0
	s_add_i32 s9, s9, -1
	s_add_i32 s0, s0, 4
	s_cmp_lg_u32 s9, 0
	ds_load_b32 v6, v6
	s_waitcnt lgkmcnt(0)
	v_cmp_gt_i32_e32 vcc_lo, v5, v6
	v_cndmask_b32_e64 v6, 0, 1, vcc_lo
	s_delay_alu instid0(VALU_DEP_1)
	v_add_co_u32 v3, vcc_lo, v3, v6
	v_add_co_ci_u32_e32 v4, vcc_lo, 0, v4, vcc_lo
	s_cbranch_scc1 .LBB235_94
	s_branch .LBB235_87
.LBB235_95:
	s_nop 0
	s_sendmsg sendmsg(MSG_DEALLOC_VGPRS)
	s_endpgm
	.section	.rodata,"a",@progbits
	.p2align	6, 0x0
	.amdhsa_kernel _ZN9rocsparseL26csrgemm_fill_block_per_rowILj1024ELj64ELj32768ELj137ELj64Eli21rocsparse_complex_numIfEEEvT5_PKS3_S5_NS_24const_host_device_scalarIT6_EEPKT4_S5_PKS7_SB_S5_SD_S8_SB_S5_SD_SB_PS3_PS7_21rocsparse_index_base_SG_SG_SG_bbb
		.amdhsa_group_segment_fixed_size 0
		.amdhsa_private_segment_fixed_size 0
		.amdhsa_kernarg_size 156
		.amdhsa_user_sgpr_count 15
		.amdhsa_user_sgpr_dispatch_ptr 0
		.amdhsa_user_sgpr_queue_ptr 0
		.amdhsa_user_sgpr_kernarg_segment_ptr 1
		.amdhsa_user_sgpr_dispatch_id 0
		.amdhsa_user_sgpr_private_segment_size 0
		.amdhsa_wavefront_size32 1
		.amdhsa_uses_dynamic_stack 0
		.amdhsa_enable_private_segment 0
		.amdhsa_system_sgpr_workgroup_id_x 1
		.amdhsa_system_sgpr_workgroup_id_y 0
		.amdhsa_system_sgpr_workgroup_id_z 0
		.amdhsa_system_sgpr_workgroup_info 0
		.amdhsa_system_vgpr_workitem_id 0
		.amdhsa_next_free_vgpr 21
		.amdhsa_next_free_sgpr 48
		.amdhsa_reserve_vcc 1
		.amdhsa_float_round_mode_32 0
		.amdhsa_float_round_mode_16_64 0
		.amdhsa_float_denorm_mode_32 3
		.amdhsa_float_denorm_mode_16_64 3
		.amdhsa_dx10_clamp 1
		.amdhsa_ieee_mode 1
		.amdhsa_fp16_overflow 0
		.amdhsa_workgroup_processor_mode 1
		.amdhsa_memory_ordered 1
		.amdhsa_forward_progress 0
		.amdhsa_shared_vgpr_count 0
		.amdhsa_exception_fp_ieee_invalid_op 0
		.amdhsa_exception_fp_denorm_src 0
		.amdhsa_exception_fp_ieee_div_zero 0
		.amdhsa_exception_fp_ieee_overflow 0
		.amdhsa_exception_fp_ieee_underflow 0
		.amdhsa_exception_fp_ieee_inexact 0
		.amdhsa_exception_int_div_zero 0
	.end_amdhsa_kernel
	.section	.text._ZN9rocsparseL26csrgemm_fill_block_per_rowILj1024ELj64ELj32768ELj137ELj64Eli21rocsparse_complex_numIfEEEvT5_PKS3_S5_NS_24const_host_device_scalarIT6_EEPKT4_S5_PKS7_SB_S5_SD_S8_SB_S5_SD_SB_PS3_PS7_21rocsparse_index_base_SG_SG_SG_bbb,"axG",@progbits,_ZN9rocsparseL26csrgemm_fill_block_per_rowILj1024ELj64ELj32768ELj137ELj64Eli21rocsparse_complex_numIfEEEvT5_PKS3_S5_NS_24const_host_device_scalarIT6_EEPKT4_S5_PKS7_SB_S5_SD_S8_SB_S5_SD_SB_PS3_PS7_21rocsparse_index_base_SG_SG_SG_bbb,comdat
.Lfunc_end235:
	.size	_ZN9rocsparseL26csrgemm_fill_block_per_rowILj1024ELj64ELj32768ELj137ELj64Eli21rocsparse_complex_numIfEEEvT5_PKS3_S5_NS_24const_host_device_scalarIT6_EEPKT4_S5_PKS7_SB_S5_SD_S8_SB_S5_SD_SB_PS3_PS7_21rocsparse_index_base_SG_SG_SG_bbb, .Lfunc_end235-_ZN9rocsparseL26csrgemm_fill_block_per_rowILj1024ELj64ELj32768ELj137ELj64Eli21rocsparse_complex_numIfEEEvT5_PKS3_S5_NS_24const_host_device_scalarIT6_EEPKT4_S5_PKS7_SB_S5_SD_S8_SB_S5_SD_SB_PS3_PS7_21rocsparse_index_base_SG_SG_SG_bbb
                                        ; -- End function
	.section	.AMDGPU.csdata,"",@progbits
; Kernel info:
; codeLenInByte = 3864
; NumSgprs: 50
; NumVgprs: 21
; ScratchSize: 0
; MemoryBound: 0
; FloatMode: 240
; IeeeMode: 1
; LDSByteSize: 0 bytes/workgroup (compile time only)
; SGPRBlocks: 6
; VGPRBlocks: 2
; NumSGPRsForWavesPerEU: 50
; NumVGPRsForWavesPerEU: 21
; Occupancy: 16
; WaveLimiterHint : 1
; COMPUTE_PGM_RSRC2:SCRATCH_EN: 0
; COMPUTE_PGM_RSRC2:USER_SGPR: 15
; COMPUTE_PGM_RSRC2:TRAP_HANDLER: 0
; COMPUTE_PGM_RSRC2:TGID_X_EN: 1
; COMPUTE_PGM_RSRC2:TGID_Y_EN: 0
; COMPUTE_PGM_RSRC2:TGID_Z_EN: 0
; COMPUTE_PGM_RSRC2:TIDIG_COMP_CNT: 0
	.section	.text._ZN9rocsparseL36csrgemm_fill_block_per_row_multipassILj512ELj16ELj2048ELj32Eli21rocsparse_complex_numIfEEEvT4_PKS3_S5_NS_24const_host_device_scalarIT5_EEPKT3_S5_PKS7_SB_S5_SD_S8_SB_S5_SD_SB_PS3_PS7_PS9_21rocsparse_index_base_SH_SH_SH_bbb,"axG",@progbits,_ZN9rocsparseL36csrgemm_fill_block_per_row_multipassILj512ELj16ELj2048ELj32Eli21rocsparse_complex_numIfEEEvT4_PKS3_S5_NS_24const_host_device_scalarIT5_EEPKT3_S5_PKS7_SB_S5_SD_S8_SB_S5_SD_SB_PS3_PS7_PS9_21rocsparse_index_base_SH_SH_SH_bbb,comdat
	.globl	_ZN9rocsparseL36csrgemm_fill_block_per_row_multipassILj512ELj16ELj2048ELj32Eli21rocsparse_complex_numIfEEEvT4_PKS3_S5_NS_24const_host_device_scalarIT5_EEPKT3_S5_PKS7_SB_S5_SD_S8_SB_S5_SD_SB_PS3_PS7_PS9_21rocsparse_index_base_SH_SH_SH_bbb ; -- Begin function _ZN9rocsparseL36csrgemm_fill_block_per_row_multipassILj512ELj16ELj2048ELj32Eli21rocsparse_complex_numIfEEEvT4_PKS3_S5_NS_24const_host_device_scalarIT5_EEPKT3_S5_PKS7_SB_S5_SD_S8_SB_S5_SD_SB_PS3_PS7_PS9_21rocsparse_index_base_SH_SH_SH_bbb
	.p2align	8
	.type	_ZN9rocsparseL36csrgemm_fill_block_per_row_multipassILj512ELj16ELj2048ELj32Eli21rocsparse_complex_numIfEEEvT4_PKS3_S5_NS_24const_host_device_scalarIT5_EEPKT3_S5_PKS7_SB_S5_SD_S8_SB_S5_SD_SB_PS3_PS7_PS9_21rocsparse_index_base_SH_SH_SH_bbb,@function
_ZN9rocsparseL36csrgemm_fill_block_per_row_multipassILj512ELj16ELj2048ELj32Eli21rocsparse_complex_numIfEEEvT4_PKS3_S5_NS_24const_host_device_scalarIT5_EEPKT3_S5_PKS7_SB_S5_SD_S8_SB_S5_SD_SB_PS3_PS7_PS9_21rocsparse_index_base_SH_SH_SH_bbb: ; @_ZN9rocsparseL36csrgemm_fill_block_per_row_multipassILj512ELj16ELj2048ELj32Eli21rocsparse_complex_numIfEEEvT4_PKS3_S5_NS_24const_host_device_scalarIT5_EEPKT3_S5_PKS7_SB_S5_SD_S8_SB_S5_SD_SB_PS3_PS7_PS9_21rocsparse_index_base_SH_SH_SH_bbb
; %bb.0:
	s_clause 0x5
	s_load_b32 s3, s[0:1], 0xa0
	s_load_b256 s[20:27], s[0:1], 0x80
	s_load_b256 s[36:43], s[0:1], 0x60
	;; [unrolled: 1-line block ×3, first 2 shown]
	s_load_b128 s[4:7], s[0:1], 0x8
	s_load_b256 s[52:59], s[0:1], 0x20
	s_mov_b32 s29, 0
	s_mov_b32 s33, 0
	s_waitcnt lgkmcnt(0)
	s_bitcmp1_b32 s3, 0
	s_cselect_b32 s8, -1, 0
	s_bitcmp1_b32 s3, 16
	s_cselect_b32 s2, -1, 0
	s_delay_alu instid0(SALU_CYCLE_1)
	s_xor_b32 s2, s2, -1
	s_bitcmp0_b32 s3, 0
	s_cbranch_scc1 .LBB236_5
; %bb.1:
	s_load_b64 s[28:29], s[0:1], 0x18
	s_and_not1_b32 vcc_lo, exec_lo, s2
	s_waitcnt lgkmcnt(0)
	s_mov_b32 s33, s28
	s_cbranch_vccnz .LBB236_3
; %bb.2:
	s_load_b32 s33, s[28:29], 0x0
.LBB236_3:
	s_and_not1_b32 vcc_lo, exec_lo, s2
	s_cbranch_vccnz .LBB236_5
; %bb.4:
	s_load_b32 s29, s[28:29], 0x4
.LBB236_5:
	s_bitcmp1_b32 s3, 8
	s_mov_b32 s61, 0
	s_cselect_b32 s28, -1, 0
	s_bfe_u32 s3, s3, 0x10008
	s_mov_b32 s60, 0
	s_cmp_eq_u32 s3, 0
	s_cbranch_scc1 .LBB236_11
; %bb.6:
	v_cndmask_b32_e64 v1, 0, 1, s2
	s_and_not1_b32 vcc_lo, exec_lo, s2
	s_mov_b32 s60, s48
	s_cbranch_vccnz .LBB236_8
; %bb.7:
	s_load_b32 s60, s[48:49], 0x0
.LBB236_8:
	s_delay_alu instid0(VALU_DEP_1)
	v_cmp_ne_u32_e32 vcc_lo, 1, v1
	s_cbranch_vccnz .LBB236_10
; %bb.9:
	s_load_b32 s49, s[48:49], 0x4
.LBB236_10:
	s_waitcnt lgkmcnt(0)
	s_mov_b32 s61, s49
.LBB236_11:
	s_load_b32 s2, s[4:5], 0x0
	s_mov_b32 s3, 0
	s_mov_b64 s[30:31], 0
	s_waitcnt lgkmcnt(0)
	s_add_i32 s2, s2, s15
	s_delay_alu instid0(SALU_CYCLE_1) | instskip(NEXT) | instid1(SALU_CYCLE_1)
	s_lshl_b64 s[2:3], s[2:3], 2
	s_add_u32 s2, s6, s2
	s_addc_u32 s3, s7, s3
	s_and_not1_b32 vcc_lo, exec_lo, s8
	s_load_b32 s4, s[2:3], 0x0
	s_mov_b64 s[2:3], 0
	s_cbranch_vccz .LBB236_14
; %bb.12:
	s_and_not1_b32 vcc_lo, exec_lo, s8
	s_cbranch_vccz .LBB236_15
.LBB236_13:
	s_load_b32 s48, s[0:1], 0x0
	s_waitcnt lgkmcnt(0)
	s_cmp_lt_i32 s48, 1
	s_cbranch_scc0 .LBB236_16
	s_branch .LBB236_69
.LBB236_14:
	s_waitcnt lgkmcnt(0)
	s_ashr_i32 s5, s4, 31
	s_delay_alu instid0(SALU_CYCLE_1) | instskip(NEXT) | instid1(SALU_CYCLE_1)
	s_lshl_b64 s[2:3], s[4:5], 3
	s_add_u32 s2, s52, s2
	s_addc_u32 s3, s53, s3
	s_load_b64 s[2:3], s[2:3], 0x0
	s_waitcnt lgkmcnt(0)
	s_sub_u32 s2, s2, s24
	s_subb_u32 s3, s3, 0
	s_and_not1_b32 vcc_lo, exec_lo, s8
	s_cbranch_vccnz .LBB236_13
.LBB236_15:
	s_waitcnt lgkmcnt(0)
	s_ashr_i32 s5, s4, 31
	s_delay_alu instid0(SALU_CYCLE_1) | instskip(NEXT) | instid1(SALU_CYCLE_1)
	s_lshl_b64 s[6:7], s[4:5], 3
	s_add_u32 s6, s52, s6
	s_addc_u32 s7, s53, s7
	s_load_b64 s[6:7], s[6:7], 0x8
	s_waitcnt lgkmcnt(0)
	s_sub_u32 s30, s6, s24
	s_subb_u32 s31, s7, 0
	s_load_b32 s48, s[0:1], 0x0
	s_waitcnt lgkmcnt(0)
	s_cmp_lt_i32 s48, 1
	s_cbranch_scc1 .LBB236_69
.LBB236_16:
	s_ashr_i32 s5, s4, 31
	v_lshrrev_b32_e32 v2, 4, v0
	v_mbcnt_lo_u32_b32 v5, -1, 0
	s_lshl_b64 s[4:5], s[4:5], 3
	v_sub_co_u32 v27, s1, v0, s27
	s_add_u32 s6, s40, s4
	s_addc_u32 s7, s41, s5
	v_sub_co_ci_u32_e64 v28, null, 0, 0, s1
	v_add_co_u32 v3, s1, s2, v2
	v_xor_b32_e32 v2, 8, v5
	s_load_b64 s[6:7], s[6:7], 0x0
	v_xor_b32_e32 v6, 4, v5
	v_xor_b32_e32 v7, 2, v5
	v_add_co_ci_u32_e64 v4, null, s3, 0, s1
	v_cmp_gt_i32_e64 s2, 32, v2
	v_dual_mov_b32 v1, 0 :: v_dual_and_b32 v26, 15, v0
	s_delay_alu instid0(VALU_DEP_3) | instskip(SKIP_1) | instid1(VALU_DEP_4)
	v_cmp_gt_i64_e32 vcc_lo, s[30:31], v[3:4]
	v_lshrrev_b32_e32 v8, 3, v0
	v_cndmask_b32_e64 v2, v5, v2, s2
	v_cmp_gt_i32_e64 s2, 32, v6
	v_cmp_eq_u32_e64 s0, 0, v0
	v_cmp_eq_u32_e64 s1, 15, v26
	v_and_b32_e32 v33, 60, v8
	v_dual_mov_b32 v38, 0x800 :: v_dual_lshlrev_b32 v29, 2, v2
	v_xor_b32_e32 v2, 1, v5
	v_cndmask_b32_e64 v6, v5, v6, s2
	v_cmp_gt_i32_e64 s2, 32, v7
	s_waitcnt lgkmcnt(0)
	s_sub_u32 s18, s6, s26
	s_subb_u32 s19, s7, 0
	s_add_u32 s34, s50, s4
	s_addc_u32 s35, s51, s5
	v_cndmask_b32_e64 v7, v5, v7, s2
	v_cmp_gt_i32_e64 s2, 32, v2
	s_and_b32 s49, s8, vcc_lo
	s_add_u32 s50, s58, 8
	s_addc_u32 s51, s59, 0
	s_add_u32 s42, s42, -4
	v_cndmask_b32_e64 v2, v5, v2, s2
	v_xor_b32_e32 v5, 63, v5
	s_addc_u32 s43, s43, -1
	v_lshlrev_b32_e32 v30, 2, v6
	s_add_u32 s52, s20, -8
	v_lshlrev_b32_e32 v31, 2, v7
	v_lshrrev_b64 v[5:6], v5, -1
	v_mov_b32_e32 v6, s18
	s_addc_u32 s53, s21, -1
	v_dual_mov_b32 v37, v1 :: v_dual_lshlrev_b32 v32, 2, v2
	v_cmp_eq_u32_e64 s2, 0x1ff, v0
	v_cmp_gt_u32_e64 s3, 32, v0
	v_cmp_gt_u32_e64 s4, 64, v0
	v_cmp_gt_u32_e64 s5, 0x60, v0
	v_cmp_gt_u32_e64 s6, 0x80, v0
	v_cmp_gt_u32_e64 s7, 0xa0, v0
	v_cmp_gt_u32_e64 s8, 0xc0, v0
	v_cmp_gt_u32_e64 s9, 0xe0, v0
	v_cmp_gt_u32_e64 s10, 0x100, v0
	v_cmp_gt_u32_e64 s11, 0x120, v0
	v_cmp_gt_u32_e64 s12, 0x140, v0
	v_cmp_gt_u32_e64 s13, 0x160, v0
	v_cmp_gt_u32_e64 s14, 0x180, v0
	v_cmp_gt_u32_e64 s15, 0x1a0, v0
	v_cmp_gt_u32_e64 s16, 0x1c0, v0
	v_cmp_gt_u32_e64 s17, 0x1e0, v0
	v_or_b32_e32 v34, 0xfffffe00, v0
	v_dual_mov_b32 v36, 1 :: v_dual_lshlrev_b32 v35, 3, v0
	s_add_u32 s46, s46, 4
	v_dual_mov_b32 v7, s19 :: v_dual_mov_b32 v2, v1
	s_addc_u32 s47, s47, 0
	s_add_u32 s38, s38, 4
	s_mov_b32 s40, s25
	s_mov_b32 s41, s27
	s_addc_u32 s39, s39, 0
	s_branch .LBB236_18
.LBB236_17:                             ;   in Loop: Header=BB236_18 Depth=1
	s_or_b32 exec_lo, exec_lo, s19
	ds_load_b32 v37, v1 offset:18432
	s_waitcnt lgkmcnt(0)
	s_barrier
	buffer_gl0_inv
	v_cmp_le_i32_e32 vcc_lo, s48, v37
	v_add_nc_u32_e32 v38, 0x800, v37
	s_cbranch_vccnz .LBB236_69
.LBB236_18:                             ; =>This Loop Header: Depth=1
                                        ;     Child Loop BB236_19 Depth 2
                                        ;     Child Loop BB236_25 Depth 2
                                        ;       Child Loop BB236_31 Depth 3
                                        ;     Child Loop BB236_48 Depth 2
                                        ;     Child Loop BB236_60 Depth 2
                                        ;     Child Loop BB236_65 Depth 2
	v_dual_mov_b32 v8, v35 :: v_dual_mov_b32 v9, v34
	s_mov_b32 s18, 0
.LBB236_19:                             ;   Parent Loop BB236_18 Depth=1
                                        ; =>  This Inner Loop Header: Depth=2
	ds_store_b8 v9, v1 offset:16896
	v_add_nc_u32_e32 v9, 0x200, v9
	ds_store_b64 v8, v[1:2]
	v_add_nc_u32_e32 v8, 0x1000, v8
	v_cmp_lt_u32_e32 vcc_lo, 0x5ff, v9
	s_or_b32 s18, vcc_lo, s18
	s_delay_alu instid0(SALU_CYCLE_1)
	s_and_not1_b32 exec_lo, exec_lo, s18
	s_cbranch_execnz .LBB236_19
; %bb.20:                               ;   in Loop: Header=BB236_18 Depth=1
	s_or_b32 exec_lo, exec_lo, s18
	s_and_saveexec_b32 s18, s0
	s_cbranch_execz .LBB236_22
; %bb.21:                               ;   in Loop: Header=BB236_18 Depth=1
	v_mov_b32_e32 v8, s48
	ds_store_b32 v1, v8 offset:18432
.LBB236_22:                             ;   in Loop: Header=BB236_18 Depth=1
	s_or_b32 exec_lo, exec_lo, s18
	v_mov_b32_e32 v39, s48
	s_waitcnt lgkmcnt(0)
	s_barrier
	buffer_gl0_inv
	s_and_saveexec_b32 s21, s49
	s_cbranch_execz .LBB236_44
; %bb.23:                               ;   in Loop: Header=BB236_18 Depth=1
	v_mov_b32_e32 v9, v4
	v_cmp_ne_u32_e64 s18, 0, v37
	v_dual_mov_b32 v39, s48 :: v_dual_mov_b32 v8, v3
	s_mov_b32 s62, 0
	s_branch .LBB236_25
.LBB236_24:                             ;   in Loop: Header=BB236_25 Depth=2
	s_or_b32 exec_lo, exec_lo, s20
	v_add_co_u32 v8, vcc_lo, v8, 32
	v_add_co_ci_u32_e32 v9, vcc_lo, 0, v9, vcc_lo
	s_delay_alu instid0(VALU_DEP_1) | instskip(SKIP_1) | instid1(SALU_CYCLE_1)
	v_cmp_le_i64_e32 vcc_lo, s[30:31], v[8:9]
	s_or_b32 s62, vcc_lo, s62
	s_and_not1_b32 exec_lo, exec_lo, s62
	s_cbranch_execz .LBB236_43
.LBB236_25:                             ;   Parent Loop BB236_18 Depth=1
                                        ; =>  This Loop Header: Depth=2
                                        ;       Child Loop BB236_31 Depth 3
	s_delay_alu instid0(VALU_DEP_1) | instskip(NEXT) | instid1(VALU_DEP_1)
	v_lshlrev_b64 v[10:11], 2, v[8:9]
	v_add_co_u32 v12, vcc_lo, s54, v10
	s_delay_alu instid0(VALU_DEP_2)
	v_add_co_ci_u32_e32 v13, vcc_lo, s55, v11, vcc_lo
	v_lshlrev_b64 v[10:11], 3, v[8:9]
	s_waitcnt lgkmcnt(0)
	global_load_b32 v14, v[12:13], off
	v_add_co_u32 v12, vcc_lo, s56, v10
	v_add_co_ci_u32_e32 v13, vcc_lo, s57, v11, vcc_lo
	s_and_b32 vcc_lo, exec_lo, s18
	global_load_b64 v[16:17], v[12:13], off
	s_waitcnt vmcnt(1)
	v_subrev_nc_u32_e32 v12, s24, v14
	s_delay_alu instid0(VALU_DEP_1)
	v_ashrrev_i32_e32 v13, 31, v12
	s_cbranch_vccz .LBB236_42
; %bb.26:                               ;   in Loop: Header=BB236_25 Depth=2
	v_add_co_u32 v14, vcc_lo, s22, v10
	v_add_co_ci_u32_e32 v15, vcc_lo, s23, v11, vcc_lo
	global_load_b64 v[18:19], v[14:15], off
	s_cbranch_execnz .LBB236_28
.LBB236_27:                             ;   in Loop: Header=BB236_25 Depth=2
	s_delay_alu instid0(VALU_DEP_1) | instskip(NEXT) | instid1(VALU_DEP_1)
	v_lshlrev_b64 v[14:15], 3, v[12:13]
	v_add_co_u32 v14, vcc_lo, s58, v14
	s_delay_alu instid0(VALU_DEP_2)
	v_add_co_ci_u32_e32 v15, vcc_lo, s59, v15, vcc_lo
	global_load_b64 v[14:15], v[14:15], off
	s_waitcnt vmcnt(0)
	v_sub_co_u32 v18, vcc_lo, v14, s40
	v_subrev_co_ci_u32_e32 v19, vcc_lo, 0, v15, vcc_lo
.LBB236_28:                             ;   in Loop: Header=BB236_25 Depth=2
	v_lshlrev_b64 v[12:13], 3, v[12:13]
	s_mov_b32 s63, exec_lo
	s_delay_alu instid0(VALU_DEP_1) | instskip(NEXT) | instid1(VALU_DEP_2)
	v_add_co_u32 v12, vcc_lo, s50, v12
	v_add_co_ci_u32_e32 v13, vcc_lo, s51, v13, vcc_lo
	global_load_b64 v[12:13], v[12:13], off
	s_waitcnt vmcnt(0)
	v_sub_co_u32 v14, vcc_lo, v12, s40
	v_subrev_co_ci_u32_e32 v15, vcc_lo, 0, v13, vcc_lo
	v_add_co_u32 v12, vcc_lo, v18, v26
	v_add_co_ci_u32_e32 v13, vcc_lo, 0, v19, vcc_lo
	s_delay_alu instid0(VALU_DEP_1)
	v_cmpx_lt_i64_e64 v[12:13], v[14:15]
	s_cbranch_execz .LBB236_40
; %bb.29:                               ;   in Loop: Header=BB236_25 Depth=2
	v_mul_f32_e64 v40, v17, -s29
	v_mul_f32_e32 v41, s33, v17
	v_lshlrev_b64 v[17:18], 2, v[12:13]
	v_lshlrev_b64 v[19:20], 3, v[12:13]
	s_mov_b32 s65, 0
	v_fmac_f32_e32 v40, s33, v16
	v_fmac_f32_e32 v41, s29, v16
                                        ; implicit-def: $sgpr64
                                        ; implicit-def: $sgpr66
	s_delay_alu instid0(VALU_DEP_4)
	v_add_co_u32 v16, vcc_lo, s44, v17
	v_add_co_ci_u32_e32 v17, vcc_lo, s45, v18, vcc_lo
	v_add_co_u32 v18, vcc_lo, s46, v19
	v_add_co_ci_u32_e32 v19, vcc_lo, s47, v20, vcc_lo
	v_dual_mov_b32 v21, v13 :: v_dual_mov_b32 v20, v12
	s_branch .LBB236_31
.LBB236_30:                             ;   in Loop: Header=BB236_31 Depth=3
	s_or_b32 exec_lo, exec_lo, s20
	s_delay_alu instid0(SALU_CYCLE_1) | instskip(SKIP_4) | instid1(SALU_CYCLE_1)
	s_and_b32 s19, exec_lo, s67
	v_dual_mov_b32 v20, v22 :: v_dual_mov_b32 v21, v23
	s_or_b32 s65, s19, s65
	s_and_not1_b32 s19, s64, exec_lo
	s_and_b32 s20, s66, exec_lo
	s_or_b32 s64, s19, s20
	s_and_not1_b32 exec_lo, exec_lo, s65
	s_cbranch_execz .LBB236_37
.LBB236_31:                             ;   Parent Loop BB236_18 Depth=1
                                        ;     Parent Loop BB236_25 Depth=2
                                        ; =>    This Inner Loop Header: Depth=3
	global_load_b32 v22, v[16:17], off
	s_waitcnt vmcnt(0)
	v_subrev_nc_u32_e32 v42, s25, v22
	s_delay_alu instid0(VALU_DEP_1) | instskip(SKIP_2) | instid1(VALU_DEP_2)
	v_cmp_lt_i32_e64 s19, v42, v37
	v_cmp_ge_i32_e64 s20, v42, v38
	v_cmp_lt_i32_e32 vcc_lo, v42, v38
	s_or_b32 s67, s19, s20
	s_mov_b32 s19, 0
                                        ; implicit-def: $sgpr20
	s_and_saveexec_b32 s68, s67
	s_delay_alu instid0(SALU_CYCLE_1)
	s_xor_b32 s67, exec_lo, s68
; %bb.32:                               ;   in Loop: Header=BB236_31 Depth=3
	s_mov_b32 s20, -1
	s_and_b32 s19, vcc_lo, exec_lo
; %bb.33:                               ;   in Loop: Header=BB236_31 Depth=3
	s_and_not1_saveexec_b32 s67, s67
	s_cbranch_execz .LBB236_35
; %bb.34:                               ;   in Loop: Header=BB236_31 Depth=3
	global_load_b64 v[22:23], v[18:19], off offset:-4
	v_sub_nc_u32_e32 v24, v42, v37
	s_or_b32 s19, s19, exec_lo
	s_delay_alu instid0(VALU_DEP_1) | instskip(SKIP_4) | instid1(VALU_DEP_2)
	v_lshlrev_b32_e32 v43, 3, v24
	ds_store_b8 v24, v36 offset:16384
	s_waitcnt vmcnt(0)
	v_mul_f32_e64 v25, v23, -v41
	v_mul_f32_e32 v23, v40, v23
	v_fmac_f32_e32 v25, v40, v22
	s_delay_alu instid0(VALU_DEP_2)
	v_fmac_f32_e32 v23, v41, v22
	ds_add_f32 v43, v25
	ds_add_f32 v43, v23 offset:4
.LBB236_35:                             ;   in Loop: Header=BB236_31 Depth=3
	s_or_b32 exec_lo, exec_lo, s67
	v_dual_mov_b32 v25, v21 :: v_dual_mov_b32 v24, v20
	s_and_not1_b32 s66, s66, exec_lo
	s_and_b32 s20, s20, exec_lo
	s_mov_b32 s67, -1
	s_or_b32 s66, s66, s20
                                        ; implicit-def: $vgpr22_vgpr23
	s_and_saveexec_b32 s20, s19
	s_cbranch_execz .LBB236_30
; %bb.36:                               ;   in Loop: Header=BB236_31 Depth=3
	v_add_co_u32 v22, vcc_lo, v20, 16
	v_add_co_ci_u32_e32 v23, vcc_lo, 0, v21, vcc_lo
	v_add_co_u32 v16, vcc_lo, v16, 64
	v_add_co_ci_u32_e32 v17, vcc_lo, 0, v17, vcc_lo
	s_delay_alu instid0(VALU_DEP_3) | instskip(SKIP_1) | instid1(VALU_DEP_1)
	v_cmp_ge_i64_e32 vcc_lo, v[22:23], v[14:15]
	v_add_co_u32 v18, s19, 0x80, v18
	v_add_co_ci_u32_e64 v19, s19, 0, v19, s19
	v_dual_mov_b32 v25, v21 :: v_dual_mov_b32 v24, v20
	s_and_not1_b32 s66, s66, exec_lo
	s_or_not1_b32 s67, vcc_lo, exec_lo
	s_branch .LBB236_30
.LBB236_37:                             ;   in Loop: Header=BB236_25 Depth=2
	s_or_b32 exec_lo, exec_lo, s65
	s_and_saveexec_b32 s19, s64
	s_delay_alu instid0(SALU_CYCLE_1)
	s_xor_b32 s19, exec_lo, s19
; %bb.38:                               ;   in Loop: Header=BB236_25 Depth=2
	v_min_i32_e32 v39, v42, v39
	v_dual_mov_b32 v12, v24 :: v_dual_mov_b32 v13, v25
; %bb.39:                               ;   in Loop: Header=BB236_25 Depth=2
	s_or_b32 exec_lo, exec_lo, s19
.LBB236_40:                             ;   in Loop: Header=BB236_25 Depth=2
	s_delay_alu instid0(SALU_CYCLE_1)
	s_or_b32 exec_lo, exec_lo, s63
	ds_bpermute_b32 v14, v29, v12
	ds_bpermute_b32 v15, v29, v13
	s_waitcnt lgkmcnt(0)
	v_cmp_lt_i64_e32 vcc_lo, v[14:15], v[12:13]
	v_dual_cndmask_b32 v13, v13, v15 :: v_dual_cndmask_b32 v12, v12, v14
	ds_bpermute_b32 v15, v30, v13
	ds_bpermute_b32 v14, v30, v12
	s_waitcnt lgkmcnt(0)
	v_cmp_lt_i64_e32 vcc_lo, v[14:15], v[12:13]
	v_dual_cndmask_b32 v13, v13, v15 :: v_dual_cndmask_b32 v12, v12, v14
	;; [unrolled: 5-line block ×3, first 2 shown]
	ds_bpermute_b32 v15, v32, v13
	ds_bpermute_b32 v14, v32, v12
	s_and_saveexec_b32 s20, s1
	s_cbranch_execz .LBB236_24
; %bb.41:                               ;   in Loop: Header=BB236_25 Depth=2
	s_waitcnt lgkmcnt(0)
	v_cmp_lt_i64_e32 vcc_lo, v[14:15], v[12:13]
	v_add_co_u32 v10, s19, s22, v10
	s_delay_alu instid0(VALU_DEP_1)
	v_add_co_ci_u32_e64 v11, s19, s23, v11, s19
	v_dual_cndmask_b32 v13, v13, v15 :: v_dual_cndmask_b32 v12, v12, v14
	global_store_b64 v[10:11], v[12:13], off
	s_branch .LBB236_24
.LBB236_42:                             ;   in Loop: Header=BB236_25 Depth=2
                                        ; implicit-def: $vgpr18_vgpr19
	s_branch .LBB236_27
.LBB236_43:                             ;   in Loop: Header=BB236_18 Depth=1
	s_or_b32 exec_lo, exec_lo, s62
.LBB236_44:                             ;   in Loop: Header=BB236_18 Depth=1
	s_delay_alu instid0(SALU_CYCLE_1) | instskip(NEXT) | instid1(SALU_CYCLE_1)
	s_or_b32 exec_lo, exec_lo, s21
	s_and_not1_b32 vcc_lo, exec_lo, s28
	s_cbranch_vccnz .LBB236_58
; %bb.45:                               ;   in Loop: Header=BB236_18 Depth=1
	s_load_b128 s[64:67], s[34:35], 0x0
	s_mov_b32 s62, exec_lo
	s_waitcnt lgkmcnt(0)
	v_add_co_u32 v8, vcc_lo, s64, v27
	v_add_co_ci_u32_e32 v9, vcc_lo, s65, v28, vcc_lo
	s_sub_u32 s20, s66, s41
	s_subb_u32 s21, s67, 0
	s_delay_alu instid0(VALU_DEP_1) | instid1(SALU_CYCLE_1)
	v_cmpx_gt_i64_e64 s[20:21], v[8:9]
	s_cbranch_execz .LBB236_57
; %bb.46:                               ;   in Loop: Header=BB236_18 Depth=1
	v_lshlrev_b64 v[10:11], 2, v[8:9]
	v_lshlrev_b64 v[12:13], 3, v[8:9]
	s_mov_b32 s63, 0
                                        ; implicit-def: $sgpr64
                                        ; implicit-def: $sgpr65
	s_delay_alu instid0(VALU_DEP_2) | instskip(NEXT) | instid1(VALU_DEP_3)
	v_add_co_u32 v10, vcc_lo, s36, v10
	v_add_co_ci_u32_e32 v11, vcc_lo, s37, v11, vcc_lo
	s_delay_alu instid0(VALU_DEP_3) | instskip(NEXT) | instid1(VALU_DEP_4)
	v_add_co_u32 v12, vcc_lo, s38, v12
	v_add_co_ci_u32_e32 v13, vcc_lo, s39, v13, vcc_lo
	s_branch .LBB236_48
.LBB236_47:                             ;   in Loop: Header=BB236_48 Depth=2
	s_or_b32 exec_lo, exec_lo, s19
	s_delay_alu instid0(SALU_CYCLE_1) | instskip(NEXT) | instid1(SALU_CYCLE_1)
	s_and_b32 s18, exec_lo, s66
	s_or_b32 s63, s18, s63
	s_and_not1_b32 s18, s64, exec_lo
	s_and_b32 s19, s65, exec_lo
	s_delay_alu instid0(SALU_CYCLE_1)
	s_or_b32 s64, s18, s19
	s_and_not1_b32 exec_lo, exec_lo, s63
	s_cbranch_execz .LBB236_54
.LBB236_48:                             ;   Parent Loop BB236_18 Depth=1
                                        ; =>  This Inner Loop Header: Depth=2
	global_load_b32 v14, v[10:11], off
	s_waitcnt vmcnt(0)
	v_subrev_nc_u32_e32 v14, s27, v14
	s_delay_alu instid0(VALU_DEP_1) | instskip(SKIP_2) | instid1(VALU_DEP_2)
	v_cmp_lt_i32_e64 s18, v14, v37
	v_cmp_ge_i32_e64 s19, v14, v38
	v_cmp_lt_i32_e32 vcc_lo, v14, v38
	s_or_b32 s66, s18, s19
	s_mov_b32 s18, 0
                                        ; implicit-def: $sgpr19
	s_and_saveexec_b32 s67, s66
	s_delay_alu instid0(SALU_CYCLE_1)
	s_xor_b32 s66, exec_lo, s67
; %bb.49:                               ;   in Loop: Header=BB236_48 Depth=2
	s_mov_b32 s19, -1
	s_and_b32 s18, vcc_lo, exec_lo
; %bb.50:                               ;   in Loop: Header=BB236_48 Depth=2
	s_and_not1_saveexec_b32 s66, s66
	s_cbranch_execz .LBB236_52
; %bb.51:                               ;   in Loop: Header=BB236_48 Depth=2
	global_load_b64 v[15:16], v[12:13], off offset:-4
	v_sub_nc_u32_e32 v17, v14, v37
	s_or_b32 s18, s18, exec_lo
	ds_store_b8 v17, v36 offset:16384
	v_lshlrev_b32_e32 v19, 3, v17
	s_waitcnt vmcnt(0)
	v_mul_f32_e64 v18, v16, -s61
	v_mul_f32_e32 v16, s60, v16
	s_delay_alu instid0(VALU_DEP_2) | instskip(NEXT) | instid1(VALU_DEP_2)
	v_fmac_f32_e32 v18, s60, v15
	v_fmac_f32_e32 v16, s61, v15
	ds_add_f32 v19, v18
	ds_add_f32 v19, v16 offset:4
.LBB236_52:                             ;   in Loop: Header=BB236_48 Depth=2
	s_or_b32 exec_lo, exec_lo, s66
	s_delay_alu instid0(SALU_CYCLE_1)
	s_and_not1_b32 s65, s65, exec_lo
	s_and_b32 s19, s19, exec_lo
	s_mov_b32 s66, -1
	s_or_b32 s65, s65, s19
	s_and_saveexec_b32 s19, s18
	s_cbranch_execz .LBB236_47
; %bb.53:                               ;   in Loop: Header=BB236_48 Depth=2
	v_add_co_u32 v8, vcc_lo, 0x200, v8
	v_add_co_ci_u32_e32 v9, vcc_lo, 0, v9, vcc_lo
	v_add_co_u32 v10, vcc_lo, 0x800, v10
	v_add_co_ci_u32_e32 v11, vcc_lo, 0, v11, vcc_lo
	s_delay_alu instid0(VALU_DEP_3) | instskip(SKIP_1) | instid1(VALU_DEP_1)
	v_cmp_le_i64_e32 vcc_lo, s[20:21], v[8:9]
	v_add_co_u32 v12, s18, 0x1000, v12
	v_add_co_ci_u32_e64 v13, s18, 0, v13, s18
	s_and_not1_b32 s65, s65, exec_lo
	s_or_not1_b32 s66, vcc_lo, exec_lo
	s_branch .LBB236_47
.LBB236_54:                             ;   in Loop: Header=BB236_18 Depth=1
	s_or_b32 exec_lo, exec_lo, s63
	s_and_saveexec_b32 s18, s64
	s_delay_alu instid0(SALU_CYCLE_1)
	s_xor_b32 s18, exec_lo, s18
; %bb.55:                               ;   in Loop: Header=BB236_18 Depth=1
	v_min_i32_e32 v39, v14, v39
; %bb.56:                               ;   in Loop: Header=BB236_18 Depth=1
	s_or_b32 exec_lo, exec_lo, s18
.LBB236_57:                             ;   in Loop: Header=BB236_18 Depth=1
	s_delay_alu instid0(SALU_CYCLE_1)
	s_or_b32 exec_lo, exec_lo, s62
.LBB236_58:                             ;   in Loop: Header=BB236_18 Depth=1
	ds_bpermute_b32 v8, v29, v39
	s_waitcnt lgkmcnt(0)
	v_min_i32_e32 v8, v8, v39
	ds_bpermute_b32 v9, v30, v8
	s_waitcnt lgkmcnt(0)
	v_min_i32_e32 v8, v9, v8
	;; [unrolled: 3-line block ×3, first 2 shown]
	ds_bpermute_b32 v9, v32, v8
	s_and_saveexec_b32 s18, s1
	s_cbranch_execz .LBB236_63
; %bb.59:                               ;   in Loop: Header=BB236_18 Depth=1
	s_waitcnt lgkmcnt(0)
	v_min_i32_e32 v8, v9, v8
	s_mov_b32 s20, exec_lo
	s_brev_b32 s19, -2
.LBB236_60:                             ;   Parent Loop BB236_18 Depth=1
                                        ; =>  This Inner Loop Header: Depth=2
	s_ctz_i32_b32 s21, s20
	s_delay_alu instid0(VALU_DEP_1) | instid1(SALU_CYCLE_1)
	v_readlane_b32 s62, v8, s21
	s_lshl_b32 s21, 1, s21
	s_delay_alu instid0(SALU_CYCLE_1) | instskip(NEXT) | instid1(VALU_DEP_1)
	s_and_not1_b32 s20, s20, s21
	s_min_i32 s19, s19, s62
	s_cmp_lg_u32 s20, 0
	s_cbranch_scc1 .LBB236_60
; %bb.61:                               ;   in Loop: Header=BB236_18 Depth=1
	v_mbcnt_lo_u32_b32 v8, exec_lo, 0
	s_mov_b32 s20, exec_lo
	s_delay_alu instid0(VALU_DEP_1)
	v_cmpx_eq_u32_e32 0, v8
	s_xor_b32 s20, exec_lo, s20
	s_cbranch_execz .LBB236_63
; %bb.62:                               ;   in Loop: Header=BB236_18 Depth=1
	v_mov_b32_e32 v8, s19
	ds_min_i32 v1, v8 offset:18432
.LBB236_63:                             ;   in Loop: Header=BB236_18 Depth=1
	s_or_b32 exec_lo, exec_lo, s18
	v_dual_mov_b32 v11, v35 :: v_dual_add_nc_u32 v10, s26, v37
	v_mov_b32_e32 v12, v0
	s_mov_b32 s19, 0
	s_waitcnt lgkmcnt(0)
	s_waitcnt_vscnt null, 0x0
	s_barrier
	buffer_gl0_inv
	s_branch .LBB236_65
.LBB236_64:                             ;   in Loop: Header=BB236_65 Depth=2
	s_or_b32 exec_lo, exec_lo, s18
	s_waitcnt lgkmcnt(0)
	s_waitcnt_vscnt null, 0x0
	s_barrier
	buffer_gl0_inv
	ds_load_b32 v8, v1 offset:60
	v_add_nc_u32_e32 v9, 0x200, v12
	v_cmp_lt_u32_e32 vcc_lo, 0x5ff, v12
	s_delay_alu instid0(VALU_DEP_2) | instskip(SKIP_4) | instid1(VALU_DEP_1)
	v_dual_mov_b32 v12, v9 :: v_dual_add_nc_u32 v11, 0x1000, v11
	s_or_b32 s19, vcc_lo, s19
	s_waitcnt lgkmcnt(0)
	v_ashrrev_i32_e32 v13, 31, v8
	v_add_co_u32 v6, s18, v6, v8
	v_add_co_ci_u32_e64 v7, s18, v7, v13, s18
	s_and_not1_b32 exec_lo, exec_lo, s19
	s_cbranch_execz .LBB236_17
.LBB236_65:                             ;   Parent Loop BB236_18 Depth=1
                                        ; =>  This Inner Loop Header: Depth=2
	ds_load_u8 v25, v12 offset:16384
	ds_load_b64 v[8:9], v11
	s_waitcnt lgkmcnt(0)
	s_barrier
	buffer_gl0_inv
	v_cmp_ne_u16_e32 vcc_lo, 0, v25
	s_bcnt1_i32_b32 s18, vcc_lo
	v_and_b32_e32 v37, vcc_lo, v5
	v_mov_b32_e32 v13, s18
	s_mov_b32 s18, exec_lo
	ds_store_b32 v33, v13
	s_waitcnt lgkmcnt(0)
	s_barrier
	buffer_gl0_inv
	ds_load_b128 v[13:16], v1
	ds_load_b128 v[17:20], v1 offset:16
	ds_load_b128 v[21:24], v1 offset:32
	s_waitcnt lgkmcnt(2)
	v_cndmask_b32_e64 v13, v13, 0, s3
	v_cndmask_b32_e64 v38, v14, 0, s4
	;; [unrolled: 1-line block ×4, first 2 shown]
	s_waitcnt lgkmcnt(1)
	v_cndmask_b32_e64 v17, v17, 0, s7
	v_bcnt_u32_b32 v37, v37, v13
	ds_load_b96 v[13:15], v1 offset:48
	v_cndmask_b32_e64 v18, v18, 0, s8
	v_cndmask_b32_e64 v19, v19, 0, s9
	v_add3_u32 v37, v37, v38, v39
	s_delay_alu instid0(VALU_DEP_1) | instskip(SKIP_3) | instid1(VALU_DEP_3)
	v_add3_u32 v16, v37, v16, v17
	v_cndmask_b32_e64 v17, v20, 0, s10
	s_waitcnt lgkmcnt(1)
	v_cndmask_b32_e64 v20, v21, 0, s11
	v_add3_u32 v16, v16, v18, v19
	v_cndmask_b32_e64 v18, v22, 0, s12
	v_cndmask_b32_e64 v19, v23, 0, s13
	s_delay_alu instid0(VALU_DEP_3)
	v_add3_u32 v16, v16, v17, v20
	v_cndmask_b32_e64 v17, v24, 0, s14
	s_waitcnt lgkmcnt(0)
	v_cndmask_b32_e64 v13, v13, 0, s15
	v_cndmask_b32_e64 v14, v14, 0, s16
	v_cndmask_b32_e64 v15, v15, 0, s17
	v_add3_u32 v16, v16, v18, v19
	s_delay_alu instid0(VALU_DEP_1) | instskip(SKIP_1) | instid1(VALU_DEP_2)
	v_add3_u32 v13, v16, v17, v13
	v_and_b32_e32 v16, 1, v25
	v_add3_u32 v13, v13, v14, v15
	s_delay_alu instid0(VALU_DEP_2)
	v_cmpx_eq_u32_e32 1, v16
	s_cbranch_execz .LBB236_67
; %bb.66:                               ;   in Loop: Header=BB236_65 Depth=2
	s_delay_alu instid0(VALU_DEP_2) | instskip(SKIP_2) | instid1(VALU_DEP_3)
	v_ashrrev_i32_e32 v15, 31, v13
	v_add_co_u32 v14, vcc_lo, v6, v13
	v_add_nc_u32_e32 v18, v10, v12
	v_add_co_ci_u32_e32 v15, vcc_lo, v7, v15, vcc_lo
	s_delay_alu instid0(VALU_DEP_1) | instskip(SKIP_1) | instid1(VALU_DEP_2)
	v_lshlrev_b64 v[16:17], 2, v[14:15]
	v_lshlrev_b64 v[14:15], 3, v[14:15]
	v_add_co_u32 v16, vcc_lo, s42, v16
	s_delay_alu instid0(VALU_DEP_3) | instskip(NEXT) | instid1(VALU_DEP_3)
	v_add_co_ci_u32_e32 v17, vcc_lo, s43, v17, vcc_lo
	v_add_co_u32 v14, vcc_lo, s52, v14
	s_delay_alu instid0(VALU_DEP_4)
	v_add_co_ci_u32_e32 v15, vcc_lo, s53, v15, vcc_lo
	global_store_b32 v[16:17], v18, off
	global_store_b64 v[14:15], v[8:9], off
.LBB236_67:                             ;   in Loop: Header=BB236_65 Depth=2
	s_or_b32 exec_lo, exec_lo, s18
	s_and_saveexec_b32 s18, s2
	s_cbranch_execz .LBB236_64
; %bb.68:                               ;   in Loop: Header=BB236_65 Depth=2
	ds_store_b32 v1, v13 offset:60
	s_branch .LBB236_64
.LBB236_69:
	s_endpgm
	.section	.rodata,"a",@progbits
	.p2align	6, 0x0
	.amdhsa_kernel _ZN9rocsparseL36csrgemm_fill_block_per_row_multipassILj512ELj16ELj2048ELj32Eli21rocsparse_complex_numIfEEEvT4_PKS3_S5_NS_24const_host_device_scalarIT5_EEPKT3_S5_PKS7_SB_S5_SD_S8_SB_S5_SD_SB_PS3_PS7_PS9_21rocsparse_index_base_SH_SH_SH_bbb
		.amdhsa_group_segment_fixed_size 18436
		.amdhsa_private_segment_fixed_size 0
		.amdhsa_kernarg_size 164
		.amdhsa_user_sgpr_count 15
		.amdhsa_user_sgpr_dispatch_ptr 0
		.amdhsa_user_sgpr_queue_ptr 0
		.amdhsa_user_sgpr_kernarg_segment_ptr 1
		.amdhsa_user_sgpr_dispatch_id 0
		.amdhsa_user_sgpr_private_segment_size 0
		.amdhsa_wavefront_size32 1
		.amdhsa_uses_dynamic_stack 0
		.amdhsa_enable_private_segment 0
		.amdhsa_system_sgpr_workgroup_id_x 1
		.amdhsa_system_sgpr_workgroup_id_y 0
		.amdhsa_system_sgpr_workgroup_id_z 0
		.amdhsa_system_sgpr_workgroup_info 0
		.amdhsa_system_vgpr_workitem_id 0
		.amdhsa_next_free_vgpr 44
		.amdhsa_next_free_sgpr 69
		.amdhsa_reserve_vcc 1
		.amdhsa_float_round_mode_32 0
		.amdhsa_float_round_mode_16_64 0
		.amdhsa_float_denorm_mode_32 3
		.amdhsa_float_denorm_mode_16_64 3
		.amdhsa_dx10_clamp 1
		.amdhsa_ieee_mode 1
		.amdhsa_fp16_overflow 0
		.amdhsa_workgroup_processor_mode 1
		.amdhsa_memory_ordered 1
		.amdhsa_forward_progress 0
		.amdhsa_shared_vgpr_count 0
		.amdhsa_exception_fp_ieee_invalid_op 0
		.amdhsa_exception_fp_denorm_src 0
		.amdhsa_exception_fp_ieee_div_zero 0
		.amdhsa_exception_fp_ieee_overflow 0
		.amdhsa_exception_fp_ieee_underflow 0
		.amdhsa_exception_fp_ieee_inexact 0
		.amdhsa_exception_int_div_zero 0
	.end_amdhsa_kernel
	.section	.text._ZN9rocsparseL36csrgemm_fill_block_per_row_multipassILj512ELj16ELj2048ELj32Eli21rocsparse_complex_numIfEEEvT4_PKS3_S5_NS_24const_host_device_scalarIT5_EEPKT3_S5_PKS7_SB_S5_SD_S8_SB_S5_SD_SB_PS3_PS7_PS9_21rocsparse_index_base_SH_SH_SH_bbb,"axG",@progbits,_ZN9rocsparseL36csrgemm_fill_block_per_row_multipassILj512ELj16ELj2048ELj32Eli21rocsparse_complex_numIfEEEvT4_PKS3_S5_NS_24const_host_device_scalarIT5_EEPKT3_S5_PKS7_SB_S5_SD_S8_SB_S5_SD_SB_PS3_PS7_PS9_21rocsparse_index_base_SH_SH_SH_bbb,comdat
.Lfunc_end236:
	.size	_ZN9rocsparseL36csrgemm_fill_block_per_row_multipassILj512ELj16ELj2048ELj32Eli21rocsparse_complex_numIfEEEvT4_PKS3_S5_NS_24const_host_device_scalarIT5_EEPKT3_S5_PKS7_SB_S5_SD_S8_SB_S5_SD_SB_PS3_PS7_PS9_21rocsparse_index_base_SH_SH_SH_bbb, .Lfunc_end236-_ZN9rocsparseL36csrgemm_fill_block_per_row_multipassILj512ELj16ELj2048ELj32Eli21rocsparse_complex_numIfEEEvT4_PKS3_S5_NS_24const_host_device_scalarIT5_EEPKT3_S5_PKS7_SB_S5_SD_S8_SB_S5_SD_SB_PS3_PS7_PS9_21rocsparse_index_base_SH_SH_SH_bbb
                                        ; -- End function
	.section	.AMDGPU.csdata,"",@progbits
; Kernel info:
; codeLenInByte = 3244
; NumSgprs: 71
; NumVgprs: 44
; ScratchSize: 0
; MemoryBound: 0
; FloatMode: 240
; IeeeMode: 1
; LDSByteSize: 18436 bytes/workgroup (compile time only)
; SGPRBlocks: 8
; VGPRBlocks: 5
; NumSGPRsForWavesPerEU: 71
; NumVGPRsForWavesPerEU: 44
; Occupancy: 16
; WaveLimiterHint : 1
; COMPUTE_PGM_RSRC2:SCRATCH_EN: 0
; COMPUTE_PGM_RSRC2:USER_SGPR: 15
; COMPUTE_PGM_RSRC2:TRAP_HANDLER: 0
; COMPUTE_PGM_RSRC2:TGID_X_EN: 1
; COMPUTE_PGM_RSRC2:TGID_Y_EN: 0
; COMPUTE_PGM_RSRC2:TGID_Z_EN: 0
; COMPUTE_PGM_RSRC2:TIDIG_COMP_CNT: 0
	.section	.text._ZN9rocsparseL36csrgemm_fill_block_per_row_multipassILj512ELj16ELj2048ELj64Eli21rocsparse_complex_numIfEEEvT4_PKS3_S5_NS_24const_host_device_scalarIT5_EEPKT3_S5_PKS7_SB_S5_SD_S8_SB_S5_SD_SB_PS3_PS7_PS9_21rocsparse_index_base_SH_SH_SH_bbb,"axG",@progbits,_ZN9rocsparseL36csrgemm_fill_block_per_row_multipassILj512ELj16ELj2048ELj64Eli21rocsparse_complex_numIfEEEvT4_PKS3_S5_NS_24const_host_device_scalarIT5_EEPKT3_S5_PKS7_SB_S5_SD_S8_SB_S5_SD_SB_PS3_PS7_PS9_21rocsparse_index_base_SH_SH_SH_bbb,comdat
	.globl	_ZN9rocsparseL36csrgemm_fill_block_per_row_multipassILj512ELj16ELj2048ELj64Eli21rocsparse_complex_numIfEEEvT4_PKS3_S5_NS_24const_host_device_scalarIT5_EEPKT3_S5_PKS7_SB_S5_SD_S8_SB_S5_SD_SB_PS3_PS7_PS9_21rocsparse_index_base_SH_SH_SH_bbb ; -- Begin function _ZN9rocsparseL36csrgemm_fill_block_per_row_multipassILj512ELj16ELj2048ELj64Eli21rocsparse_complex_numIfEEEvT4_PKS3_S5_NS_24const_host_device_scalarIT5_EEPKT3_S5_PKS7_SB_S5_SD_S8_SB_S5_SD_SB_PS3_PS7_PS9_21rocsparse_index_base_SH_SH_SH_bbb
	.p2align	8
	.type	_ZN9rocsparseL36csrgemm_fill_block_per_row_multipassILj512ELj16ELj2048ELj64Eli21rocsparse_complex_numIfEEEvT4_PKS3_S5_NS_24const_host_device_scalarIT5_EEPKT3_S5_PKS7_SB_S5_SD_S8_SB_S5_SD_SB_PS3_PS7_PS9_21rocsparse_index_base_SH_SH_SH_bbb,@function
_ZN9rocsparseL36csrgemm_fill_block_per_row_multipassILj512ELj16ELj2048ELj64Eli21rocsparse_complex_numIfEEEvT4_PKS3_S5_NS_24const_host_device_scalarIT5_EEPKT3_S5_PKS7_SB_S5_SD_S8_SB_S5_SD_SB_PS3_PS7_PS9_21rocsparse_index_base_SH_SH_SH_bbb: ; @_ZN9rocsparseL36csrgemm_fill_block_per_row_multipassILj512ELj16ELj2048ELj64Eli21rocsparse_complex_numIfEEEvT4_PKS3_S5_NS_24const_host_device_scalarIT5_EEPKT3_S5_PKS7_SB_S5_SD_S8_SB_S5_SD_SB_PS3_PS7_PS9_21rocsparse_index_base_SH_SH_SH_bbb
; %bb.0:
	s_clause 0x5
	s_load_b32 s3, s[0:1], 0xa0
	s_load_b256 s[16:23], s[0:1], 0x80
	s_load_b256 s[24:31], s[0:1], 0x60
	;; [unrolled: 1-line block ×3, first 2 shown]
	s_load_b128 s[4:7], s[0:1], 0x8
	s_load_b256 s[44:51], s[0:1], 0x20
	s_mov_b32 s13, 0
	s_mov_b32 s33, 0
	s_waitcnt lgkmcnt(0)
	s_bitcmp1_b32 s3, 0
	s_cselect_b32 s8, -1, 0
	s_bitcmp1_b32 s3, 16
	s_cselect_b32 s2, -1, 0
	s_delay_alu instid0(SALU_CYCLE_1)
	s_xor_b32 s2, s2, -1
	s_bitcmp0_b32 s3, 0
	s_cbranch_scc1 .LBB237_5
; %bb.1:
	s_load_b64 s[12:13], s[0:1], 0x18
	s_and_not1_b32 vcc_lo, exec_lo, s2
	s_waitcnt lgkmcnt(0)
	s_mov_b32 s33, s12
	s_cbranch_vccnz .LBB237_3
; %bb.2:
	s_load_b32 s33, s[12:13], 0x0
.LBB237_3:
	s_and_not1_b32 vcc_lo, exec_lo, s2
	s_cbranch_vccnz .LBB237_5
; %bb.4:
	s_load_b32 s13, s[12:13], 0x4
.LBB237_5:
	s_bitcmp1_b32 s3, 8
	s_mov_b32 s52, 0
	s_cselect_b32 s34, -1, 0
	s_bfe_u32 s3, s3, 0x10008
	s_mov_b32 s35, 0
	s_cmp_eq_u32 s3, 0
	s_cbranch_scc1 .LBB237_11
; %bb.6:
	v_cndmask_b32_e64 v1, 0, 1, s2
	s_and_not1_b32 vcc_lo, exec_lo, s2
	s_mov_b32 s35, s40
	s_cbranch_vccnz .LBB237_8
; %bb.7:
	s_load_b32 s35, s[40:41], 0x0
.LBB237_8:
	s_delay_alu instid0(VALU_DEP_1)
	v_cmp_ne_u32_e32 vcc_lo, 1, v1
	s_cbranch_vccnz .LBB237_10
; %bb.9:
	s_load_b32 s41, s[40:41], 0x4
.LBB237_10:
	s_waitcnt lgkmcnt(0)
	s_mov_b32 s52, s41
.LBB237_11:
	s_load_b32 s2, s[4:5], 0x0
	s_mov_b32 s3, 0
	s_waitcnt lgkmcnt(0)
	s_add_i32 s2, s2, s15
	s_mov_b64 s[14:15], 0
	s_lshl_b64 s[2:3], s[2:3], 2
	s_delay_alu instid0(SALU_CYCLE_1)
	s_add_u32 s2, s6, s2
	s_addc_u32 s3, s7, s3
	s_and_not1_b32 vcc_lo, exec_lo, s8
	s_load_b32 s4, s[2:3], 0x0
	s_mov_b64 s[2:3], 0
	s_cbranch_vccz .LBB237_14
; %bb.12:
	s_and_not1_b32 vcc_lo, exec_lo, s8
	s_cbranch_vccz .LBB237_15
.LBB237_13:
	s_load_b32 s40, s[0:1], 0x0
	s_waitcnt lgkmcnt(0)
	s_cmp_lt_i32 s40, 1
	s_cbranch_scc0 .LBB237_16
	s_branch .LBB237_69
.LBB237_14:
	s_waitcnt lgkmcnt(0)
	s_ashr_i32 s5, s4, 31
	s_delay_alu instid0(SALU_CYCLE_1) | instskip(NEXT) | instid1(SALU_CYCLE_1)
	s_lshl_b64 s[2:3], s[4:5], 3
	s_add_u32 s2, s44, s2
	s_addc_u32 s3, s45, s3
	s_load_b64 s[2:3], s[2:3], 0x0
	s_waitcnt lgkmcnt(0)
	s_sub_u32 s2, s2, s20
	s_subb_u32 s3, s3, 0
	s_and_not1_b32 vcc_lo, exec_lo, s8
	s_cbranch_vccnz .LBB237_13
.LBB237_15:
	s_waitcnt lgkmcnt(0)
	s_ashr_i32 s5, s4, 31
	s_delay_alu instid0(SALU_CYCLE_1) | instskip(NEXT) | instid1(SALU_CYCLE_1)
	s_lshl_b64 s[6:7], s[4:5], 3
	s_add_u32 s6, s44, s6
	s_addc_u32 s7, s45, s7
	s_load_b64 s[6:7], s[6:7], 0x8
	s_waitcnt lgkmcnt(0)
	s_sub_u32 s14, s6, s20
	s_subb_u32 s15, s7, 0
	s_load_b32 s40, s[0:1], 0x0
	s_waitcnt lgkmcnt(0)
	s_cmp_lt_i32 s40, 1
	s_cbranch_scc1 .LBB237_69
.LBB237_16:
	s_ashr_i32 s5, s4, 31
	v_mbcnt_lo_u32_b32 v5, -1, 0
	s_lshl_b64 s[4:5], s[4:5], 3
	v_lshrrev_b32_e32 v2, 4, v0
	s_add_u32 s6, s28, s4
	s_addc_u32 s7, s29, s5
	v_xor_b32_e32 v6, 8, v5
	s_load_b64 s[6:7], s[6:7], 0x0
	v_sub_co_u32 v27, s1, v0, s23
	s_delay_alu instid0(VALU_DEP_1)
	v_sub_co_ci_u32_e64 v28, null, 0, 0, s1
	v_add_co_u32 v3, s1, s2, v2
	v_xor_b32_e32 v7, 4, v5
	v_cmp_gt_i32_e64 s2, 32, v6
	v_xor_b32_e32 v8, 2, v5
	v_add_co_ci_u32_e64 v4, null, s3, 0, s1
	v_xor_b32_e32 v9, 1, v5
	s_delay_alu instid0(VALU_DEP_4) | instskip(SKIP_1) | instid1(VALU_DEP_4)
	v_cndmask_b32_e64 v6, v5, v6, s2
	v_cmp_gt_i32_e64 s2, 32, v7
	v_cmp_gt_i64_e32 vcc_lo, s[14:15], v[3:4]
	v_dual_mov_b32 v1, 0 :: v_dual_and_b32 v26, 15, v0
	s_delay_alu instid0(VALU_DEP_4) | instskip(NEXT) | instid1(VALU_DEP_4)
	v_dual_mov_b32 v38, 0x800 :: v_dual_lshlrev_b32 v29, 2, v6
	v_cndmask_b32_e64 v7, v5, v7, s2
	v_cmp_gt_i32_e64 s2, 32, v8
	s_waitcnt lgkmcnt(0)
	s_sub_u32 s10, s6, s22
	s_subb_u32 s11, s7, 0
	s_add_u32 s28, s42, s4
	s_addc_u32 s29, s43, s5
	v_cndmask_b32_e64 v8, v5, v8, s2
	v_cmp_gt_i32_e64 s2, 32, v9
	s_and_b32 s42, s8, vcc_lo
	s_add_u32 s43, s50, 8
	s_addc_u32 s45, s51, 0
	s_add_u32 s30, s30, -4
	v_cndmask_b32_e64 v9, v5, v9, s2
	v_xor_b32_e32 v5, 63, v5
	s_addc_u32 s31, s31, -1
	s_add_u32 s53, s16, -8
	v_lshlrev_b32_e32 v30, 2, v7
	v_lshlrev_b32_e32 v31, 2, v8
	v_lshrrev_b64 v[5:6], v5, -1
	v_mov_b32_e32 v6, s10
	s_addc_u32 s54, s17, -1
	v_cmp_eq_u32_e64 s0, 0, v0
	v_cmp_eq_u32_e64 s1, 15, v26
	v_dual_mov_b32 v37, v1 :: v_dual_lshlrev_b32 v32, 2, v9
	v_dual_mov_b32 v2, v1 :: v_dual_and_b32 v33, 28, v2
	v_cmp_eq_u32_e64 s2, 0x1ff, v0
	v_cmp_gt_u32_e64 s3, 64, v0
	v_cmp_gt_u32_e64 s4, 0x80, v0
	;; [unrolled: 1-line block ×7, first 2 shown]
	v_or_b32_e32 v34, 0xfffffe00, v0
	v_dual_mov_b32 v36, 1 :: v_dual_lshlrev_b32 v35, 3, v0
	s_add_u32 s38, s38, 4
	v_mov_b32_e32 v7, s11
	s_addc_u32 s39, s39, 0
	s_add_u32 s26, s26, 4
	s_mov_b32 s41, s21
	s_mov_b32 s44, s23
	s_addc_u32 s27, s27, 0
	s_branch .LBB237_18
.LBB237_17:                             ;   in Loop: Header=BB237_18 Depth=1
	s_or_b32 exec_lo, exec_lo, s11
	ds_load_b32 v37, v1 offset:18432
	s_waitcnt lgkmcnt(0)
	s_barrier
	buffer_gl0_inv
	v_cmp_le_i32_e32 vcc_lo, s40, v37
	v_add_nc_u32_e32 v38, 0x800, v37
	s_cbranch_vccnz .LBB237_69
.LBB237_18:                             ; =>This Loop Header: Depth=1
                                        ;     Child Loop BB237_19 Depth 2
                                        ;     Child Loop BB237_25 Depth 2
                                        ;       Child Loop BB237_31 Depth 3
                                        ;     Child Loop BB237_48 Depth 2
                                        ;     Child Loop BB237_60 Depth 2
	;; [unrolled: 1-line block ×3, first 2 shown]
	v_dual_mov_b32 v8, v35 :: v_dual_mov_b32 v9, v34
	s_mov_b32 s10, 0
.LBB237_19:                             ;   Parent Loop BB237_18 Depth=1
                                        ; =>  This Inner Loop Header: Depth=2
	ds_store_b8 v9, v1 offset:16896
	v_add_nc_u32_e32 v9, 0x200, v9
	ds_store_b64 v8, v[1:2]
	v_add_nc_u32_e32 v8, 0x1000, v8
	v_cmp_lt_u32_e32 vcc_lo, 0x5ff, v9
	s_or_b32 s10, vcc_lo, s10
	s_delay_alu instid0(SALU_CYCLE_1)
	s_and_not1_b32 exec_lo, exec_lo, s10
	s_cbranch_execnz .LBB237_19
; %bb.20:                               ;   in Loop: Header=BB237_18 Depth=1
	s_or_b32 exec_lo, exec_lo, s10
	s_and_saveexec_b32 s10, s0
	s_cbranch_execz .LBB237_22
; %bb.21:                               ;   in Loop: Header=BB237_18 Depth=1
	v_mov_b32_e32 v8, s40
	ds_store_b32 v1, v8 offset:18432
.LBB237_22:                             ;   in Loop: Header=BB237_18 Depth=1
	s_or_b32 exec_lo, exec_lo, s10
	v_mov_b32_e32 v39, s40
	s_waitcnt lgkmcnt(0)
	s_barrier
	buffer_gl0_inv
	s_and_saveexec_b32 s16, s42
	s_cbranch_execz .LBB237_44
; %bb.23:                               ;   in Loop: Header=BB237_18 Depth=1
	v_mov_b32_e32 v9, v4
	v_cmp_ne_u32_e64 s10, 0, v37
	v_dual_mov_b32 v39, s40 :: v_dual_mov_b32 v8, v3
	s_mov_b32 s17, 0
	s_branch .LBB237_25
.LBB237_24:                             ;   in Loop: Header=BB237_25 Depth=2
	s_or_b32 exec_lo, exec_lo, s12
	v_add_co_u32 v8, vcc_lo, v8, 32
	v_add_co_ci_u32_e32 v9, vcc_lo, 0, v9, vcc_lo
	s_delay_alu instid0(VALU_DEP_1) | instskip(SKIP_1) | instid1(SALU_CYCLE_1)
	v_cmp_le_i64_e32 vcc_lo, s[14:15], v[8:9]
	s_or_b32 s17, vcc_lo, s17
	s_and_not1_b32 exec_lo, exec_lo, s17
	s_cbranch_execz .LBB237_43
.LBB237_25:                             ;   Parent Loop BB237_18 Depth=1
                                        ; =>  This Loop Header: Depth=2
                                        ;       Child Loop BB237_31 Depth 3
	s_delay_alu instid0(VALU_DEP_1) | instskip(NEXT) | instid1(VALU_DEP_1)
	v_lshlrev_b64 v[10:11], 2, v[8:9]
	v_add_co_u32 v12, vcc_lo, s46, v10
	s_delay_alu instid0(VALU_DEP_2)
	v_add_co_ci_u32_e32 v13, vcc_lo, s47, v11, vcc_lo
	v_lshlrev_b64 v[10:11], 3, v[8:9]
	s_waitcnt lgkmcnt(0)
	global_load_b32 v14, v[12:13], off
	v_add_co_u32 v12, vcc_lo, s48, v10
	v_add_co_ci_u32_e32 v13, vcc_lo, s49, v11, vcc_lo
	s_and_b32 vcc_lo, exec_lo, s10
	global_load_b64 v[16:17], v[12:13], off
	s_waitcnt vmcnt(1)
	v_subrev_nc_u32_e32 v12, s20, v14
	s_delay_alu instid0(VALU_DEP_1)
	v_ashrrev_i32_e32 v13, 31, v12
	s_cbranch_vccz .LBB237_42
; %bb.26:                               ;   in Loop: Header=BB237_25 Depth=2
	v_add_co_u32 v14, vcc_lo, s18, v10
	v_add_co_ci_u32_e32 v15, vcc_lo, s19, v11, vcc_lo
	global_load_b64 v[18:19], v[14:15], off
	s_cbranch_execnz .LBB237_28
.LBB237_27:                             ;   in Loop: Header=BB237_25 Depth=2
	s_delay_alu instid0(VALU_DEP_1) | instskip(NEXT) | instid1(VALU_DEP_1)
	v_lshlrev_b64 v[14:15], 3, v[12:13]
	v_add_co_u32 v14, vcc_lo, s50, v14
	s_delay_alu instid0(VALU_DEP_2)
	v_add_co_ci_u32_e32 v15, vcc_lo, s51, v15, vcc_lo
	global_load_b64 v[14:15], v[14:15], off
	s_waitcnt vmcnt(0)
	v_sub_co_u32 v18, vcc_lo, v14, s41
	v_subrev_co_ci_u32_e32 v19, vcc_lo, 0, v15, vcc_lo
.LBB237_28:                             ;   in Loop: Header=BB237_25 Depth=2
	v_lshlrev_b64 v[12:13], 3, v[12:13]
	s_mov_b32 s55, exec_lo
	s_delay_alu instid0(VALU_DEP_1) | instskip(NEXT) | instid1(VALU_DEP_2)
	v_add_co_u32 v12, vcc_lo, s43, v12
	v_add_co_ci_u32_e32 v13, vcc_lo, s45, v13, vcc_lo
	global_load_b64 v[12:13], v[12:13], off
	s_waitcnt vmcnt(0)
	v_sub_co_u32 v14, vcc_lo, v12, s41
	v_subrev_co_ci_u32_e32 v15, vcc_lo, 0, v13, vcc_lo
	v_add_co_u32 v12, vcc_lo, v18, v26
	v_add_co_ci_u32_e32 v13, vcc_lo, 0, v19, vcc_lo
	s_delay_alu instid0(VALU_DEP_1)
	v_cmpx_lt_i64_e64 v[12:13], v[14:15]
	s_cbranch_execz .LBB237_40
; %bb.29:                               ;   in Loop: Header=BB237_25 Depth=2
	v_mul_f32_e64 v40, v17, -s13
	v_mul_f32_e32 v41, s33, v17
	v_lshlrev_b64 v[17:18], 2, v[12:13]
	v_lshlrev_b64 v[19:20], 3, v[12:13]
	s_mov_b32 s57, 0
	v_fmac_f32_e32 v40, s33, v16
	v_fmac_f32_e32 v41, s13, v16
                                        ; implicit-def: $sgpr56
                                        ; implicit-def: $sgpr58
	s_delay_alu instid0(VALU_DEP_4)
	v_add_co_u32 v16, vcc_lo, s36, v17
	v_add_co_ci_u32_e32 v17, vcc_lo, s37, v18, vcc_lo
	v_add_co_u32 v18, vcc_lo, s38, v19
	v_add_co_ci_u32_e32 v19, vcc_lo, s39, v20, vcc_lo
	v_dual_mov_b32 v21, v13 :: v_dual_mov_b32 v20, v12
	s_branch .LBB237_31
.LBB237_30:                             ;   in Loop: Header=BB237_31 Depth=3
	s_or_b32 exec_lo, exec_lo, s12
	s_delay_alu instid0(SALU_CYCLE_1) | instskip(SKIP_4) | instid1(SALU_CYCLE_1)
	s_and_b32 s11, exec_lo, s59
	v_dual_mov_b32 v20, v22 :: v_dual_mov_b32 v21, v23
	s_or_b32 s57, s11, s57
	s_and_not1_b32 s11, s56, exec_lo
	s_and_b32 s12, s58, exec_lo
	s_or_b32 s56, s11, s12
	s_and_not1_b32 exec_lo, exec_lo, s57
	s_cbranch_execz .LBB237_37
.LBB237_31:                             ;   Parent Loop BB237_18 Depth=1
                                        ;     Parent Loop BB237_25 Depth=2
                                        ; =>    This Inner Loop Header: Depth=3
	global_load_b32 v22, v[16:17], off
	s_waitcnt vmcnt(0)
	v_subrev_nc_u32_e32 v42, s21, v22
	s_delay_alu instid0(VALU_DEP_1) | instskip(SKIP_2) | instid1(VALU_DEP_2)
	v_cmp_lt_i32_e64 s11, v42, v37
	v_cmp_ge_i32_e64 s12, v42, v38
	v_cmp_lt_i32_e32 vcc_lo, v42, v38
	s_or_b32 s59, s11, s12
	s_mov_b32 s11, 0
                                        ; implicit-def: $sgpr12
	s_and_saveexec_b32 s60, s59
	s_delay_alu instid0(SALU_CYCLE_1)
	s_xor_b32 s59, exec_lo, s60
; %bb.32:                               ;   in Loop: Header=BB237_31 Depth=3
	s_mov_b32 s12, -1
	s_and_b32 s11, vcc_lo, exec_lo
; %bb.33:                               ;   in Loop: Header=BB237_31 Depth=3
	s_and_not1_saveexec_b32 s59, s59
	s_cbranch_execz .LBB237_35
; %bb.34:                               ;   in Loop: Header=BB237_31 Depth=3
	global_load_b64 v[22:23], v[18:19], off offset:-4
	v_sub_nc_u32_e32 v24, v42, v37
	s_or_b32 s11, s11, exec_lo
	s_delay_alu instid0(VALU_DEP_1) | instskip(SKIP_4) | instid1(VALU_DEP_2)
	v_lshlrev_b32_e32 v43, 3, v24
	ds_store_b8 v24, v36 offset:16384
	s_waitcnt vmcnt(0)
	v_mul_f32_e64 v25, v23, -v41
	v_mul_f32_e32 v23, v40, v23
	v_fmac_f32_e32 v25, v40, v22
	s_delay_alu instid0(VALU_DEP_2)
	v_fmac_f32_e32 v23, v41, v22
	ds_add_f32 v43, v25
	ds_add_f32 v43, v23 offset:4
.LBB237_35:                             ;   in Loop: Header=BB237_31 Depth=3
	s_or_b32 exec_lo, exec_lo, s59
	v_dual_mov_b32 v25, v21 :: v_dual_mov_b32 v24, v20
	s_and_not1_b32 s58, s58, exec_lo
	s_and_b32 s12, s12, exec_lo
	s_mov_b32 s59, -1
	s_or_b32 s58, s58, s12
                                        ; implicit-def: $vgpr22_vgpr23
	s_and_saveexec_b32 s12, s11
	s_cbranch_execz .LBB237_30
; %bb.36:                               ;   in Loop: Header=BB237_31 Depth=3
	v_add_co_u32 v22, vcc_lo, v20, 16
	v_add_co_ci_u32_e32 v23, vcc_lo, 0, v21, vcc_lo
	v_add_co_u32 v16, vcc_lo, v16, 64
	v_add_co_ci_u32_e32 v17, vcc_lo, 0, v17, vcc_lo
	s_delay_alu instid0(VALU_DEP_3) | instskip(SKIP_1) | instid1(VALU_DEP_1)
	v_cmp_ge_i64_e32 vcc_lo, v[22:23], v[14:15]
	v_add_co_u32 v18, s11, 0x80, v18
	v_add_co_ci_u32_e64 v19, s11, 0, v19, s11
	v_dual_mov_b32 v25, v21 :: v_dual_mov_b32 v24, v20
	s_and_not1_b32 s58, s58, exec_lo
	s_or_not1_b32 s59, vcc_lo, exec_lo
	s_branch .LBB237_30
.LBB237_37:                             ;   in Loop: Header=BB237_25 Depth=2
	s_or_b32 exec_lo, exec_lo, s57
	s_and_saveexec_b32 s11, s56
	s_delay_alu instid0(SALU_CYCLE_1)
	s_xor_b32 s11, exec_lo, s11
; %bb.38:                               ;   in Loop: Header=BB237_25 Depth=2
	v_min_i32_e32 v39, v42, v39
	v_dual_mov_b32 v12, v24 :: v_dual_mov_b32 v13, v25
; %bb.39:                               ;   in Loop: Header=BB237_25 Depth=2
	s_or_b32 exec_lo, exec_lo, s11
.LBB237_40:                             ;   in Loop: Header=BB237_25 Depth=2
	s_delay_alu instid0(SALU_CYCLE_1)
	s_or_b32 exec_lo, exec_lo, s55
	ds_bpermute_b32 v14, v29, v12
	ds_bpermute_b32 v15, v29, v13
	s_waitcnt lgkmcnt(0)
	v_cmp_lt_i64_e32 vcc_lo, v[14:15], v[12:13]
	v_dual_cndmask_b32 v13, v13, v15 :: v_dual_cndmask_b32 v12, v12, v14
	ds_bpermute_b32 v15, v30, v13
	ds_bpermute_b32 v14, v30, v12
	s_waitcnt lgkmcnt(0)
	v_cmp_lt_i64_e32 vcc_lo, v[14:15], v[12:13]
	v_dual_cndmask_b32 v13, v13, v15 :: v_dual_cndmask_b32 v12, v12, v14
	;; [unrolled: 5-line block ×3, first 2 shown]
	ds_bpermute_b32 v15, v32, v13
	ds_bpermute_b32 v14, v32, v12
	s_and_saveexec_b32 s12, s1
	s_cbranch_execz .LBB237_24
; %bb.41:                               ;   in Loop: Header=BB237_25 Depth=2
	s_waitcnt lgkmcnt(0)
	v_cmp_lt_i64_e32 vcc_lo, v[14:15], v[12:13]
	v_add_co_u32 v10, s11, s18, v10
	s_delay_alu instid0(VALU_DEP_1)
	v_add_co_ci_u32_e64 v11, s11, s19, v11, s11
	v_dual_cndmask_b32 v13, v13, v15 :: v_dual_cndmask_b32 v12, v12, v14
	global_store_b64 v[10:11], v[12:13], off
	s_branch .LBB237_24
.LBB237_42:                             ;   in Loop: Header=BB237_25 Depth=2
                                        ; implicit-def: $vgpr18_vgpr19
	s_branch .LBB237_27
.LBB237_43:                             ;   in Loop: Header=BB237_18 Depth=1
	s_or_b32 exec_lo, exec_lo, s17
.LBB237_44:                             ;   in Loop: Header=BB237_18 Depth=1
	s_delay_alu instid0(SALU_CYCLE_1) | instskip(NEXT) | instid1(SALU_CYCLE_1)
	s_or_b32 exec_lo, exec_lo, s16
	s_and_not1_b32 vcc_lo, exec_lo, s34
	s_cbranch_vccnz .LBB237_58
; %bb.45:                               ;   in Loop: Header=BB237_18 Depth=1
	s_load_b128 s[56:59], s[28:29], 0x0
	s_mov_b32 s12, exec_lo
	s_waitcnt lgkmcnt(0)
	v_add_co_u32 v8, vcc_lo, s56, v27
	v_add_co_ci_u32_e32 v9, vcc_lo, s57, v28, vcc_lo
	s_sub_u32 s16, s58, s44
	s_subb_u32 s17, s59, 0
	s_delay_alu instid0(VALU_DEP_1) | instid1(SALU_CYCLE_1)
	v_cmpx_gt_i64_e64 s[16:17], v[8:9]
	s_cbranch_execz .LBB237_57
; %bb.46:                               ;   in Loop: Header=BB237_18 Depth=1
	v_lshlrev_b64 v[10:11], 2, v[8:9]
	v_lshlrev_b64 v[12:13], 3, v[8:9]
	s_mov_b32 s55, 0
                                        ; implicit-def: $sgpr56
                                        ; implicit-def: $sgpr57
	s_delay_alu instid0(VALU_DEP_2) | instskip(NEXT) | instid1(VALU_DEP_3)
	v_add_co_u32 v10, vcc_lo, s24, v10
	v_add_co_ci_u32_e32 v11, vcc_lo, s25, v11, vcc_lo
	s_delay_alu instid0(VALU_DEP_3) | instskip(NEXT) | instid1(VALU_DEP_4)
	v_add_co_u32 v12, vcc_lo, s26, v12
	v_add_co_ci_u32_e32 v13, vcc_lo, s27, v13, vcc_lo
	s_branch .LBB237_48
.LBB237_47:                             ;   in Loop: Header=BB237_48 Depth=2
	s_or_b32 exec_lo, exec_lo, s11
	s_delay_alu instid0(SALU_CYCLE_1) | instskip(NEXT) | instid1(SALU_CYCLE_1)
	s_and_b32 s10, exec_lo, s58
	s_or_b32 s55, s10, s55
	s_and_not1_b32 s10, s56, exec_lo
	s_and_b32 s11, s57, exec_lo
	s_delay_alu instid0(SALU_CYCLE_1)
	s_or_b32 s56, s10, s11
	s_and_not1_b32 exec_lo, exec_lo, s55
	s_cbranch_execz .LBB237_54
.LBB237_48:                             ;   Parent Loop BB237_18 Depth=1
                                        ; =>  This Inner Loop Header: Depth=2
	global_load_b32 v14, v[10:11], off
	s_waitcnt vmcnt(0)
	v_subrev_nc_u32_e32 v14, s23, v14
	s_delay_alu instid0(VALU_DEP_1) | instskip(SKIP_2) | instid1(VALU_DEP_2)
	v_cmp_lt_i32_e64 s10, v14, v37
	v_cmp_ge_i32_e64 s11, v14, v38
	v_cmp_lt_i32_e32 vcc_lo, v14, v38
	s_or_b32 s58, s10, s11
	s_mov_b32 s10, 0
                                        ; implicit-def: $sgpr11
	s_and_saveexec_b32 s59, s58
	s_delay_alu instid0(SALU_CYCLE_1)
	s_xor_b32 s58, exec_lo, s59
; %bb.49:                               ;   in Loop: Header=BB237_48 Depth=2
	s_mov_b32 s11, -1
	s_and_b32 s10, vcc_lo, exec_lo
; %bb.50:                               ;   in Loop: Header=BB237_48 Depth=2
	s_and_not1_saveexec_b32 s58, s58
	s_cbranch_execz .LBB237_52
; %bb.51:                               ;   in Loop: Header=BB237_48 Depth=2
	global_load_b64 v[15:16], v[12:13], off offset:-4
	v_sub_nc_u32_e32 v17, v14, v37
	s_or_b32 s10, s10, exec_lo
	ds_store_b8 v17, v36 offset:16384
	v_lshlrev_b32_e32 v19, 3, v17
	s_waitcnt vmcnt(0)
	v_mul_f32_e64 v18, v16, -s52
	v_mul_f32_e32 v16, s35, v16
	s_delay_alu instid0(VALU_DEP_2) | instskip(NEXT) | instid1(VALU_DEP_2)
	v_fmac_f32_e32 v18, s35, v15
	v_fmac_f32_e32 v16, s52, v15
	ds_add_f32 v19, v18
	ds_add_f32 v19, v16 offset:4
.LBB237_52:                             ;   in Loop: Header=BB237_48 Depth=2
	s_or_b32 exec_lo, exec_lo, s58
	s_delay_alu instid0(SALU_CYCLE_1)
	s_and_not1_b32 s57, s57, exec_lo
	s_and_b32 s11, s11, exec_lo
	s_mov_b32 s58, -1
	s_or_b32 s57, s57, s11
	s_and_saveexec_b32 s11, s10
	s_cbranch_execz .LBB237_47
; %bb.53:                               ;   in Loop: Header=BB237_48 Depth=2
	v_add_co_u32 v8, vcc_lo, 0x200, v8
	v_add_co_ci_u32_e32 v9, vcc_lo, 0, v9, vcc_lo
	v_add_co_u32 v10, vcc_lo, 0x800, v10
	v_add_co_ci_u32_e32 v11, vcc_lo, 0, v11, vcc_lo
	s_delay_alu instid0(VALU_DEP_3) | instskip(SKIP_1) | instid1(VALU_DEP_1)
	v_cmp_le_i64_e32 vcc_lo, s[16:17], v[8:9]
	v_add_co_u32 v12, s10, 0x1000, v12
	v_add_co_ci_u32_e64 v13, s10, 0, v13, s10
	s_and_not1_b32 s57, s57, exec_lo
	s_or_not1_b32 s58, vcc_lo, exec_lo
	s_branch .LBB237_47
.LBB237_54:                             ;   in Loop: Header=BB237_18 Depth=1
	s_or_b32 exec_lo, exec_lo, s55
	s_and_saveexec_b32 s10, s56
	s_delay_alu instid0(SALU_CYCLE_1)
	s_xor_b32 s10, exec_lo, s10
; %bb.55:                               ;   in Loop: Header=BB237_18 Depth=1
	v_min_i32_e32 v39, v14, v39
; %bb.56:                               ;   in Loop: Header=BB237_18 Depth=1
	s_or_b32 exec_lo, exec_lo, s10
.LBB237_57:                             ;   in Loop: Header=BB237_18 Depth=1
	s_delay_alu instid0(SALU_CYCLE_1)
	s_or_b32 exec_lo, exec_lo, s12
.LBB237_58:                             ;   in Loop: Header=BB237_18 Depth=1
	ds_bpermute_b32 v8, v29, v39
	s_waitcnt lgkmcnt(0)
	v_min_i32_e32 v8, v8, v39
	ds_bpermute_b32 v9, v30, v8
	s_waitcnt lgkmcnt(0)
	v_min_i32_e32 v8, v9, v8
	;; [unrolled: 3-line block ×3, first 2 shown]
	ds_bpermute_b32 v9, v32, v8
	s_and_saveexec_b32 s10, s1
	s_cbranch_execz .LBB237_63
; %bb.59:                               ;   in Loop: Header=BB237_18 Depth=1
	s_waitcnt lgkmcnt(0)
	v_min_i32_e32 v8, v9, v8
	s_mov_b32 s12, exec_lo
	s_brev_b32 s11, -2
.LBB237_60:                             ;   Parent Loop BB237_18 Depth=1
                                        ; =>  This Inner Loop Header: Depth=2
	s_ctz_i32_b32 s16, s12
	s_delay_alu instid0(VALU_DEP_1) | instid1(SALU_CYCLE_1)
	v_readlane_b32 s17, v8, s16
	s_lshl_b32 s16, 1, s16
	s_delay_alu instid0(SALU_CYCLE_1) | instskip(NEXT) | instid1(VALU_DEP_1)
	s_and_not1_b32 s12, s12, s16
	s_min_i32 s11, s11, s17
	s_cmp_lg_u32 s12, 0
	s_cbranch_scc1 .LBB237_60
; %bb.61:                               ;   in Loop: Header=BB237_18 Depth=1
	v_mbcnt_lo_u32_b32 v8, exec_lo, 0
	s_mov_b32 s12, exec_lo
	s_delay_alu instid0(VALU_DEP_1)
	v_cmpx_eq_u32_e32 0, v8
	s_xor_b32 s12, exec_lo, s12
	s_cbranch_execz .LBB237_63
; %bb.62:                               ;   in Loop: Header=BB237_18 Depth=1
	v_mov_b32_e32 v8, s11
	ds_min_i32 v1, v8 offset:18432
.LBB237_63:                             ;   in Loop: Header=BB237_18 Depth=1
	s_or_b32 exec_lo, exec_lo, s10
	v_dual_mov_b32 v11, v35 :: v_dual_add_nc_u32 v10, s22, v37
	v_mov_b32_e32 v12, v0
	s_mov_b32 s11, 0
	s_waitcnt lgkmcnt(0)
	s_waitcnt_vscnt null, 0x0
	s_barrier
	buffer_gl0_inv
	s_branch .LBB237_65
.LBB237_64:                             ;   in Loop: Header=BB237_65 Depth=2
	s_or_b32 exec_lo, exec_lo, s10
	s_waitcnt lgkmcnt(0)
	s_waitcnt_vscnt null, 0x0
	s_barrier
	buffer_gl0_inv
	ds_load_b32 v8, v1 offset:28
	v_add_nc_u32_e32 v9, 0x200, v12
	v_cmp_lt_u32_e32 vcc_lo, 0x5ff, v12
	s_delay_alu instid0(VALU_DEP_2) | instskip(SKIP_4) | instid1(VALU_DEP_1)
	v_dual_mov_b32 v12, v9 :: v_dual_add_nc_u32 v11, 0x1000, v11
	s_or_b32 s11, vcc_lo, s11
	s_waitcnt lgkmcnt(0)
	v_ashrrev_i32_e32 v13, 31, v8
	v_add_co_u32 v6, s10, v6, v8
	v_add_co_ci_u32_e64 v7, s10, v7, v13, s10
	s_and_not1_b32 exec_lo, exec_lo, s11
	s_cbranch_execz .LBB237_17
.LBB237_65:                             ;   Parent Loop BB237_18 Depth=1
                                        ; =>  This Inner Loop Header: Depth=2
	ds_load_u8 v20, v12 offset:16384
	ds_load_b64 v[8:9], v11
	s_waitcnt lgkmcnt(0)
	s_barrier
	buffer_gl0_inv
	v_cmp_ne_u16_e32 vcc_lo, 0, v20
	s_bcnt1_i32_b32 s10, vcc_lo
	v_and_b32_e32 v21, vcc_lo, v5
	v_mov_b32_e32 v13, s10
	s_mov_b32 s10, exec_lo
	ds_store_b32 v33, v13
	s_waitcnt lgkmcnt(0)
	s_barrier
	buffer_gl0_inv
	ds_load_b128 v[13:16], v1
	ds_load_b96 v[17:19], v1 offset:16
	s_waitcnt lgkmcnt(1)
	v_cndmask_b32_e64 v13, v13, 0, s3
	v_cndmask_b32_e64 v14, v14, 0, s4
	;; [unrolled: 1-line block ×4, first 2 shown]
	s_waitcnt lgkmcnt(0)
	v_cndmask_b32_e64 v17, v17, 0, s7
	v_bcnt_u32_b32 v13, v21, v13
	s_delay_alu instid0(VALU_DEP_1) | instskip(SKIP_2) | instid1(VALU_DEP_3)
	v_add3_u32 v13, v13, v14, v15
	v_cndmask_b32_e64 v14, v18, 0, s8
	v_cndmask_b32_e64 v15, v19, 0, s9
	v_add3_u32 v13, v13, v16, v17
	v_and_b32_e32 v16, 1, v20
	s_delay_alu instid0(VALU_DEP_2) | instskip(NEXT) | instid1(VALU_DEP_2)
	v_add3_u32 v13, v13, v14, v15
	v_cmpx_eq_u32_e32 1, v16
	s_cbranch_execz .LBB237_67
; %bb.66:                               ;   in Loop: Header=BB237_65 Depth=2
	s_delay_alu instid0(VALU_DEP_2) | instskip(SKIP_2) | instid1(VALU_DEP_3)
	v_ashrrev_i32_e32 v15, 31, v13
	v_add_co_u32 v14, vcc_lo, v6, v13
	v_add_nc_u32_e32 v18, v10, v12
	v_add_co_ci_u32_e32 v15, vcc_lo, v7, v15, vcc_lo
	s_delay_alu instid0(VALU_DEP_1) | instskip(SKIP_1) | instid1(VALU_DEP_2)
	v_lshlrev_b64 v[16:17], 2, v[14:15]
	v_lshlrev_b64 v[14:15], 3, v[14:15]
	v_add_co_u32 v16, vcc_lo, s30, v16
	s_delay_alu instid0(VALU_DEP_3) | instskip(NEXT) | instid1(VALU_DEP_3)
	v_add_co_ci_u32_e32 v17, vcc_lo, s31, v17, vcc_lo
	v_add_co_u32 v14, vcc_lo, s53, v14
	s_delay_alu instid0(VALU_DEP_4)
	v_add_co_ci_u32_e32 v15, vcc_lo, s54, v15, vcc_lo
	global_store_b32 v[16:17], v18, off
	global_store_b64 v[14:15], v[8:9], off
.LBB237_67:                             ;   in Loop: Header=BB237_65 Depth=2
	s_or_b32 exec_lo, exec_lo, s10
	s_and_saveexec_b32 s10, s2
	s_cbranch_execz .LBB237_64
; %bb.68:                               ;   in Loop: Header=BB237_65 Depth=2
	ds_store_b32 v1, v13 offset:28
	s_branch .LBB237_64
.LBB237_69:
	s_endpgm
	.section	.rodata,"a",@progbits
	.p2align	6, 0x0
	.amdhsa_kernel _ZN9rocsparseL36csrgemm_fill_block_per_row_multipassILj512ELj16ELj2048ELj64Eli21rocsparse_complex_numIfEEEvT4_PKS3_S5_NS_24const_host_device_scalarIT5_EEPKT3_S5_PKS7_SB_S5_SD_S8_SB_S5_SD_SB_PS3_PS7_PS9_21rocsparse_index_base_SH_SH_SH_bbb
		.amdhsa_group_segment_fixed_size 18436
		.amdhsa_private_segment_fixed_size 0
		.amdhsa_kernarg_size 164
		.amdhsa_user_sgpr_count 15
		.amdhsa_user_sgpr_dispatch_ptr 0
		.amdhsa_user_sgpr_queue_ptr 0
		.amdhsa_user_sgpr_kernarg_segment_ptr 1
		.amdhsa_user_sgpr_dispatch_id 0
		.amdhsa_user_sgpr_private_segment_size 0
		.amdhsa_wavefront_size32 1
		.amdhsa_uses_dynamic_stack 0
		.amdhsa_enable_private_segment 0
		.amdhsa_system_sgpr_workgroup_id_x 1
		.amdhsa_system_sgpr_workgroup_id_y 0
		.amdhsa_system_sgpr_workgroup_id_z 0
		.amdhsa_system_sgpr_workgroup_info 0
		.amdhsa_system_vgpr_workitem_id 0
		.amdhsa_next_free_vgpr 44
		.amdhsa_next_free_sgpr 61
		.amdhsa_reserve_vcc 1
		.amdhsa_float_round_mode_32 0
		.amdhsa_float_round_mode_16_64 0
		.amdhsa_float_denorm_mode_32 3
		.amdhsa_float_denorm_mode_16_64 3
		.amdhsa_dx10_clamp 1
		.amdhsa_ieee_mode 1
		.amdhsa_fp16_overflow 0
		.amdhsa_workgroup_processor_mode 1
		.amdhsa_memory_ordered 1
		.amdhsa_forward_progress 0
		.amdhsa_shared_vgpr_count 0
		.amdhsa_exception_fp_ieee_invalid_op 0
		.amdhsa_exception_fp_denorm_src 0
		.amdhsa_exception_fp_ieee_div_zero 0
		.amdhsa_exception_fp_ieee_overflow 0
		.amdhsa_exception_fp_ieee_underflow 0
		.amdhsa_exception_fp_ieee_inexact 0
		.amdhsa_exception_int_div_zero 0
	.end_amdhsa_kernel
	.section	.text._ZN9rocsparseL36csrgemm_fill_block_per_row_multipassILj512ELj16ELj2048ELj64Eli21rocsparse_complex_numIfEEEvT4_PKS3_S5_NS_24const_host_device_scalarIT5_EEPKT3_S5_PKS7_SB_S5_SD_S8_SB_S5_SD_SB_PS3_PS7_PS9_21rocsparse_index_base_SH_SH_SH_bbb,"axG",@progbits,_ZN9rocsparseL36csrgemm_fill_block_per_row_multipassILj512ELj16ELj2048ELj64Eli21rocsparse_complex_numIfEEEvT4_PKS3_S5_NS_24const_host_device_scalarIT5_EEPKT3_S5_PKS7_SB_S5_SD_S8_SB_S5_SD_SB_PS3_PS7_PS9_21rocsparse_index_base_SH_SH_SH_bbb,comdat
.Lfunc_end237:
	.size	_ZN9rocsparseL36csrgemm_fill_block_per_row_multipassILj512ELj16ELj2048ELj64Eli21rocsparse_complex_numIfEEEvT4_PKS3_S5_NS_24const_host_device_scalarIT5_EEPKT3_S5_PKS7_SB_S5_SD_S8_SB_S5_SD_SB_PS3_PS7_PS9_21rocsparse_index_base_SH_SH_SH_bbb, .Lfunc_end237-_ZN9rocsparseL36csrgemm_fill_block_per_row_multipassILj512ELj16ELj2048ELj64Eli21rocsparse_complex_numIfEEEvT4_PKS3_S5_NS_24const_host_device_scalarIT5_EEPKT3_S5_PKS7_SB_S5_SD_S8_SB_S5_SD_SB_PS3_PS7_PS9_21rocsparse_index_base_SH_SH_SH_bbb
                                        ; -- End function
	.section	.AMDGPU.csdata,"",@progbits
; Kernel info:
; codeLenInByte = 3028
; NumSgprs: 63
; NumVgprs: 44
; ScratchSize: 0
; MemoryBound: 0
; FloatMode: 240
; IeeeMode: 1
; LDSByteSize: 18436 bytes/workgroup (compile time only)
; SGPRBlocks: 7
; VGPRBlocks: 5
; NumSGPRsForWavesPerEU: 63
; NumVGPRsForWavesPerEU: 44
; Occupancy: 16
; WaveLimiterHint : 1
; COMPUTE_PGM_RSRC2:SCRATCH_EN: 0
; COMPUTE_PGM_RSRC2:USER_SGPR: 15
; COMPUTE_PGM_RSRC2:TRAP_HANDLER: 0
; COMPUTE_PGM_RSRC2:TGID_X_EN: 1
; COMPUTE_PGM_RSRC2:TGID_Y_EN: 0
; COMPUTE_PGM_RSRC2:TGID_Z_EN: 0
; COMPUTE_PGM_RSRC2:TIDIG_COMP_CNT: 0
	.section	.text._ZN9rocsparseL26csrgemm_group_reduce_part2ILj256ELj11E21rocsparse_complex_numIdEliEEvT3_PKT2_PS3_Pij,"axG",@progbits,_ZN9rocsparseL26csrgemm_group_reduce_part2ILj256ELj11E21rocsparse_complex_numIdEliEEvT3_PKT2_PS3_Pij,comdat
	.globl	_ZN9rocsparseL26csrgemm_group_reduce_part2ILj256ELj11E21rocsparse_complex_numIdEliEEvT3_PKT2_PS3_Pij ; -- Begin function _ZN9rocsparseL26csrgemm_group_reduce_part2ILj256ELj11E21rocsparse_complex_numIdEliEEvT3_PKT2_PS3_Pij
	.p2align	8
	.type	_ZN9rocsparseL26csrgemm_group_reduce_part2ILj256ELj11E21rocsparse_complex_numIdEliEEvT3_PKT2_PS3_Pij,@function
_ZN9rocsparseL26csrgemm_group_reduce_part2ILj256ELj11E21rocsparse_complex_numIdEliEEvT3_PKT2_PS3_Pij: ; @_ZN9rocsparseL26csrgemm_group_reduce_part2ILj256ELj11E21rocsparse_complex_numIdEliEEvT3_PKT2_PS3_Pij
; %bb.0:
	s_clause 0x1
	s_load_b32 s8, s[0:1], 0x0
	s_load_b64 s[2:3], s[0:1], 0x10
	v_mul_u32_u24_e32 v2, 11, v0
	v_mov_b32_e32 v6, 0
	v_lshl_or_b32 v1, s15, 8, v0
	s_mov_b32 s9, 0
	s_mov_b32 s10, exec_lo
	v_lshlrev_b32_e32 v5, 2, v2
	ds_store_2addr_b32 v5, v6, v6 offset1:1
	ds_store_2addr_b32 v5, v6, v6 offset0:2 offset1:3
	ds_store_2addr_b32 v5, v6, v6 offset0:4 offset1:5
	;; [unrolled: 1-line block ×4, first 2 shown]
	ds_store_b32 v5, v6 offset:40
	s_waitcnt lgkmcnt(0)
	buffer_gl0_inv
	v_cmpx_gt_i32_e64 s8, v1
	s_cbranch_execz .LBB238_43
; %bb.1:
	s_clause 0x3
	s_load_b32 s11, s[0:1], 0x20
	s_load_b32 s12, s[0:1], 0x28
	s_load_b64 s[4:5], s[0:1], 0x8
	s_load_b64 s[6:7], s[0:1], 0x18
	v_dual_mov_b32 v7, 6 :: v_dual_mov_b32 v8, 7
	v_dual_mov_b32 v9, 8 :: v_dual_mov_b32 v10, 9
	v_dual_mov_b32 v11, 10 :: v_dual_mov_b32 v12, 5
	v_dual_mov_b32 v13, 4 :: v_dual_mov_b32 v14, 3
	v_dual_mov_b32 v15, 2 :: v_dual_mov_b32 v16, 1
	s_waitcnt lgkmcnt(0)
	s_cmp_lt_u32 s11, 0x14084
	s_cselect_b32 s0, -1, 0
	s_cmp_lt_u32 s11, 0x28084
	s_cselect_b32 s13, -1, 0
	;; [unrolled: 2-line block ×4, first 2 shown]
	s_lshl_b32 s1, s12, 8
	s_xor_b32 s11, s0, -1
	s_xor_b32 s12, s13, -1
	;; [unrolled: 1-line block ×4, first 2 shown]
	s_branch .LBB238_3
.LBB238_2:                              ;   in Loop: Header=BB238_3 Depth=1
	s_or_b32 exec_lo, exec_lo, s0
	v_add_nc_u32_e32 v1, s1, v1
	s_delay_alu instid0(VALU_DEP_1) | instskip(SKIP_1) | instid1(SALU_CYCLE_1)
	v_cmp_le_i32_e32 vcc_lo, s8, v1
	s_or_b32 s9, vcc_lo, s9
	s_and_not1_b32 exec_lo, exec_lo, s9
	s_cbranch_execz .LBB238_43
.LBB238_3:                              ; =>This Inner Loop Header: Depth=1
	v_ashrrev_i32_e32 v2, 31, v1
	s_mov_b32 s0, exec_lo
	s_delay_alu instid0(VALU_DEP_1) | instskip(NEXT) | instid1(VALU_DEP_1)
	v_lshlrev_b64 v[3:4], 3, v[1:2]
	v_add_co_u32 v3, vcc_lo, s4, v3
	s_delay_alu instid0(VALU_DEP_2) | instskip(SKIP_4) | instid1(VALU_DEP_1)
	v_add_co_ci_u32_e32 v4, vcc_lo, s5, v4, vcc_lo
	global_load_b128 v[17:20], v[3:4], off
	s_waitcnt vmcnt(0)
	v_sub_co_u32 v3, vcc_lo, v19, v17
	v_sub_co_ci_u32_e32 v4, vcc_lo, v20, v18, vcc_lo
	v_cmpx_lt_i64_e32 16, v[3:4]
	s_xor_b32 s16, exec_lo, s0
	s_cbranch_execz .LBB238_41
; %bb.4:                                ;   in Loop: Header=BB238_3 Depth=1
	s_mov_b32 s0, exec_lo
	v_cmpx_lt_u64_e32 32, v[3:4]
	s_xor_b32 s17, exec_lo, s0
	s_cbranch_execz .LBB238_38
; %bb.5:                                ;   in Loop: Header=BB238_3 Depth=1
	s_mov_b32 s0, exec_lo
	v_cmpx_lt_u64_e32 0x100, v[3:4]
	s_xor_b32 s18, exec_lo, s0
	s_cbranch_execz .LBB238_35
; %bb.6:                                ;   in Loop: Header=BB238_3 Depth=1
	s_mov_b32 s0, exec_lo
	v_cmpx_lt_u64_e32 0x200, v[3:4]
	s_xor_b32 s19, exec_lo, s0
	s_cbranch_execz .LBB238_32
; %bb.7:                                ;   in Loop: Header=BB238_3 Depth=1
	s_mov_b32 s0, exec_lo
	v_cmpx_lt_u64_e32 0x400, v[3:4]
	s_xor_b32 s20, exec_lo, s0
	s_cbranch_execz .LBB238_29
; %bb.8:                                ;   in Loop: Header=BB238_3 Depth=1
	s_mov_b32 s0, exec_lo
	v_cmpx_lt_u64_e32 0x800, v[3:4]
	s_xor_b32 s21, exec_lo, s0
	s_cbranch_execz .LBB238_26
; %bb.9:                                ;   in Loop: Header=BB238_3 Depth=1
	v_cmp_gt_u64_e32 vcc_lo, 0x1001, v[3:4]
	s_and_b32 s0, s11, vcc_lo
	s_delay_alu instid0(SALU_CYCLE_1) | instskip(NEXT) | instid1(SALU_CYCLE_1)
	s_and_saveexec_b32 s22, s0
	s_xor_b32 s0, exec_lo, s22
	s_cbranch_execz .LBB238_11
; %bb.10:                               ;   in Loop: Header=BB238_3 Depth=1
	ds_load_b32 v17, v5 offset:24
	v_lshlrev_b64 v[3:4], 2, v[1:2]
	s_delay_alu instid0(VALU_DEP_1) | instskip(NEXT) | instid1(VALU_DEP_2)
	v_add_co_u32 v3, vcc_lo, s6, v3
	v_add_co_ci_u32_e32 v4, vcc_lo, s7, v4, vcc_lo
	global_store_b32 v[3:4], v7, off
                                        ; implicit-def: $vgpr3_vgpr4
	s_waitcnt lgkmcnt(0)
	v_add_nc_u32_e32 v17, 1, v17
	ds_store_b32 v5, v17 offset:24
.LBB238_11:                             ;   in Loop: Header=BB238_3 Depth=1
	s_and_not1_saveexec_b32 s22, s0
	s_cbranch_execz .LBB238_25
; %bb.12:                               ;   in Loop: Header=BB238_3 Depth=1
	v_cmp_gt_u64_e32 vcc_lo, 0x2001, v[3:4]
	s_and_b32 s0, s12, vcc_lo
	s_delay_alu instid0(SALU_CYCLE_1) | instskip(NEXT) | instid1(SALU_CYCLE_1)
	s_and_saveexec_b32 s23, s0
	s_xor_b32 s0, exec_lo, s23
	s_cbranch_execz .LBB238_14
; %bb.13:                               ;   in Loop: Header=BB238_3 Depth=1
	ds_load_b32 v17, v5 offset:28
	v_lshlrev_b64 v[3:4], 2, v[1:2]
	s_delay_alu instid0(VALU_DEP_1) | instskip(NEXT) | instid1(VALU_DEP_2)
	v_add_co_u32 v3, vcc_lo, s6, v3
	v_add_co_ci_u32_e32 v4, vcc_lo, s7, v4, vcc_lo
	global_store_b32 v[3:4], v8, off
                                        ; implicit-def: $vgpr3_vgpr4
	s_waitcnt lgkmcnt(0)
	v_add_nc_u32_e32 v17, 1, v17
	ds_store_b32 v5, v17 offset:28
.LBB238_14:                             ;   in Loop: Header=BB238_3 Depth=1
	s_and_not1_saveexec_b32 s23, s0
	s_cbranch_execz .LBB238_24
; %bb.15:                               ;   in Loop: Header=BB238_3 Depth=1
	v_cmp_gt_u64_e32 vcc_lo, 0x4001, v[3:4]
	s_and_b32 s0, s13, vcc_lo
	s_delay_alu instid0(SALU_CYCLE_1) | instskip(NEXT) | instid1(SALU_CYCLE_1)
	s_and_saveexec_b32 s24, s0
	s_xor_b32 s0, exec_lo, s24
	s_cbranch_execz .LBB238_17
; %bb.16:                               ;   in Loop: Header=BB238_3 Depth=1
	ds_load_b32 v17, v5 offset:32
	v_lshlrev_b64 v[3:4], 2, v[1:2]
	s_delay_alu instid0(VALU_DEP_1) | instskip(NEXT) | instid1(VALU_DEP_2)
	v_add_co_u32 v3, vcc_lo, s6, v3
	v_add_co_ci_u32_e32 v4, vcc_lo, s7, v4, vcc_lo
	global_store_b32 v[3:4], v9, off
                                        ; implicit-def: $vgpr3_vgpr4
	s_waitcnt lgkmcnt(0)
	v_add_nc_u32_e32 v17, 1, v17
	ds_store_b32 v5, v17 offset:32
.LBB238_17:                             ;   in Loop: Header=BB238_3 Depth=1
	s_and_not1_saveexec_b32 s24, s0
	s_cbranch_execz .LBB238_23
; %bb.18:                               ;   in Loop: Header=BB238_3 Depth=1
	v_lshlrev_b64 v[17:18], 2, v[1:2]
	v_cmp_gt_u64_e32 vcc_lo, 0x8001, v[3:4]
	s_delay_alu instid0(VALU_DEP_2) | instskip(NEXT) | instid1(VALU_DEP_1)
	v_add_co_u32 v3, s0, s6, v17
	v_add_co_ci_u32_e64 v4, s0, s7, v18, s0
	s_and_b32 s0, s14, vcc_lo
	s_delay_alu instid0(SALU_CYCLE_1) | instskip(NEXT) | instid1(SALU_CYCLE_1)
	s_and_saveexec_b32 s25, s0
	s_xor_b32 s0, exec_lo, s25
	s_cbranch_execz .LBB238_20
; %bb.19:                               ;   in Loop: Header=BB238_3 Depth=1
	ds_load_b32 v17, v5 offset:36
	global_store_b32 v[3:4], v10, off
                                        ; implicit-def: $vgpr3_vgpr4
	s_waitcnt lgkmcnt(0)
	v_add_nc_u32_e32 v17, 1, v17
	ds_store_b32 v5, v17 offset:36
.LBB238_20:                             ;   in Loop: Header=BB238_3 Depth=1
	s_and_not1_saveexec_b32 s0, s0
	s_cbranch_execz .LBB238_22
; %bb.21:                               ;   in Loop: Header=BB238_3 Depth=1
	ds_load_b32 v17, v5 offset:40
	global_store_b32 v[3:4], v11, off
	s_waitcnt lgkmcnt(0)
	v_add_nc_u32_e32 v17, 1, v17
	ds_store_b32 v5, v17 offset:40
.LBB238_22:                             ;   in Loop: Header=BB238_3 Depth=1
	s_or_b32 exec_lo, exec_lo, s0
.LBB238_23:                             ;   in Loop: Header=BB238_3 Depth=1
	s_delay_alu instid0(SALU_CYCLE_1)
	s_or_b32 exec_lo, exec_lo, s24
.LBB238_24:                             ;   in Loop: Header=BB238_3 Depth=1
	s_delay_alu instid0(SALU_CYCLE_1)
	s_or_b32 exec_lo, exec_lo, s23
.LBB238_25:                             ;   in Loop: Header=BB238_3 Depth=1
	s_delay_alu instid0(SALU_CYCLE_1)
	s_or_b32 exec_lo, exec_lo, s22
.LBB238_26:                             ;   in Loop: Header=BB238_3 Depth=1
	s_and_not1_saveexec_b32 s0, s21
	s_cbranch_execz .LBB238_28
; %bb.27:                               ;   in Loop: Header=BB238_3 Depth=1
	ds_load_b32 v17, v5 offset:20
	v_lshlrev_b64 v[3:4], 2, v[1:2]
	s_delay_alu instid0(VALU_DEP_1) | instskip(NEXT) | instid1(VALU_DEP_2)
	v_add_co_u32 v3, vcc_lo, s6, v3
	v_add_co_ci_u32_e32 v4, vcc_lo, s7, v4, vcc_lo
	global_store_b32 v[3:4], v12, off
	s_waitcnt lgkmcnt(0)
	v_add_nc_u32_e32 v17, 1, v17
	ds_store_b32 v5, v17 offset:20
.LBB238_28:                             ;   in Loop: Header=BB238_3 Depth=1
	s_or_b32 exec_lo, exec_lo, s0
.LBB238_29:                             ;   in Loop: Header=BB238_3 Depth=1
	s_and_not1_saveexec_b32 s0, s20
	s_cbranch_execz .LBB238_31
; %bb.30:                               ;   in Loop: Header=BB238_3 Depth=1
	ds_load_b32 v17, v5 offset:16
	v_lshlrev_b64 v[3:4], 2, v[1:2]
	s_delay_alu instid0(VALU_DEP_1) | instskip(NEXT) | instid1(VALU_DEP_2)
	v_add_co_u32 v3, vcc_lo, s6, v3
	v_add_co_ci_u32_e32 v4, vcc_lo, s7, v4, vcc_lo
	global_store_b32 v[3:4], v13, off
	s_waitcnt lgkmcnt(0)
	v_add_nc_u32_e32 v17, 1, v17
	ds_store_b32 v5, v17 offset:16
.LBB238_31:                             ;   in Loop: Header=BB238_3 Depth=1
	s_or_b32 exec_lo, exec_lo, s0
.LBB238_32:                             ;   in Loop: Header=BB238_3 Depth=1
	s_and_not1_saveexec_b32 s0, s19
	s_cbranch_execz .LBB238_34
; %bb.33:                               ;   in Loop: Header=BB238_3 Depth=1
	ds_load_b32 v17, v5 offset:12
	v_lshlrev_b64 v[3:4], 2, v[1:2]
	s_delay_alu instid0(VALU_DEP_1) | instskip(NEXT) | instid1(VALU_DEP_2)
	v_add_co_u32 v3, vcc_lo, s6, v3
	v_add_co_ci_u32_e32 v4, vcc_lo, s7, v4, vcc_lo
	global_store_b32 v[3:4], v14, off
	s_waitcnt lgkmcnt(0)
	v_add_nc_u32_e32 v17, 1, v17
	ds_store_b32 v5, v17 offset:12
.LBB238_34:                             ;   in Loop: Header=BB238_3 Depth=1
	s_or_b32 exec_lo, exec_lo, s0
.LBB238_35:                             ;   in Loop: Header=BB238_3 Depth=1
	s_and_not1_saveexec_b32 s0, s18
	s_cbranch_execz .LBB238_37
; %bb.36:                               ;   in Loop: Header=BB238_3 Depth=1
	ds_load_b32 v17, v5 offset:8
	v_lshlrev_b64 v[3:4], 2, v[1:2]
	s_delay_alu instid0(VALU_DEP_1) | instskip(NEXT) | instid1(VALU_DEP_2)
	v_add_co_u32 v3, vcc_lo, s6, v3
	v_add_co_ci_u32_e32 v4, vcc_lo, s7, v4, vcc_lo
	global_store_b32 v[3:4], v15, off
	s_waitcnt lgkmcnt(0)
	v_add_nc_u32_e32 v17, 1, v17
	ds_store_b32 v5, v17 offset:8
.LBB238_37:                             ;   in Loop: Header=BB238_3 Depth=1
	s_or_b32 exec_lo, exec_lo, s0
.LBB238_38:                             ;   in Loop: Header=BB238_3 Depth=1
	s_and_not1_saveexec_b32 s0, s17
	s_cbranch_execz .LBB238_40
; %bb.39:                               ;   in Loop: Header=BB238_3 Depth=1
	ds_load_b32 v17, v5 offset:4
	v_lshlrev_b64 v[3:4], 2, v[1:2]
	s_delay_alu instid0(VALU_DEP_1) | instskip(NEXT) | instid1(VALU_DEP_2)
	v_add_co_u32 v3, vcc_lo, s6, v3
	v_add_co_ci_u32_e32 v4, vcc_lo, s7, v4, vcc_lo
	global_store_b32 v[3:4], v16, off
	s_waitcnt lgkmcnt(0)
	v_add_nc_u32_e32 v17, 1, v17
	ds_store_b32 v5, v17 offset:4
.LBB238_40:                             ;   in Loop: Header=BB238_3 Depth=1
	s_or_b32 exec_lo, exec_lo, s0
.LBB238_41:                             ;   in Loop: Header=BB238_3 Depth=1
	s_and_not1_saveexec_b32 s0, s16
	s_cbranch_execz .LBB238_2
; %bb.42:                               ;   in Loop: Header=BB238_3 Depth=1
	ds_load_b32 v4, v5
	v_lshlrev_b64 v[2:3], 2, v[1:2]
	s_delay_alu instid0(VALU_DEP_1) | instskip(NEXT) | instid1(VALU_DEP_2)
	v_add_co_u32 v2, vcc_lo, s6, v2
	v_add_co_ci_u32_e32 v3, vcc_lo, s7, v3, vcc_lo
	global_store_b32 v[2:3], v6, off
	s_waitcnt lgkmcnt(0)
	v_add_nc_u32_e32 v4, 1, v4
	ds_store_b32 v5, v4
	s_branch .LBB238_2
.LBB238_43:
	s_or_b32 exec_lo, exec_lo, s10
	s_delay_alu instid0(SALU_CYCLE_1)
	s_mov_b32 s0, exec_lo
	s_waitcnt lgkmcnt(0)
	s_waitcnt_vscnt null, 0x0
	s_barrier
	buffer_gl0_inv
	s_barrier
	buffer_gl0_inv
	;; [unrolled: 2-line block ×3, first 2 shown]
	v_cmpx_gt_u32_e32 0x80, v0
	s_cbranch_execz .LBB238_45
; %bb.44:
	v_add_nc_u32_e32 v1, 0x1600, v5
	v_add_nc_u32_e32 v3, 0x1608, v5
	;; [unrolled: 1-line block ×5, first 2 shown]
	ds_load_2addr_b32 v[1:2], v1 offset1:1
	ds_load_2addr_b32 v[3:4], v3 offset1:1
	;; [unrolled: 1-line block ×4, first 2 shown]
	ds_load_2addr_b32 v[10:11], v5 offset0:2 offset1:3
	ds_load_2addr_b32 v[12:13], v5 offset0:4 offset1:5
	;; [unrolled: 1-line block ×3, first 2 shown]
	v_add_nc_u32_e32 v22, 40, v5
	ds_load_2addr_b32 v[16:17], v16 offset1:1
	ds_load_2addr_b32 v[18:19], v18 offset1:1
	ds_load_2addr_b32 v[20:21], v5 offset0:8 offset1:9
	ds_load_2addr_stride64_b32 v[22:23], v22 offset1:22
	s_waitcnt lgkmcnt(6)
	v_add_nc_u32_e32 v3, v10, v3
	v_add_nc_u32_e32 v1, v8, v1
	;; [unrolled: 1-line block ×4, first 2 shown]
	s_waitcnt lgkmcnt(5)
	v_add_nc_u32_e32 v6, v12, v6
	v_add_nc_u32_e32 v7, v13, v7
	s_waitcnt lgkmcnt(3)
	v_add_nc_u32_e32 v8, v14, v16
	v_add_nc_u32_e32 v9, v15, v17
	;; [unrolled: 3-line block ×3, first 2 shown]
	s_waitcnt lgkmcnt(0)
	v_add_nc_u32_e32 v12, v22, v23
	ds_store_2addr_b32 v5, v1, v2 offset1:1
	ds_store_2addr_b32 v5, v3, v4 offset0:2 offset1:3
	ds_store_2addr_b32 v5, v6, v7 offset0:4 offset1:5
	;; [unrolled: 1-line block ×4, first 2 shown]
	ds_store_b32 v5, v12 offset:40
.LBB238_45:
	s_or_b32 exec_lo, exec_lo, s0
	s_delay_alu instid0(SALU_CYCLE_1)
	s_mov_b32 s0, exec_lo
	s_waitcnt lgkmcnt(0)
	s_barrier
	buffer_gl0_inv
	v_cmpx_gt_u32_e32 64, v0
	s_cbranch_execz .LBB238_47
; %bb.46:
	v_add_nc_u32_e32 v1, 0xb00, v5
	v_add_nc_u32_e32 v3, 0xb08, v5
	;; [unrolled: 1-line block ×5, first 2 shown]
	ds_load_2addr_b32 v[1:2], v1 offset1:1
	ds_load_2addr_b32 v[3:4], v3 offset1:1
	;; [unrolled: 1-line block ×4, first 2 shown]
	ds_load_2addr_b32 v[10:11], v5 offset0:2 offset1:3
	ds_load_2addr_b32 v[12:13], v5 offset0:4 offset1:5
	ds_load_2addr_b32 v[14:15], v5 offset0:6 offset1:7
	v_add_nc_u32_e32 v22, 40, v5
	ds_load_2addr_b32 v[16:17], v16 offset1:1
	ds_load_2addr_b32 v[18:19], v18 offset1:1
	ds_load_2addr_b32 v[20:21], v5 offset0:8 offset1:9
	ds_load_2addr_stride64_b32 v[22:23], v22 offset1:11
	s_waitcnt lgkmcnt(6)
	v_add_nc_u32_e32 v3, v10, v3
	v_add_nc_u32_e32 v1, v8, v1
	;; [unrolled: 1-line block ×4, first 2 shown]
	s_waitcnt lgkmcnt(5)
	v_add_nc_u32_e32 v6, v12, v6
	v_add_nc_u32_e32 v7, v13, v7
	s_waitcnt lgkmcnt(3)
	v_add_nc_u32_e32 v8, v14, v16
	v_add_nc_u32_e32 v9, v15, v17
	s_waitcnt lgkmcnt(1)
	v_add_nc_u32_e32 v10, v20, v18
	v_add_nc_u32_e32 v11, v21, v19
	s_waitcnt lgkmcnt(0)
	v_add_nc_u32_e32 v12, v22, v23
	ds_store_2addr_b32 v5, v1, v2 offset1:1
	ds_store_2addr_b32 v5, v3, v4 offset0:2 offset1:3
	ds_store_2addr_b32 v5, v6, v7 offset0:4 offset1:5
	;; [unrolled: 1-line block ×4, first 2 shown]
	ds_store_b32 v5, v12 offset:40
.LBB238_47:
	s_or_b32 exec_lo, exec_lo, s0
	s_delay_alu instid0(SALU_CYCLE_1)
	s_mov_b32 s0, exec_lo
	s_waitcnt lgkmcnt(0)
	s_barrier
	buffer_gl0_inv
	v_cmpx_gt_u32_e32 32, v0
	s_cbranch_execz .LBB238_49
; %bb.48:
	v_add_nc_u32_e32 v6, 0x580, v5
	v_add_nc_u32_e32 v8, 0x588, v5
	ds_load_2addr_b32 v[1:2], v5 offset1:1
	ds_load_2addr_b32 v[3:4], v5 offset0:2 offset1:3
	v_add_nc_u32_e32 v10, 0x590, v5
	v_add_nc_u32_e32 v16, 0x598, v5
	ds_load_2addr_b32 v[6:7], v6 offset1:1
	v_add_nc_u32_e32 v18, 0x5a0, v5
	ds_load_2addr_b32 v[8:9], v8 offset1:1
	ds_load_2addr_b32 v[10:11], v10 offset1:1
	ds_load_2addr_b32 v[12:13], v5 offset0:4 offset1:5
	ds_load_2addr_b32 v[14:15], v5 offset0:6 offset1:7
	ds_load_2addr_b32 v[16:17], v16 offset1:1
	ds_load_2addr_b32 v[18:19], v18 offset1:1
	ds_load_2addr_b32 v[20:21], v5 offset0:8 offset1:9
	ds_load_b32 v22, v5 offset:1448
	ds_load_b32 v23, v5 offset:40
	s_waitcnt lgkmcnt(8)
	v_add_nc_u32_e32 v3, v3, v8
	v_add_nc_u32_e32 v4, v4, v9
	s_waitcnt lgkmcnt(4)
	v_add_nc_u32_e32 v8, v14, v16
	v_add_nc_u32_e32 v1, v1, v6
	;; [unrolled: 1-line block ×6, first 2 shown]
	s_waitcnt lgkmcnt(2)
	v_add_nc_u32_e32 v10, v20, v18
	v_add_nc_u32_e32 v11, v21, v19
	s_waitcnt lgkmcnt(0)
	v_add_nc_u32_e32 v12, v23, v22
	ds_store_2addr_b32 v5, v1, v2 offset1:1
	ds_store_2addr_b32 v5, v3, v4 offset0:2 offset1:3
	ds_store_2addr_b32 v5, v6, v7 offset0:4 offset1:5
	ds_store_2addr_b32 v5, v8, v9 offset0:6 offset1:7
	ds_store_2addr_b32 v5, v10, v11 offset0:8 offset1:9
	ds_store_b32 v5, v12 offset:40
.LBB238_49:
	s_or_b32 exec_lo, exec_lo, s0
	s_delay_alu instid0(SALU_CYCLE_1)
	s_mov_b32 s0, exec_lo
	s_waitcnt lgkmcnt(0)
	s_barrier
	buffer_gl0_inv
	v_cmpx_gt_u32_e32 16, v0
	s_cbranch_execz .LBB238_51
; %bb.50:
	ds_load_2addr_b32 v[1:2], v5 offset0:176 offset1:177
	ds_load_2addr_b32 v[3:4], v5 offset1:1
	ds_load_2addr_b32 v[6:7], v5 offset0:2 offset1:3
	ds_load_2addr_b32 v[8:9], v5 offset0:178 offset1:179
	ds_load_2addr_b32 v[10:11], v5 offset0:180 offset1:181
	ds_load_2addr_b32 v[12:13], v5 offset0:4 offset1:5
	ds_load_2addr_b32 v[14:15], v5 offset0:6 offset1:7
	ds_load_2addr_b32 v[16:17], v5 offset0:182 offset1:183
	ds_load_2addr_b32 v[18:19], v5 offset0:184 offset1:185
	ds_load_2addr_b32 v[20:21], v5 offset0:8 offset1:9
	ds_load_2addr_b32 v[22:23], v5 offset0:10 offset1:186
	s_waitcnt lgkmcnt(9)
	v_add_nc_u32_e32 v1, v3, v1
	v_add_nc_u32_e32 v2, v4, v2
	s_waitcnt lgkmcnt(7)
	v_add_nc_u32_e32 v3, v6, v8
	v_add_nc_u32_e32 v4, v7, v9
	s_waitcnt lgkmcnt(5)
	v_add_nc_u32_e32 v6, v12, v10
	v_add_nc_u32_e32 v7, v13, v11
	s_waitcnt lgkmcnt(3)
	v_add_nc_u32_e32 v8, v14, v16
	v_add_nc_u32_e32 v9, v15, v17
	s_waitcnt lgkmcnt(1)
	v_add_nc_u32_e32 v10, v20, v18
	v_add_nc_u32_e32 v11, v21, v19
	s_waitcnt lgkmcnt(0)
	v_add_nc_u32_e32 v12, v22, v23
	ds_store_2addr_b32 v5, v1, v2 offset1:1
	ds_store_2addr_b32 v5, v3, v4 offset0:2 offset1:3
	ds_store_2addr_b32 v5, v6, v7 offset0:4 offset1:5
	ds_store_2addr_b32 v5, v8, v9 offset0:6 offset1:7
	ds_store_2addr_b32 v5, v10, v11 offset0:8 offset1:9
	ds_store_b32 v5, v12 offset:40
.LBB238_51:
	s_or_b32 exec_lo, exec_lo, s0
	s_delay_alu instid0(SALU_CYCLE_1)
	s_mov_b32 s0, exec_lo
	s_waitcnt lgkmcnt(0)
	s_barrier
	buffer_gl0_inv
	v_cmpx_gt_u32_e32 8, v0
	s_cbranch_execz .LBB238_53
; %bb.52:
	ds_load_2addr_b32 v[1:2], v5 offset0:88 offset1:89
	ds_load_2addr_b32 v[3:4], v5 offset1:1
	ds_load_2addr_b32 v[6:7], v5 offset0:2 offset1:3
	ds_load_2addr_b32 v[8:9], v5 offset0:90 offset1:91
	ds_load_2addr_b32 v[10:11], v5 offset0:92 offset1:93
	ds_load_2addr_b32 v[12:13], v5 offset0:4 offset1:5
	ds_load_2addr_b32 v[14:15], v5 offset0:6 offset1:7
	ds_load_2addr_b32 v[16:17], v5 offset0:94 offset1:95
	ds_load_2addr_b32 v[18:19], v5 offset0:96 offset1:97
	ds_load_2addr_b32 v[20:21], v5 offset0:8 offset1:9
	ds_load_2addr_b32 v[22:23], v5 offset0:10 offset1:98
	s_waitcnt lgkmcnt(9)
	v_add_nc_u32_e32 v1, v3, v1
	v_add_nc_u32_e32 v2, v4, v2
	s_waitcnt lgkmcnt(7)
	v_add_nc_u32_e32 v3, v6, v8
	v_add_nc_u32_e32 v4, v7, v9
	s_waitcnt lgkmcnt(5)
	v_add_nc_u32_e32 v6, v12, v10
	v_add_nc_u32_e32 v7, v13, v11
	s_waitcnt lgkmcnt(3)
	v_add_nc_u32_e32 v8, v14, v16
	v_add_nc_u32_e32 v9, v15, v17
	s_waitcnt lgkmcnt(1)
	v_add_nc_u32_e32 v10, v20, v18
	v_add_nc_u32_e32 v11, v21, v19
	s_waitcnt lgkmcnt(0)
	v_add_nc_u32_e32 v12, v22, v23
	ds_store_2addr_b32 v5, v1, v2 offset1:1
	ds_store_2addr_b32 v5, v3, v4 offset0:2 offset1:3
	ds_store_2addr_b32 v5, v6, v7 offset0:4 offset1:5
	ds_store_2addr_b32 v5, v8, v9 offset0:6 offset1:7
	ds_store_2addr_b32 v5, v10, v11 offset0:8 offset1:9
	ds_store_b32 v5, v12 offset:40
.LBB238_53:
	;; [unrolled: 44-line block ×4, first 2 shown]
	s_or_b32 exec_lo, exec_lo, s0
	s_delay_alu instid0(SALU_CYCLE_1)
	s_mov_b32 s0, exec_lo
	s_waitcnt lgkmcnt(0)
	s_barrier
	buffer_gl0_inv
	v_cmpx_eq_u32_e32 0, v0
	s_cbranch_execz .LBB238_59
; %bb.58:
	v_mov_b32_e32 v23, 0
	ds_load_b128 v[1:4], v23
	ds_load_b128 v[5:8], v23 offset:32
	ds_load_b128 v[9:12], v23 offset:48
	;; [unrolled: 1-line block ×4, first 2 shown]
	ds_load_b64 v[21:22], v23 offset:80
	s_waitcnt lgkmcnt(4)
	v_add_nc_u32_e32 v1, v1, v8
	s_waitcnt lgkmcnt(3)
	v_add_nc_u32_e32 v2, v2, v9
	v_add_nc_u32_e32 v3, v3, v10
	;; [unrolled: 1-line block ×3, first 2 shown]
	s_waitcnt lgkmcnt(2)
	v_add_nc_u32_e32 v8, v13, v12
	s_waitcnt lgkmcnt(1)
	v_add_nc_u32_e32 v9, v14, v17
	v_add_nc_u32_e32 v10, v15, v18
	;; [unrolled: 1-line block ×4, first 2 shown]
	s_waitcnt lgkmcnt(0)
	v_add_nc_u32_e32 v6, v6, v21
	v_add_nc_u32_e32 v7, v7, v22
	ds_store_b128 v23, v[1:4]
	ds_store_b128 v23, v[8:11] offset:16
	ds_store_b96 v23, v[5:7] offset:32
.LBB238_59:
	s_or_b32 exec_lo, exec_lo, s0
	s_waitcnt lgkmcnt(0)
	s_barrier
	buffer_gl0_inv
	s_mov_b32 s0, exec_lo
	v_cmpx_gt_u32_e32 11, v0
	s_cbranch_execz .LBB238_61
; %bb.60:
	v_lshlrev_b32_e32 v3, 2, v0
	v_mad_u64_u32 v[1:2], null, s15, 11, v[0:1]
	v_mov_b32_e32 v2, 0
	ds_load_b32 v3, v3
	v_lshlrev_b64 v[0:1], 2, v[1:2]
	s_delay_alu instid0(VALU_DEP_1) | instskip(NEXT) | instid1(VALU_DEP_2)
	v_add_co_u32 v0, vcc_lo, s2, v0
	v_add_co_ci_u32_e32 v1, vcc_lo, s3, v1, vcc_lo
	s_waitcnt lgkmcnt(0)
	global_store_b32 v[0:1], v3, off
.LBB238_61:
	s_nop 0
	s_sendmsg sendmsg(MSG_DEALLOC_VGPRS)
	s_endpgm
	.section	.rodata,"a",@progbits
	.p2align	6, 0x0
	.amdhsa_kernel _ZN9rocsparseL26csrgemm_group_reduce_part2ILj256ELj11E21rocsparse_complex_numIdEliEEvT3_PKT2_PS3_Pij
		.amdhsa_group_segment_fixed_size 11264
		.amdhsa_private_segment_fixed_size 0
		.amdhsa_kernarg_size 296
		.amdhsa_user_sgpr_count 15
		.amdhsa_user_sgpr_dispatch_ptr 0
		.amdhsa_user_sgpr_queue_ptr 0
		.amdhsa_user_sgpr_kernarg_segment_ptr 1
		.amdhsa_user_sgpr_dispatch_id 0
		.amdhsa_user_sgpr_private_segment_size 0
		.amdhsa_wavefront_size32 1
		.amdhsa_uses_dynamic_stack 0
		.amdhsa_enable_private_segment 0
		.amdhsa_system_sgpr_workgroup_id_x 1
		.amdhsa_system_sgpr_workgroup_id_y 0
		.amdhsa_system_sgpr_workgroup_id_z 0
		.amdhsa_system_sgpr_workgroup_info 0
		.amdhsa_system_vgpr_workitem_id 0
		.amdhsa_next_free_vgpr 24
		.amdhsa_next_free_sgpr 26
		.amdhsa_reserve_vcc 1
		.amdhsa_float_round_mode_32 0
		.amdhsa_float_round_mode_16_64 0
		.amdhsa_float_denorm_mode_32 3
		.amdhsa_float_denorm_mode_16_64 3
		.amdhsa_dx10_clamp 1
		.amdhsa_ieee_mode 1
		.amdhsa_fp16_overflow 0
		.amdhsa_workgroup_processor_mode 1
		.amdhsa_memory_ordered 1
		.amdhsa_forward_progress 0
		.amdhsa_shared_vgpr_count 0
		.amdhsa_exception_fp_ieee_invalid_op 0
		.amdhsa_exception_fp_denorm_src 0
		.amdhsa_exception_fp_ieee_div_zero 0
		.amdhsa_exception_fp_ieee_overflow 0
		.amdhsa_exception_fp_ieee_underflow 0
		.amdhsa_exception_fp_ieee_inexact 0
		.amdhsa_exception_int_div_zero 0
	.end_amdhsa_kernel
	.section	.text._ZN9rocsparseL26csrgemm_group_reduce_part2ILj256ELj11E21rocsparse_complex_numIdEliEEvT3_PKT2_PS3_Pij,"axG",@progbits,_ZN9rocsparseL26csrgemm_group_reduce_part2ILj256ELj11E21rocsparse_complex_numIdEliEEvT3_PKT2_PS3_Pij,comdat
.Lfunc_end238:
	.size	_ZN9rocsparseL26csrgemm_group_reduce_part2ILj256ELj11E21rocsparse_complex_numIdEliEEvT3_PKT2_PS3_Pij, .Lfunc_end238-_ZN9rocsparseL26csrgemm_group_reduce_part2ILj256ELj11E21rocsparse_complex_numIdEliEEvT3_PKT2_PS3_Pij
                                        ; -- End function
	.section	.AMDGPU.csdata,"",@progbits
; Kernel info:
; codeLenInByte = 3420
; NumSgprs: 28
; NumVgprs: 24
; ScratchSize: 0
; MemoryBound: 0
; FloatMode: 240
; IeeeMode: 1
; LDSByteSize: 11264 bytes/workgroup (compile time only)
; SGPRBlocks: 3
; VGPRBlocks: 2
; NumSGPRsForWavesPerEU: 28
; NumVGPRsForWavesPerEU: 24
; Occupancy: 16
; WaveLimiterHint : 0
; COMPUTE_PGM_RSRC2:SCRATCH_EN: 0
; COMPUTE_PGM_RSRC2:USER_SGPR: 15
; COMPUTE_PGM_RSRC2:TRAP_HANDLER: 0
; COMPUTE_PGM_RSRC2:TGID_X_EN: 1
; COMPUTE_PGM_RSRC2:TGID_Y_EN: 0
; COMPUTE_PGM_RSRC2:TGID_Z_EN: 0
; COMPUTE_PGM_RSRC2:TIDIG_COMP_CNT: 0
	.section	.text._ZN9rocsparseL23csrgemm_fill_wf_per_rowILj256ELj8ELj16ELj137Eli21rocsparse_complex_numIdEEEvT4_S3_PKS3_S5_NS_24const_host_device_scalarIT5_EEPKT3_S5_PKS7_SB_S5_SD_S8_SB_S5_SD_SB_PS3_PS7_21rocsparse_index_base_SG_SG_SG_bbb,"axG",@progbits,_ZN9rocsparseL23csrgemm_fill_wf_per_rowILj256ELj8ELj16ELj137Eli21rocsparse_complex_numIdEEEvT4_S3_PKS3_S5_NS_24const_host_device_scalarIT5_EEPKT3_S5_PKS7_SB_S5_SD_S8_SB_S5_SD_SB_PS3_PS7_21rocsparse_index_base_SG_SG_SG_bbb,comdat
	.globl	_ZN9rocsparseL23csrgemm_fill_wf_per_rowILj256ELj8ELj16ELj137Eli21rocsparse_complex_numIdEEEvT4_S3_PKS3_S5_NS_24const_host_device_scalarIT5_EEPKT3_S5_PKS7_SB_S5_SD_S8_SB_S5_SD_SB_PS3_PS7_21rocsparse_index_base_SG_SG_SG_bbb ; -- Begin function _ZN9rocsparseL23csrgemm_fill_wf_per_rowILj256ELj8ELj16ELj137Eli21rocsparse_complex_numIdEEEvT4_S3_PKS3_S5_NS_24const_host_device_scalarIT5_EEPKT3_S5_PKS7_SB_S5_SD_S8_SB_S5_SD_SB_PS3_PS7_21rocsparse_index_base_SG_SG_SG_bbb
	.p2align	8
	.type	_ZN9rocsparseL23csrgemm_fill_wf_per_rowILj256ELj8ELj16ELj137Eli21rocsparse_complex_numIdEEEvT4_S3_PKS3_S5_NS_24const_host_device_scalarIT5_EEPKT3_S5_PKS7_SB_S5_SD_S8_SB_S5_SD_SB_PS3_PS7_21rocsparse_index_base_SG_SG_SG_bbb,@function
_ZN9rocsparseL23csrgemm_fill_wf_per_rowILj256ELj8ELj16ELj137Eli21rocsparse_complex_numIdEEEvT4_S3_PKS3_S5_NS_24const_host_device_scalarIT5_EEPKT3_S5_PKS7_SB_S5_SD_S8_SB_S5_SD_SB_PS3_PS7_21rocsparse_index_base_SG_SG_SG_bbb: ; @_ZN9rocsparseL23csrgemm_fill_wf_per_rowILj256ELj8ELj16ELj137Eli21rocsparse_complex_numIdEEEvT4_S3_PKS3_S5_NS_24const_host_device_scalarIT5_EEPKT3_S5_PKS7_SB_S5_SD_S8_SB_S5_SD_SB_PS3_PS7_21rocsparse_index_base_SG_SG_SG_bbb
; %bb.0:
	s_load_b32 s14, s[2:3], 0xa8
	s_load_b64 s[8:9], s[0:1], 0x4
	s_clause 0x1
	s_load_b128 s[4:7], s[2:3], 0x18
	s_load_b128 s[44:47], s[2:3], 0x58
	v_dual_mov_b32 v4, 0 :: v_dual_and_b32 v1, 0x3ff, v0
	s_load_b128 s[24:27], s[2:3], 0x98
	v_bfe_u32 v3, v0, 10, 10
	v_mov_b32_e32 v5, 0
	v_bfe_u32 v0, v0, 20, 10
	s_waitcnt lgkmcnt(0)
	s_bitcmp1_b32 s14, 0
	s_cselect_b32 s13, -1, 0
	s_bitcmp1_b32 s14, 16
	v_mov_b32_e32 v6, s44
	s_cselect_b32 s0, -1, 0
	s_lshr_b32 s1, s8, 16
	s_delay_alu instid0(SALU_CYCLE_1) | instskip(NEXT) | instid1(SALU_CYCLE_1)
	s_mul_i32 s1, s1, s9
	v_mul_lo_u32 v2, s1, v1
	s_xor_b32 s1, s0, -1
	s_bitcmp0_b32 s14, 0
	v_cndmask_b32_e64 v8, 0, 1, s1
	s_delay_alu instid0(VALU_DEP_2)
	v_mad_u32_u24 v9, v3, s9, v2
	v_dual_mov_b32 v2, s4 :: v_dual_mov_b32 v3, s5
	v_mov_b32_e32 v11, v5
	v_dual_mov_b32 v13, v5 :: v_dual_mov_b32 v12, v4
	v_dual_mov_b32 v7, s45 :: v_dual_mov_b32 v10, v4
	v_cmp_ne_u32_e32 vcc_lo, 1, v8
	v_add_lshl_u32 v0, v9, v0, 3
	ds_store_2addr_stride64_b64 v0, v[6:7], v[2:3] offset0:20 offset1:24
	s_cbranch_scc1 .LBB239_3
; %bb.1:
	s_mov_b64 s[8:9], src_shared_base
	s_and_b32 s8, s0, exec_lo
	s_cselect_b32 s8, s9, s5
	s_delay_alu instid0(SALU_CYCLE_1) | instskip(SKIP_2) | instid1(VALU_DEP_2)
	v_dual_mov_b32 v3, s8 :: v_dual_add_nc_u32 v2, 0x3000, v0
	v_dual_mov_b32 v13, s7 :: v_dual_mov_b32 v12, s6
	s_and_b32 vcc_lo, exec_lo, vcc_lo
	v_cndmask_b32_e64 v2, s4, v2, s0
	flat_load_b64 v[10:11], v[2:3]
	s_cbranch_vccnz .LBB239_3
; %bb.2:
	v_dual_mov_b32 v2, s4 :: v_dual_mov_b32 v3, s5
	flat_load_b64 v[12:13], v[2:3] offset:8
.LBB239_3:
	s_clause 0x4
	s_load_b128 s[28:31], s[2:3], 0x88
	s_load_b256 s[4:11], s[2:3], 0x68
	s_load_b128 s[36:39], s[2:3], 0x48
	s_load_b128 s[40:43], s[2:3], 0x8
	s_load_b256 s[16:23], s[2:3], 0x28
	s_bitcmp1_b32 s14, 8
	v_dual_mov_b32 v7, v5 :: v_dual_mov_b32 v6, v4
	s_cselect_b32 s12, -1, 0
	s_bfe_u32 s14, s14, 0x10008
	s_delay_alu instid0(SALU_CYCLE_1)
	s_cmp_eq_u32 s14, 0
	s_cbranch_scc1 .LBB239_6
; %bb.4:
	s_mov_b64 s[34:35], src_shared_base
	s_and_b32 s14, s0, exec_lo
	s_cselect_b32 s14, s35, s45
	s_delay_alu instid0(SALU_CYCLE_1) | instskip(SKIP_2) | instid1(VALU_DEP_2)
	v_dual_mov_b32 v3, s14 :: v_dual_add_nc_u32 v0, 0x2800, v0
	v_dual_mov_b32 v4, s46 :: v_dual_mov_b32 v5, s47
	s_and_not1_b32 vcc_lo, exec_lo, s1
	v_cndmask_b32_e64 v2, s44, v0, s0
	flat_load_b64 v[6:7], v[2:3]
	s_cbranch_vccnz .LBB239_6
; %bb.5:
	v_dual_mov_b32 v2, s44 :: v_dual_mov_b32 v3, s45
	flat_load_b64 v[4:5], v[2:3] offset:8
.LBB239_6:
	s_load_b64 s[0:1], s[2:3], 0x0
	v_lshrrev_b32_e32 v14, 3, v1
	v_dual_mov_b32 v0, 0 :: v_dual_and_b32 v33, 7, v1
	s_mov_b32 s2, 0
	s_delay_alu instid0(VALU_DEP_2) | instskip(NEXT) | instid1(VALU_DEP_2)
	v_lshlrev_b32_e32 v1, 6, v14
	v_lshlrev_b32_e32 v2, 2, v33
	v_or_b32_e32 v28, -8, v33
	s_delay_alu instid0(VALU_DEP_2) | instskip(SKIP_2) | instid1(VALU_DEP_4)
	v_or3_b32 v29, v1, v2, 0x2000
	v_mov_b32_e32 v1, v0
	v_dual_mov_b32 v2, v0 :: v_dual_lshlrev_b32 v3, 4, v33
	v_mov_b32_e32 v16, v28
	s_delay_alu instid0(VALU_DEP_4) | instskip(NEXT) | instid1(VALU_DEP_3)
	v_mov_b32_e32 v8, v29
	v_lshl_or_b32 v30, v14, 8, v3
	v_mov_b32_e32 v3, v0
	s_waitcnt lgkmcnt(0)
	v_mov_b32_e32 v15, s1
	s_delay_alu instid0(VALU_DEP_3)
	v_mov_b32_e32 v9, v30
.LBB239_7:                              ; =>This Inner Loop Header: Depth=1
	v_add_co_u32 v16, s3, v16, 8
	s_delay_alu instid0(VALU_DEP_1)
	s_xor_b32 s3, s3, -1
	ds_store_b32 v8, v15
	ds_store_b128 v9, v[0:3]
	v_add_nc_u32_e32 v9, 0x80, v9
	v_add_nc_u32_e32 v8, 32, v8
	s_and_b32 s3, exec_lo, s3
	s_delay_alu instid0(SALU_CYCLE_1) | instskip(NEXT) | instid1(SALU_CYCLE_1)
	s_or_b32 s2, s3, s2
	s_and_not1_b32 exec_lo, exec_lo, s2
	s_cbranch_execnz .LBB239_7
; %bb.8:
	s_or_b32 exec_lo, exec_lo, s2
	s_lshl_b32 s2, s15, 5
	s_waitcnt vmcnt(0) lgkmcnt(0)
	buffer_gl0_inv
	v_and_or_b32 v0, 0x1fffffe0, s2, v14
	s_delay_alu instid0(VALU_DEP_1)
	v_cmp_gt_i32_e32 vcc_lo, s0, v0
	s_and_saveexec_b32 s0, vcc_lo
	s_cbranch_execz .LBB239_67
; %bb.9:
	s_cmp_eq_u64 s[42:43], 0
	s_cbranch_scc1 .LBB239_11
; %bb.10:
	s_load_b32 s0, s[40:41], 0x0
	s_waitcnt lgkmcnt(0)
	v_add_nc_u32_e32 v0, s0, v0
	s_delay_alu instid0(VALU_DEP_1) | instskip(NEXT) | instid1(VALU_DEP_1)
	v_ashrrev_i32_e32 v1, 31, v0
	v_lshlrev_b64 v[0:1], 2, v[0:1]
	s_delay_alu instid0(VALU_DEP_1) | instskip(NEXT) | instid1(VALU_DEP_2)
	v_add_co_u32 v0, vcc_lo, s42, v0
	v_add_co_ci_u32_e32 v1, vcc_lo, s43, v1, vcc_lo
	global_load_b32 v0, v[0:1], off
.LBB239_11:
	s_waitcnt vmcnt(0)
	v_ashrrev_i32_e32 v1, 31, v0
	v_lshl_or_b32 v31, v14, 6, 0x2000
	v_lshlrev_b32_e32 v32, 8, v14
	s_and_not1_b32 vcc_lo, exec_lo, s13
	s_delay_alu instid0(VALU_DEP_3)
	v_lshlrev_b64 v[8:9], 3, v[0:1]
	s_cbranch_vccnz .LBB239_39
; %bb.12:
	s_delay_alu instid0(VALU_DEP_1) | instskip(NEXT) | instid1(VALU_DEP_2)
	v_add_co_u32 v0, vcc_lo, s16, v8
	v_add_co_ci_u32_e32 v1, vcc_lo, s17, v9, vcc_lo
	v_sub_co_u32 v16, s0, v33, s24
	s_delay_alu instid0(VALU_DEP_1)
	v_sub_co_ci_u32_e64 v17, null, 0, 0, s0
	global_load_b128 v[0:3], v[0:1], off
	s_mov_b32 s2, 0
	s_mov_b32 s0, exec_lo
	s_waitcnt vmcnt(0)
	v_sub_co_u32 v14, vcc_lo, v2, s24
	v_subrev_co_ci_u32_e32 v15, vcc_lo, 0, v3, vcc_lo
	v_add_co_u32 v16, vcc_lo, v0, v16
	v_add_co_ci_u32_e32 v17, vcc_lo, v1, v17, vcc_lo
	s_delay_alu instid0(VALU_DEP_1)
	v_cmpx_lt_i64_e64 v[16:17], v[14:15]
	s_cbranch_execz .LBB239_38
; %bb.13:
	s_mov_b32 s3, s25
	s_branch .LBB239_15
.LBB239_14:                             ;   in Loop: Header=BB239_15 Depth=1
	s_or_b32 exec_lo, exec_lo, s13
	v_add_co_u32 v16, vcc_lo, v16, 8
	v_add_co_ci_u32_e32 v17, vcc_lo, 0, v17, vcc_lo
	s_delay_alu instid0(VALU_DEP_1) | instskip(SKIP_1) | instid1(SALU_CYCLE_1)
	v_cmp_ge_i64_e32 vcc_lo, v[16:17], v[14:15]
	s_or_b32 s2, vcc_lo, s2
	s_and_not1_b32 exec_lo, exec_lo, s2
	s_cbranch_execz .LBB239_38
.LBB239_15:                             ; =>This Loop Header: Depth=1
                                        ;     Child Loop BB239_18 Depth 2
                                        ;       Child Loop BB239_20 Depth 3
                                        ;         Child Loop BB239_26 Depth 4
                                        ;         Child Loop BB239_28 Depth 4
	;; [unrolled: 1-line block ×4, first 2 shown]
	v_lshlrev_b64 v[0:1], 2, v[16:17]
	s_mov_b32 s13, exec_lo
	s_delay_alu instid0(VALU_DEP_1) | instskip(NEXT) | instid1(VALU_DEP_2)
	v_add_co_u32 v0, vcc_lo, s18, v0
	v_add_co_ci_u32_e32 v1, vcc_lo, s19, v1, vcc_lo
	global_load_b32 v0, v[0:1], off
	s_waitcnt vmcnt(0)
	v_subrev_nc_u32_e32 v0, s24, v0
	s_delay_alu instid0(VALU_DEP_1) | instskip(NEXT) | instid1(VALU_DEP_1)
	v_ashrrev_i32_e32 v1, 31, v0
	v_lshlrev_b64 v[0:1], 3, v[0:1]
	s_delay_alu instid0(VALU_DEP_1) | instskip(NEXT) | instid1(VALU_DEP_2)
	v_add_co_u32 v0, vcc_lo, s22, v0
	v_add_co_ci_u32_e32 v1, vcc_lo, s23, v1, vcc_lo
	global_load_b128 v[0:3], v[0:1], off
	s_waitcnt vmcnt(0)
	v_cmpx_lt_i64_e64 v[0:1], v[2:3]
	s_cbranch_execz .LBB239_14
; %bb.16:                               ;   in Loop: Header=BB239_15 Depth=1
	v_lshlrev_b64 v[18:19], 4, v[16:17]
	s_mov_b32 s14, 0
	s_delay_alu instid0(VALU_DEP_1) | instskip(NEXT) | instid1(VALU_DEP_2)
	v_add_co_u32 v18, vcc_lo, s20, v18
	v_add_co_ci_u32_e32 v19, vcc_lo, s21, v19, vcc_lo
	v_sub_co_u32 v2, vcc_lo, v2, s3
	v_subrev_co_ci_u32_e32 v3, vcc_lo, 0, v3, vcc_lo
	global_load_b128 v[20:23], v[18:19], off
	v_sub_co_u32 v0, vcc_lo, v0, s3
	v_subrev_co_ci_u32_e32 v1, vcc_lo, 0, v1, vcc_lo
	s_waitcnt vmcnt(0)
	v_mul_f64 v[18:19], v[22:23], -v[12:13]
	v_mul_f64 v[22:23], v[10:11], v[22:23]
	s_delay_alu instid0(VALU_DEP_2) | instskip(NEXT) | instid1(VALU_DEP_2)
	v_fma_f64 v[18:19], v[10:11], v[20:21], v[18:19]
	v_fma_f64 v[20:21], v[12:13], v[20:21], v[22:23]
	s_branch .LBB239_18
.LBB239_17:                             ;   in Loop: Header=BB239_18 Depth=2
	s_or_b32 exec_lo, exec_lo, s15
	v_add_co_u32 v0, vcc_lo, v0, 1
	v_add_co_ci_u32_e32 v1, vcc_lo, 0, v1, vcc_lo
	s_delay_alu instid0(VALU_DEP_1) | instskip(SKIP_1) | instid1(SALU_CYCLE_1)
	v_cmp_ge_i64_e32 vcc_lo, v[0:1], v[2:3]
	s_or_b32 s14, vcc_lo, s14
	s_and_not1_b32 exec_lo, exec_lo, s14
	s_cbranch_execz .LBB239_14
.LBB239_18:                             ;   Parent Loop BB239_15 Depth=1
                                        ; =>  This Loop Header: Depth=2
                                        ;       Child Loop BB239_20 Depth 3
                                        ;         Child Loop BB239_26 Depth 4
                                        ;         Child Loop BB239_28 Depth 4
	;; [unrolled: 1-line block ×4, first 2 shown]
	v_lshlrev_b64 v[22:23], 4, v[0:1]
	s_mov_b32 s15, 0
	s_delay_alu instid0(VALU_DEP_1) | instskip(NEXT) | instid1(VALU_DEP_2)
	v_add_co_u32 v22, vcc_lo, s38, v22
	v_add_co_ci_u32_e32 v23, vcc_lo, s39, v23, vcc_lo
	global_load_b128 v[24:27], v[22:23], off
	v_lshlrev_b64 v[22:23], 2, v[0:1]
	s_delay_alu instid0(VALU_DEP_1) | instskip(NEXT) | instid1(VALU_DEP_2)
	v_add_co_u32 v22, vcc_lo, s36, v22
	v_add_co_ci_u32_e32 v23, vcc_lo, s37, v23, vcc_lo
	global_load_b32 v34, v[22:23], off
	s_waitcnt vmcnt(1)
	v_mul_f64 v[22:23], v[26:27], -v[20:21]
	v_mul_f64 v[26:27], v[18:19], v[26:27]
	s_waitcnt vmcnt(0)
	v_subrev_nc_u32_e32 v34, s25, v34
	s_delay_alu instid0(VALU_DEP_3) | instskip(NEXT) | instid1(VALU_DEP_3)
	v_fma_f64 v[22:23], v[18:19], v[24:25], v[22:23]
	v_fma_f64 v[24:25], v[20:21], v[24:25], v[26:27]
	s_delay_alu instid0(VALU_DEP_3) | instskip(NEXT) | instid1(VALU_DEP_1)
	v_lshl_add_u32 v26, v34, 3, v34
	v_and_b32_e32 v35, 15, v26
	s_branch .LBB239_20
.LBB239_19:                             ;   in Loop: Header=BB239_20 Depth=3
	s_or_b32 exec_lo, exec_lo, s16
	s_xor_b32 s16, s17, -1
	s_delay_alu instid0(SALU_CYCLE_1) | instskip(NEXT) | instid1(SALU_CYCLE_1)
	s_and_b32 s16, exec_lo, s16
	s_or_b32 s15, s16, s15
	s_delay_alu instid0(SALU_CYCLE_1)
	s_and_not1_b32 exec_lo, exec_lo, s15
	s_cbranch_execz .LBB239_17
.LBB239_20:                             ;   Parent Loop BB239_15 Depth=1
                                        ;     Parent Loop BB239_18 Depth=2
                                        ; =>    This Loop Header: Depth=3
                                        ;         Child Loop BB239_26 Depth 4
                                        ;         Child Loop BB239_28 Depth 4
	;; [unrolled: 1-line block ×4, first 2 shown]
	s_delay_alu instid0(VALU_DEP_1)
	v_lshl_add_u32 v26, v35, 2, v31
	s_mov_b32 s16, exec_lo
                                        ; implicit-def: $sgpr17
	ds_load_b32 v27, v26
	s_waitcnt lgkmcnt(0)
	v_cmpx_ne_u32_e64 v27, v34
	s_xor_b32 s16, exec_lo, s16
	s_cbranch_execz .LBB239_32
; %bb.21:                               ;   in Loop: Header=BB239_20 Depth=3
	s_mov_b32 s33, exec_lo
                                        ; implicit-def: $sgpr17
	v_cmpx_ne_u32_e64 s1, v27
	s_xor_b32 s33, exec_lo, s33
; %bb.22:                               ;   in Loop: Header=BB239_20 Depth=3
	v_add_nc_u32_e32 v26, 1, v35
	s_mov_b32 s17, -1
	s_delay_alu instid0(VALU_DEP_1)
	v_and_b32_e32 v35, 15, v26
                                        ; implicit-def: $vgpr26
; %bb.23:                               ;   in Loop: Header=BB239_20 Depth=3
	s_and_not1_saveexec_b32 s33, s33
	s_cbranch_execz .LBB239_31
; %bb.24:                               ;   in Loop: Header=BB239_20 Depth=3
	v_mov_b32_e32 v27, s1
	s_mov_b32 s35, -1
	s_mov_b32 s34, exec_lo
	ds_cmpstore_rtn_b32 v26, v26, v34, v27
	s_waitcnt lgkmcnt(0)
	v_cmpx_eq_u32_e64 s1, v26
	s_cbranch_execz .LBB239_30
; %bb.25:                               ;   in Loop: Header=BB239_20 Depth=3
	v_lshl_add_u32 v36, v35, 4, v32
	s_mov_b32 s35, 0
	ds_load_b64 v[26:27], v36
.LBB239_26:                             ;   Parent Loop BB239_15 Depth=1
                                        ;     Parent Loop BB239_18 Depth=2
                                        ;       Parent Loop BB239_20 Depth=3
                                        ; =>      This Inner Loop Header: Depth=4
	s_waitcnt lgkmcnt(0)
	v_add_f64 v[37:38], v[26:27], v[22:23]
	ds_cmpstore_rtn_b64 v[37:38], v36, v[37:38], v[26:27]
	s_waitcnt lgkmcnt(0)
	v_cmp_eq_u64_e32 vcc_lo, v[37:38], v[26:27]
	v_dual_mov_b32 v26, v37 :: v_dual_mov_b32 v27, v38
	s_or_b32 s35, vcc_lo, s35
	s_delay_alu instid0(SALU_CYCLE_1)
	s_and_not1_b32 exec_lo, exec_lo, s35
	s_cbranch_execnz .LBB239_26
; %bb.27:                               ;   in Loop: Header=BB239_20 Depth=3
	s_or_b32 exec_lo, exec_lo, s35
	ds_load_b64 v[26:27], v36 offset:8
	s_mov_b32 s35, 0
.LBB239_28:                             ;   Parent Loop BB239_15 Depth=1
                                        ;     Parent Loop BB239_18 Depth=2
                                        ;       Parent Loop BB239_20 Depth=3
                                        ; =>      This Inner Loop Header: Depth=4
	s_waitcnt lgkmcnt(0)
	v_add_f64 v[37:38], v[26:27], v[24:25]
	ds_cmpstore_rtn_b64 v[37:38], v36, v[37:38], v[26:27] offset:8
	s_waitcnt lgkmcnt(0)
	v_cmp_eq_u64_e32 vcc_lo, v[37:38], v[26:27]
	v_dual_mov_b32 v26, v37 :: v_dual_mov_b32 v27, v38
	s_or_b32 s35, vcc_lo, s35
	s_delay_alu instid0(SALU_CYCLE_1)
	s_and_not1_b32 exec_lo, exec_lo, s35
	s_cbranch_execnz .LBB239_28
; %bb.29:                               ;   in Loop: Header=BB239_20 Depth=3
	s_or_b32 exec_lo, exec_lo, s35
	s_delay_alu instid0(SALU_CYCLE_1)
	s_xor_b32 s35, exec_lo, -1
.LBB239_30:                             ;   in Loop: Header=BB239_20 Depth=3
	s_or_b32 exec_lo, exec_lo, s34
	s_delay_alu instid0(SALU_CYCLE_1) | instskip(SKIP_1) | instid1(SALU_CYCLE_1)
	s_and_not1_b32 s17, s17, exec_lo
	s_and_b32 s34, s35, exec_lo
	s_or_b32 s17, s17, s34
.LBB239_31:                             ;   in Loop: Header=BB239_20 Depth=3
	s_or_b32 exec_lo, exec_lo, s33
	s_delay_alu instid0(SALU_CYCLE_1)
	s_and_b32 s17, s17, exec_lo
.LBB239_32:                             ;   in Loop: Header=BB239_20 Depth=3
	s_and_not1_saveexec_b32 s16, s16
	s_cbranch_execz .LBB239_19
; %bb.33:                               ;   in Loop: Header=BB239_20 Depth=3
	v_lshl_add_u32 v36, v35, 4, v32
	s_mov_b32 s33, 0
	ds_load_b64 v[26:27], v36
.LBB239_34:                             ;   Parent Loop BB239_15 Depth=1
                                        ;     Parent Loop BB239_18 Depth=2
                                        ;       Parent Loop BB239_20 Depth=3
                                        ; =>      This Inner Loop Header: Depth=4
	s_waitcnt lgkmcnt(0)
	v_add_f64 v[37:38], v[26:27], v[22:23]
	ds_cmpstore_rtn_b64 v[37:38], v36, v[37:38], v[26:27]
	s_waitcnt lgkmcnt(0)
	v_cmp_eq_u64_e32 vcc_lo, v[37:38], v[26:27]
	v_dual_mov_b32 v26, v37 :: v_dual_mov_b32 v27, v38
	s_or_b32 s33, vcc_lo, s33
	s_delay_alu instid0(SALU_CYCLE_1)
	s_and_not1_b32 exec_lo, exec_lo, s33
	s_cbranch_execnz .LBB239_34
; %bb.35:                               ;   in Loop: Header=BB239_20 Depth=3
	s_or_b32 exec_lo, exec_lo, s33
	ds_load_b64 v[26:27], v36 offset:8
	s_mov_b32 s33, 0
.LBB239_36:                             ;   Parent Loop BB239_15 Depth=1
                                        ;     Parent Loop BB239_18 Depth=2
                                        ;       Parent Loop BB239_20 Depth=3
                                        ; =>      This Inner Loop Header: Depth=4
	s_waitcnt lgkmcnt(0)
	v_add_f64 v[37:38], v[26:27], v[24:25]
	ds_cmpstore_rtn_b64 v[37:38], v36, v[37:38], v[26:27] offset:8
	s_waitcnt lgkmcnt(0)
	v_cmp_eq_u64_e32 vcc_lo, v[37:38], v[26:27]
	v_dual_mov_b32 v26, v37 :: v_dual_mov_b32 v27, v38
	s_or_b32 s33, vcc_lo, s33
	s_delay_alu instid0(SALU_CYCLE_1)
	s_and_not1_b32 exec_lo, exec_lo, s33
	s_cbranch_execnz .LBB239_36
; %bb.37:                               ;   in Loop: Header=BB239_20 Depth=3
	s_or_b32 exec_lo, exec_lo, s33
	s_delay_alu instid0(SALU_CYCLE_1)
	s_and_not1_b32 s17, s17, exec_lo
	s_branch .LBB239_19
.LBB239_38:
	s_or_b32 exec_lo, exec_lo, s0
.LBB239_39:
	s_delay_alu instid0(SALU_CYCLE_1)
	s_and_not1_b32 vcc_lo, exec_lo, s12
	s_cbranch_vccnz .LBB239_42
; %bb.40:
	s_delay_alu instid0(VALU_DEP_1) | instskip(NEXT) | instid1(VALU_DEP_2)
	v_add_co_u32 v0, vcc_lo, s4, v8
	v_add_co_ci_u32_e32 v1, vcc_lo, s5, v9, vcc_lo
	v_sub_co_u32 v2, s0, v33, s27
	s_delay_alu instid0(VALU_DEP_1)
	v_sub_co_ci_u32_e64 v3, null, 0, 0, s0
	global_load_b128 v[10:13], v[0:1], off
	s_mov_b32 s2, 0
	s_mov_b32 s0, exec_lo
	s_waitcnt vmcnt(0)
	v_sub_co_u32 v0, vcc_lo, v12, s27
	v_subrev_co_ci_u32_e32 v1, vcc_lo, 0, v13, vcc_lo
	v_add_co_u32 v2, vcc_lo, v10, v2
	v_add_co_ci_u32_e32 v3, vcc_lo, v11, v3, vcc_lo
	s_delay_alu instid0(VALU_DEP_1)
	v_cmpx_lt_i64_e64 v[2:3], v[0:1]
	s_cbranch_execnz .LBB239_47
.LBB239_41:
	s_or_b32 exec_lo, exec_lo, s0
.LBB239_42:
	s_delay_alu instid0(VALU_DEP_1) | instskip(NEXT) | instid1(VALU_DEP_2)
	v_add_co_u32 v0, vcc_lo, s10, v8
	v_add_co_ci_u32_e32 v1, vcc_lo, s11, v9, vcc_lo
	buffer_gl0_inv
	s_mov_b32 s0, 0
	global_load_b64 v[0:1], v[0:1], off
	s_waitcnt vmcnt(0)
	v_sub_co_u32 v0, vcc_lo, v0, s26
	v_subrev_co_ci_u32_e32 v1, vcc_lo, 0, v1, vcc_lo
	s_branch .LBB239_44
.LBB239_43:                             ;   in Loop: Header=BB239_44 Depth=1
	s_or_b32 exec_lo, exec_lo, s2
	v_add_co_u32 v28, s2, v28, 8
	s_delay_alu instid0(VALU_DEP_1) | instskip(SKIP_3) | instid1(SALU_CYCLE_1)
	s_xor_b32 s2, s2, -1
	v_add_nc_u32_e32 v30, 0x80, v30
	v_add_nc_u32_e32 v29, 32, v29
	s_and_b32 s2, exec_lo, s2
	s_or_b32 s0, s2, s0
	s_delay_alu instid0(SALU_CYCLE_1)
	s_and_not1_b32 exec_lo, exec_lo, s0
	s_cbranch_execz .LBB239_67
.LBB239_44:                             ; =>This Inner Loop Header: Depth=1
	ds_load_b32 v2, v29
	s_mov_b32 s2, exec_lo
	s_waitcnt lgkmcnt(0)
	v_cmpx_gt_i32_e64 s1, v2
	s_cbranch_execz .LBB239_43
; %bb.45:                               ;   in Loop: Header=BB239_44 Depth=1
	ds_load_b128 v[3:6], v31
	ds_load_b128 v[7:10], v31 offset:16
	ds_load_b128 v[11:14], v31 offset:32
	;; [unrolled: 1-line block ×3, first 2 shown]
	s_waitcnt lgkmcnt(3)
	v_cmp_gt_i32_e32 vcc_lo, v2, v3
	v_cndmask_b32_e64 v3, 0, 1, vcc_lo
	v_cmp_gt_i32_e32 vcc_lo, v2, v4
	v_cndmask_b32_e64 v4, 0, 1, vcc_lo
	s_delay_alu instid0(VALU_DEP_3) | instskip(SKIP_3) | instid1(VALU_DEP_4)
	v_add_co_u32 v3, vcc_lo, v0, v3
	v_add_co_ci_u32_e32 v19, vcc_lo, 0, v1, vcc_lo
	v_cmp_gt_i32_e32 vcc_lo, v2, v5
	v_cndmask_b32_e64 v5, 0, 1, vcc_lo
	v_add_co_u32 v3, vcc_lo, v3, v4
	s_delay_alu instid0(VALU_DEP_4) | instskip(SKIP_2) | instid1(VALU_DEP_4)
	v_add_co_ci_u32_e32 v4, vcc_lo, 0, v19, vcc_lo
	v_cmp_gt_i32_e32 vcc_lo, v2, v6
	v_cndmask_b32_e64 v6, 0, 1, vcc_lo
	v_add_co_u32 v3, vcc_lo, v3, v5
	s_delay_alu instid0(VALU_DEP_4)
	v_add_co_ci_u32_e32 v4, vcc_lo, 0, v4, vcc_lo
	s_waitcnt lgkmcnt(2)
	v_cmp_gt_i32_e32 vcc_lo, v2, v7
	v_cndmask_b32_e64 v5, 0, 1, vcc_lo
	v_add_co_u32 v3, vcc_lo, v3, v6
	v_add_co_ci_u32_e32 v4, vcc_lo, 0, v4, vcc_lo
	v_cmp_gt_i32_e32 vcc_lo, v2, v8
	v_cndmask_b32_e64 v6, 0, 1, vcc_lo
	s_delay_alu instid0(VALU_DEP_4) | instskip(NEXT) | instid1(VALU_DEP_4)
	v_add_co_u32 v3, vcc_lo, v3, v5
	v_add_co_ci_u32_e32 v4, vcc_lo, 0, v4, vcc_lo
	v_cmp_gt_i32_e32 vcc_lo, v2, v9
	v_cndmask_b32_e64 v5, 0, 1, vcc_lo
	s_delay_alu instid0(VALU_DEP_4) | instskip(NEXT) | instid1(VALU_DEP_4)
	;; [unrolled: 5-line block ×3, first 2 shown]
	v_add_co_u32 v3, vcc_lo, v3, v5
	v_add_co_ci_u32_e32 v4, vcc_lo, 0, v4, vcc_lo
	s_waitcnt lgkmcnt(1)
	v_cmp_gt_i32_e32 vcc_lo, v2, v11
	v_cndmask_b32_e64 v5, 0, 1, vcc_lo
	v_add_co_u32 v3, vcc_lo, v3, v6
	v_add_co_ci_u32_e32 v4, vcc_lo, 0, v4, vcc_lo
	v_cmp_gt_i32_e32 vcc_lo, v2, v12
	v_cndmask_b32_e64 v6, 0, 1, vcc_lo
	s_delay_alu instid0(VALU_DEP_4) | instskip(NEXT) | instid1(VALU_DEP_4)
	v_add_co_u32 v3, vcc_lo, v3, v5
	v_add_co_ci_u32_e32 v4, vcc_lo, 0, v4, vcc_lo
	v_cmp_gt_i32_e32 vcc_lo, v2, v13
	v_cndmask_b32_e64 v5, 0, 1, vcc_lo
	s_delay_alu instid0(VALU_DEP_4) | instskip(NEXT) | instid1(VALU_DEP_4)
	;; [unrolled: 5-line block ×3, first 2 shown]
	v_add_co_u32 v3, vcc_lo, v3, v5
	v_add_co_ci_u32_e32 v4, vcc_lo, 0, v4, vcc_lo
	s_waitcnt lgkmcnt(0)
	v_cmp_gt_i32_e32 vcc_lo, v2, v15
	v_cndmask_b32_e64 v5, 0, 1, vcc_lo
	v_add_co_u32 v3, vcc_lo, v3, v6
	v_add_co_ci_u32_e32 v4, vcc_lo, 0, v4, vcc_lo
	v_cmp_gt_i32_e32 vcc_lo, v2, v16
	v_cndmask_b32_e64 v6, 0, 1, vcc_lo
	s_delay_alu instid0(VALU_DEP_4) | instskip(NEXT) | instid1(VALU_DEP_4)
	v_add_co_u32 v3, vcc_lo, v3, v5
	v_add_co_ci_u32_e32 v4, vcc_lo, 0, v4, vcc_lo
	v_cmp_gt_i32_e32 vcc_lo, v2, v17
	v_cndmask_b32_e64 v5, 0, 1, vcc_lo
	s_delay_alu instid0(VALU_DEP_4) | instskip(NEXT) | instid1(VALU_DEP_4)
	v_add_co_u32 v3, vcc_lo, v3, v6
	v_add_co_ci_u32_e32 v4, vcc_lo, 0, v4, vcc_lo
	v_cmp_gt_i32_e32 vcc_lo, v2, v18
	v_add_nc_u32_e32 v2, s26, v2
	v_cndmask_b32_e64 v6, 0, 1, vcc_lo
	v_add_co_u32 v3, vcc_lo, v3, v5
	v_add_co_ci_u32_e32 v4, vcc_lo, 0, v4, vcc_lo
	s_delay_alu instid0(VALU_DEP_2) | instskip(NEXT) | instid1(VALU_DEP_2)
	v_add_co_u32 v7, vcc_lo, v3, v6
	v_add_co_ci_u32_e32 v8, vcc_lo, 0, v4, vcc_lo
	ds_load_2addr_b64 v[3:6], v30 offset1:1
	v_lshlrev_b64 v[9:10], 2, v[7:8]
	v_lshlrev_b64 v[7:8], 4, v[7:8]
	s_delay_alu instid0(VALU_DEP_2) | instskip(NEXT) | instid1(VALU_DEP_3)
	v_add_co_u32 v9, vcc_lo, s28, v9
	v_add_co_ci_u32_e32 v10, vcc_lo, s29, v10, vcc_lo
	s_delay_alu instid0(VALU_DEP_3) | instskip(NEXT) | instid1(VALU_DEP_4)
	v_add_co_u32 v7, vcc_lo, s30, v7
	v_add_co_ci_u32_e32 v8, vcc_lo, s31, v8, vcc_lo
	global_store_b32 v[9:10], v2, off
	s_waitcnt lgkmcnt(0)
	global_store_b128 v[7:8], v[3:6], off
	s_branch .LBB239_43
.LBB239_46:                             ;   in Loop: Header=BB239_47 Depth=1
	s_or_b32 exec_lo, exec_lo, s3
	v_add_co_u32 v2, vcc_lo, v2, 8
	v_add_co_ci_u32_e32 v3, vcc_lo, 0, v3, vcc_lo
	s_delay_alu instid0(VALU_DEP_1) | instskip(SKIP_1) | instid1(SALU_CYCLE_1)
	v_cmp_ge_i64_e32 vcc_lo, v[2:3], v[0:1]
	s_or_b32 s2, vcc_lo, s2
	s_and_not1_b32 exec_lo, exec_lo, s2
	s_cbranch_execz .LBB239_41
.LBB239_47:                             ; =>This Loop Header: Depth=1
                                        ;     Child Loop BB239_49 Depth 2
                                        ;       Child Loop BB239_55 Depth 3
                                        ;       Child Loop BB239_57 Depth 3
	;; [unrolled: 1-line block ×4, first 2 shown]
	v_lshlrev_b64 v[10:11], 4, v[2:3]
	s_mov_b32 s3, 0
	s_delay_alu instid0(VALU_DEP_1) | instskip(NEXT) | instid1(VALU_DEP_2)
	v_add_co_u32 v10, vcc_lo, s8, v10
	v_add_co_ci_u32_e32 v11, vcc_lo, s9, v11, vcc_lo
	global_load_b128 v[12:15], v[10:11], off
	v_lshlrev_b64 v[10:11], 2, v[2:3]
	s_delay_alu instid0(VALU_DEP_1) | instskip(NEXT) | instid1(VALU_DEP_2)
	v_add_co_u32 v10, vcc_lo, s6, v10
	v_add_co_ci_u32_e32 v11, vcc_lo, s7, v11, vcc_lo
	global_load_b32 v16, v[10:11], off
	s_waitcnt vmcnt(1)
	v_mul_f64 v[10:11], v[14:15], -v[4:5]
	v_mul_f64 v[14:15], v[6:7], v[14:15]
	s_waitcnt vmcnt(0)
	v_subrev_nc_u32_e32 v16, s27, v16
	s_delay_alu instid0(VALU_DEP_3) | instskip(NEXT) | instid1(VALU_DEP_3)
	v_fma_f64 v[10:11], v[6:7], v[12:13], v[10:11]
	v_fma_f64 v[12:13], v[4:5], v[12:13], v[14:15]
	s_delay_alu instid0(VALU_DEP_3) | instskip(NEXT) | instid1(VALU_DEP_1)
	v_lshl_add_u32 v14, v16, 3, v16
	v_and_b32_e32 v17, 15, v14
	s_branch .LBB239_49
.LBB239_48:                             ;   in Loop: Header=BB239_49 Depth=2
	s_or_b32 exec_lo, exec_lo, s4
	s_xor_b32 s4, s5, -1
	s_delay_alu instid0(SALU_CYCLE_1) | instskip(NEXT) | instid1(SALU_CYCLE_1)
	s_and_b32 s4, exec_lo, s4
	s_or_b32 s3, s4, s3
	s_delay_alu instid0(SALU_CYCLE_1)
	s_and_not1_b32 exec_lo, exec_lo, s3
	s_cbranch_execz .LBB239_46
.LBB239_49:                             ;   Parent Loop BB239_47 Depth=1
                                        ; =>  This Loop Header: Depth=2
                                        ;       Child Loop BB239_55 Depth 3
                                        ;       Child Loop BB239_57 Depth 3
	;; [unrolled: 1-line block ×4, first 2 shown]
	s_delay_alu instid0(VALU_DEP_1)
	v_lshl_add_u32 v14, v17, 2, v31
	s_mov_b32 s4, exec_lo
                                        ; implicit-def: $sgpr5
	ds_load_b32 v15, v14
	s_waitcnt lgkmcnt(0)
	v_cmpx_ne_u32_e64 v15, v16
	s_xor_b32 s4, exec_lo, s4
	s_cbranch_execz .LBB239_61
; %bb.50:                               ;   in Loop: Header=BB239_49 Depth=2
	s_mov_b32 s12, exec_lo
                                        ; implicit-def: $sgpr5
	v_cmpx_ne_u32_e64 s1, v15
	s_xor_b32 s12, exec_lo, s12
; %bb.51:                               ;   in Loop: Header=BB239_49 Depth=2
	v_add_nc_u32_e32 v14, 1, v17
	s_mov_b32 s5, -1
	s_delay_alu instid0(VALU_DEP_1)
	v_and_b32_e32 v17, 15, v14
                                        ; implicit-def: $vgpr14
; %bb.52:                               ;   in Loop: Header=BB239_49 Depth=2
	s_and_not1_saveexec_b32 s12, s12
	s_cbranch_execz .LBB239_60
; %bb.53:                               ;   in Loop: Header=BB239_49 Depth=2
	v_mov_b32_e32 v15, s1
	s_mov_b32 s14, -1
	s_mov_b32 s13, exec_lo
	ds_cmpstore_rtn_b32 v14, v14, v16, v15
	s_waitcnt lgkmcnt(0)
	v_cmpx_eq_u32_e64 s1, v14
	s_cbranch_execz .LBB239_59
; %bb.54:                               ;   in Loop: Header=BB239_49 Depth=2
	v_lshl_add_u32 v18, v17, 4, v32
	s_mov_b32 s14, 0
	ds_load_b64 v[14:15], v18
.LBB239_55:                             ;   Parent Loop BB239_47 Depth=1
                                        ;     Parent Loop BB239_49 Depth=2
                                        ; =>    This Inner Loop Header: Depth=3
	s_waitcnt lgkmcnt(0)
	v_add_f64 v[19:20], v[14:15], v[10:11]
	ds_cmpstore_rtn_b64 v[19:20], v18, v[19:20], v[14:15]
	s_waitcnt lgkmcnt(0)
	v_cmp_eq_u64_e32 vcc_lo, v[19:20], v[14:15]
	v_dual_mov_b32 v14, v19 :: v_dual_mov_b32 v15, v20
	s_or_b32 s14, vcc_lo, s14
	s_delay_alu instid0(SALU_CYCLE_1)
	s_and_not1_b32 exec_lo, exec_lo, s14
	s_cbranch_execnz .LBB239_55
; %bb.56:                               ;   in Loop: Header=BB239_49 Depth=2
	s_or_b32 exec_lo, exec_lo, s14
	ds_load_b64 v[14:15], v18 offset:8
	s_mov_b32 s14, 0
.LBB239_57:                             ;   Parent Loop BB239_47 Depth=1
                                        ;     Parent Loop BB239_49 Depth=2
                                        ; =>    This Inner Loop Header: Depth=3
	s_waitcnt lgkmcnt(0)
	v_add_f64 v[19:20], v[14:15], v[12:13]
	ds_cmpstore_rtn_b64 v[19:20], v18, v[19:20], v[14:15] offset:8
	s_waitcnt lgkmcnt(0)
	v_cmp_eq_u64_e32 vcc_lo, v[19:20], v[14:15]
	v_dual_mov_b32 v14, v19 :: v_dual_mov_b32 v15, v20
	s_or_b32 s14, vcc_lo, s14
	s_delay_alu instid0(SALU_CYCLE_1)
	s_and_not1_b32 exec_lo, exec_lo, s14
	s_cbranch_execnz .LBB239_57
; %bb.58:                               ;   in Loop: Header=BB239_49 Depth=2
	s_or_b32 exec_lo, exec_lo, s14
	s_delay_alu instid0(SALU_CYCLE_1)
	s_xor_b32 s14, exec_lo, -1
.LBB239_59:                             ;   in Loop: Header=BB239_49 Depth=2
	s_or_b32 exec_lo, exec_lo, s13
	s_delay_alu instid0(SALU_CYCLE_1) | instskip(SKIP_1) | instid1(SALU_CYCLE_1)
	s_and_not1_b32 s5, s5, exec_lo
	s_and_b32 s13, s14, exec_lo
	s_or_b32 s5, s5, s13
.LBB239_60:                             ;   in Loop: Header=BB239_49 Depth=2
	s_or_b32 exec_lo, exec_lo, s12
	s_delay_alu instid0(SALU_CYCLE_1)
	s_and_b32 s5, s5, exec_lo
.LBB239_61:                             ;   in Loop: Header=BB239_49 Depth=2
	s_and_not1_saveexec_b32 s4, s4
	s_cbranch_execz .LBB239_48
; %bb.62:                               ;   in Loop: Header=BB239_49 Depth=2
	v_lshl_add_u32 v18, v17, 4, v32
	s_mov_b32 s12, 0
	ds_load_b64 v[14:15], v18
.LBB239_63:                             ;   Parent Loop BB239_47 Depth=1
                                        ;     Parent Loop BB239_49 Depth=2
                                        ; =>    This Inner Loop Header: Depth=3
	s_waitcnt lgkmcnt(0)
	v_add_f64 v[19:20], v[14:15], v[10:11]
	ds_cmpstore_rtn_b64 v[19:20], v18, v[19:20], v[14:15]
	s_waitcnt lgkmcnt(0)
	v_cmp_eq_u64_e32 vcc_lo, v[19:20], v[14:15]
	v_dual_mov_b32 v14, v19 :: v_dual_mov_b32 v15, v20
	s_or_b32 s12, vcc_lo, s12
	s_delay_alu instid0(SALU_CYCLE_1)
	s_and_not1_b32 exec_lo, exec_lo, s12
	s_cbranch_execnz .LBB239_63
; %bb.64:                               ;   in Loop: Header=BB239_49 Depth=2
	s_or_b32 exec_lo, exec_lo, s12
	ds_load_b64 v[14:15], v18 offset:8
	s_mov_b32 s12, 0
.LBB239_65:                             ;   Parent Loop BB239_47 Depth=1
                                        ;     Parent Loop BB239_49 Depth=2
                                        ; =>    This Inner Loop Header: Depth=3
	s_waitcnt lgkmcnt(0)
	v_add_f64 v[19:20], v[14:15], v[12:13]
	ds_cmpstore_rtn_b64 v[19:20], v18, v[19:20], v[14:15] offset:8
	s_waitcnt lgkmcnt(0)
	v_cmp_eq_u64_e32 vcc_lo, v[19:20], v[14:15]
	v_dual_mov_b32 v14, v19 :: v_dual_mov_b32 v15, v20
	s_or_b32 s12, vcc_lo, s12
	s_delay_alu instid0(SALU_CYCLE_1)
	s_and_not1_b32 exec_lo, exec_lo, s12
	s_cbranch_execnz .LBB239_65
; %bb.66:                               ;   in Loop: Header=BB239_49 Depth=2
	s_or_b32 exec_lo, exec_lo, s12
	s_delay_alu instid0(SALU_CYCLE_1)
	s_and_not1_b32 s5, s5, exec_lo
	s_branch .LBB239_48
.LBB239_67:
	s_nop 0
	s_sendmsg sendmsg(MSG_DEALLOC_VGPRS)
	s_endpgm
	.section	.rodata,"a",@progbits
	.p2align	6, 0x0
	.amdhsa_kernel _ZN9rocsparseL23csrgemm_fill_wf_per_rowILj256ELj8ELj16ELj137Eli21rocsparse_complex_numIdEEEvT4_S3_PKS3_S5_NS_24const_host_device_scalarIT5_EEPKT3_S5_PKS7_SB_S5_SD_S8_SB_S5_SD_SB_PS3_PS7_21rocsparse_index_base_SG_SG_SG_bbb
		.amdhsa_group_segment_fixed_size 14336
		.amdhsa_private_segment_fixed_size 0
		.amdhsa_kernarg_size 172
		.amdhsa_user_sgpr_count 15
		.amdhsa_user_sgpr_dispatch_ptr 1
		.amdhsa_user_sgpr_queue_ptr 0
		.amdhsa_user_sgpr_kernarg_segment_ptr 1
		.amdhsa_user_sgpr_dispatch_id 0
		.amdhsa_user_sgpr_private_segment_size 0
		.amdhsa_wavefront_size32 1
		.amdhsa_uses_dynamic_stack 0
		.amdhsa_enable_private_segment 0
		.amdhsa_system_sgpr_workgroup_id_x 1
		.amdhsa_system_sgpr_workgroup_id_y 0
		.amdhsa_system_sgpr_workgroup_id_z 0
		.amdhsa_system_sgpr_workgroup_info 0
		.amdhsa_system_vgpr_workitem_id 2
		.amdhsa_next_free_vgpr 39
		.amdhsa_next_free_sgpr 48
		.amdhsa_reserve_vcc 1
		.amdhsa_float_round_mode_32 0
		.amdhsa_float_round_mode_16_64 0
		.amdhsa_float_denorm_mode_32 3
		.amdhsa_float_denorm_mode_16_64 3
		.amdhsa_dx10_clamp 1
		.amdhsa_ieee_mode 1
		.amdhsa_fp16_overflow 0
		.amdhsa_workgroup_processor_mode 1
		.amdhsa_memory_ordered 1
		.amdhsa_forward_progress 0
		.amdhsa_shared_vgpr_count 0
		.amdhsa_exception_fp_ieee_invalid_op 0
		.amdhsa_exception_fp_denorm_src 0
		.amdhsa_exception_fp_ieee_div_zero 0
		.amdhsa_exception_fp_ieee_overflow 0
		.amdhsa_exception_fp_ieee_underflow 0
		.amdhsa_exception_fp_ieee_inexact 0
		.amdhsa_exception_int_div_zero 0
	.end_amdhsa_kernel
	.section	.text._ZN9rocsparseL23csrgemm_fill_wf_per_rowILj256ELj8ELj16ELj137Eli21rocsparse_complex_numIdEEEvT4_S3_PKS3_S5_NS_24const_host_device_scalarIT5_EEPKT3_S5_PKS7_SB_S5_SD_S8_SB_S5_SD_SB_PS3_PS7_21rocsparse_index_base_SG_SG_SG_bbb,"axG",@progbits,_ZN9rocsparseL23csrgemm_fill_wf_per_rowILj256ELj8ELj16ELj137Eli21rocsparse_complex_numIdEEEvT4_S3_PKS3_S5_NS_24const_host_device_scalarIT5_EEPKT3_S5_PKS7_SB_S5_SD_S8_SB_S5_SD_SB_PS3_PS7_21rocsparse_index_base_SG_SG_SG_bbb,comdat
.Lfunc_end239:
	.size	_ZN9rocsparseL23csrgemm_fill_wf_per_rowILj256ELj8ELj16ELj137Eli21rocsparse_complex_numIdEEEvT4_S3_PKS3_S5_NS_24const_host_device_scalarIT5_EEPKT3_S5_PKS7_SB_S5_SD_S8_SB_S5_SD_SB_PS3_PS7_21rocsparse_index_base_SG_SG_SG_bbb, .Lfunc_end239-_ZN9rocsparseL23csrgemm_fill_wf_per_rowILj256ELj8ELj16ELj137Eli21rocsparse_complex_numIdEEEvT4_S3_PKS3_S5_NS_24const_host_device_scalarIT5_EEPKT3_S5_PKS7_SB_S5_SD_S8_SB_S5_SD_SB_PS3_PS7_21rocsparse_index_base_SG_SG_SG_bbb
                                        ; -- End function
	.section	.AMDGPU.csdata,"",@progbits
; Kernel info:
; codeLenInByte = 3276
; NumSgprs: 50
; NumVgprs: 39
; ScratchSize: 0
; MemoryBound: 0
; FloatMode: 240
; IeeeMode: 1
; LDSByteSize: 14336 bytes/workgroup (compile time only)
; SGPRBlocks: 6
; VGPRBlocks: 4
; NumSGPRsForWavesPerEU: 50
; NumVGPRsForWavesPerEU: 39
; Occupancy: 16
; WaveLimiterHint : 1
; COMPUTE_PGM_RSRC2:SCRATCH_EN: 0
; COMPUTE_PGM_RSRC2:USER_SGPR: 15
; COMPUTE_PGM_RSRC2:TRAP_HANDLER: 0
; COMPUTE_PGM_RSRC2:TGID_X_EN: 1
; COMPUTE_PGM_RSRC2:TGID_Y_EN: 0
; COMPUTE_PGM_RSRC2:TGID_Z_EN: 0
; COMPUTE_PGM_RSRC2:TIDIG_COMP_CNT: 2
	.section	.text._ZN9rocsparseL23csrgemm_fill_wf_per_rowILj256ELj16ELj32ELj137Eli21rocsparse_complex_numIdEEEvT4_S3_PKS3_S5_NS_24const_host_device_scalarIT5_EEPKT3_S5_PKS7_SB_S5_SD_S8_SB_S5_SD_SB_PS3_PS7_21rocsparse_index_base_SG_SG_SG_bbb,"axG",@progbits,_ZN9rocsparseL23csrgemm_fill_wf_per_rowILj256ELj16ELj32ELj137Eli21rocsparse_complex_numIdEEEvT4_S3_PKS3_S5_NS_24const_host_device_scalarIT5_EEPKT3_S5_PKS7_SB_S5_SD_S8_SB_S5_SD_SB_PS3_PS7_21rocsparse_index_base_SG_SG_SG_bbb,comdat
	.globl	_ZN9rocsparseL23csrgemm_fill_wf_per_rowILj256ELj16ELj32ELj137Eli21rocsparse_complex_numIdEEEvT4_S3_PKS3_S5_NS_24const_host_device_scalarIT5_EEPKT3_S5_PKS7_SB_S5_SD_S8_SB_S5_SD_SB_PS3_PS7_21rocsparse_index_base_SG_SG_SG_bbb ; -- Begin function _ZN9rocsparseL23csrgemm_fill_wf_per_rowILj256ELj16ELj32ELj137Eli21rocsparse_complex_numIdEEEvT4_S3_PKS3_S5_NS_24const_host_device_scalarIT5_EEPKT3_S5_PKS7_SB_S5_SD_S8_SB_S5_SD_SB_PS3_PS7_21rocsparse_index_base_SG_SG_SG_bbb
	.p2align	8
	.type	_ZN9rocsparseL23csrgemm_fill_wf_per_rowILj256ELj16ELj32ELj137Eli21rocsparse_complex_numIdEEEvT4_S3_PKS3_S5_NS_24const_host_device_scalarIT5_EEPKT3_S5_PKS7_SB_S5_SD_S8_SB_S5_SD_SB_PS3_PS7_21rocsparse_index_base_SG_SG_SG_bbb,@function
_ZN9rocsparseL23csrgemm_fill_wf_per_rowILj256ELj16ELj32ELj137Eli21rocsparse_complex_numIdEEEvT4_S3_PKS3_S5_NS_24const_host_device_scalarIT5_EEPKT3_S5_PKS7_SB_S5_SD_S8_SB_S5_SD_SB_PS3_PS7_21rocsparse_index_base_SG_SG_SG_bbb: ; @_ZN9rocsparseL23csrgemm_fill_wf_per_rowILj256ELj16ELj32ELj137Eli21rocsparse_complex_numIdEEEvT4_S3_PKS3_S5_NS_24const_host_device_scalarIT5_EEPKT3_S5_PKS7_SB_S5_SD_S8_SB_S5_SD_SB_PS3_PS7_21rocsparse_index_base_SG_SG_SG_bbb
; %bb.0:
	s_load_b32 s14, s[2:3], 0xa8
	s_load_b64 s[8:9], s[0:1], 0x4
	s_clause 0x1
	s_load_b128 s[4:7], s[2:3], 0x18
	s_load_b128 s[44:47], s[2:3], 0x58
	v_dual_mov_b32 v4, 0 :: v_dual_and_b32 v1, 0x3ff, v0
	s_load_b128 s[24:27], s[2:3], 0x98
	v_bfe_u32 v3, v0, 10, 10
	v_mov_b32_e32 v5, 0
	v_bfe_u32 v0, v0, 20, 10
	s_waitcnt lgkmcnt(0)
	s_bitcmp1_b32 s14, 0
	s_cselect_b32 s13, -1, 0
	s_bitcmp1_b32 s14, 16
	v_mov_b32_e32 v6, s44
	s_cselect_b32 s0, -1, 0
	s_lshr_b32 s1, s8, 16
	s_delay_alu instid0(SALU_CYCLE_1) | instskip(NEXT) | instid1(SALU_CYCLE_1)
	s_mul_i32 s1, s1, s9
	v_mul_lo_u32 v2, s1, v1
	s_xor_b32 s1, s0, -1
	s_bitcmp0_b32 s14, 0
	v_cndmask_b32_e64 v8, 0, 1, s1
	s_delay_alu instid0(VALU_DEP_2)
	v_mad_u32_u24 v9, v3, s9, v2
	v_dual_mov_b32 v2, s4 :: v_dual_mov_b32 v3, s5
	v_mov_b32_e32 v11, v5
	v_dual_mov_b32 v13, v5 :: v_dual_mov_b32 v12, v4
	v_dual_mov_b32 v7, s45 :: v_dual_mov_b32 v10, v4
	v_cmp_ne_u32_e32 vcc_lo, 1, v8
	v_add_lshl_u32 v0, v9, v0, 3
	ds_store_2addr_stride64_b64 v0, v[6:7], v[2:3] offset0:20 offset1:24
	s_cbranch_scc1 .LBB240_3
; %bb.1:
	s_mov_b64 s[8:9], src_shared_base
	s_and_b32 s8, s0, exec_lo
	s_cselect_b32 s8, s9, s5
	s_delay_alu instid0(SALU_CYCLE_1) | instskip(SKIP_2) | instid1(VALU_DEP_2)
	v_dual_mov_b32 v3, s8 :: v_dual_add_nc_u32 v2, 0x3000, v0
	v_dual_mov_b32 v13, s7 :: v_dual_mov_b32 v12, s6
	s_and_b32 vcc_lo, exec_lo, vcc_lo
	v_cndmask_b32_e64 v2, s4, v2, s0
	flat_load_b64 v[10:11], v[2:3]
	s_cbranch_vccnz .LBB240_3
; %bb.2:
	v_dual_mov_b32 v2, s4 :: v_dual_mov_b32 v3, s5
	flat_load_b64 v[12:13], v[2:3] offset:8
.LBB240_3:
	s_clause 0x4
	s_load_b128 s[28:31], s[2:3], 0x88
	s_load_b256 s[4:11], s[2:3], 0x68
	s_load_b128 s[36:39], s[2:3], 0x48
	s_load_b128 s[40:43], s[2:3], 0x8
	s_load_b256 s[16:23], s[2:3], 0x28
	s_bitcmp1_b32 s14, 8
	v_dual_mov_b32 v7, v5 :: v_dual_mov_b32 v6, v4
	s_cselect_b32 s12, -1, 0
	s_bfe_u32 s14, s14, 0x10008
	s_delay_alu instid0(SALU_CYCLE_1)
	s_cmp_eq_u32 s14, 0
	s_cbranch_scc1 .LBB240_6
; %bb.4:
	s_mov_b64 s[34:35], src_shared_base
	s_and_b32 s14, s0, exec_lo
	s_cselect_b32 s14, s35, s45
	s_delay_alu instid0(SALU_CYCLE_1) | instskip(SKIP_2) | instid1(VALU_DEP_2)
	v_dual_mov_b32 v3, s14 :: v_dual_add_nc_u32 v0, 0x2800, v0
	v_dual_mov_b32 v4, s46 :: v_dual_mov_b32 v5, s47
	s_and_not1_b32 vcc_lo, exec_lo, s1
	v_cndmask_b32_e64 v2, s44, v0, s0
	flat_load_b64 v[6:7], v[2:3]
	s_cbranch_vccnz .LBB240_6
; %bb.5:
	v_dual_mov_b32 v2, s44 :: v_dual_mov_b32 v3, s45
	flat_load_b64 v[4:5], v[2:3] offset:8
.LBB240_6:
	s_load_b64 s[0:1], s[2:3], 0x0
	v_lshrrev_b32_e32 v14, 4, v1
	v_dual_mov_b32 v0, 0 :: v_dual_and_b32 v33, 15, v1
	s_mov_b32 s2, 0
	s_delay_alu instid0(VALU_DEP_2) | instskip(NEXT) | instid1(VALU_DEP_2)
	v_lshlrev_b32_e32 v1, 7, v14
	v_lshlrev_b32_e32 v2, 2, v33
	v_or_b32_e32 v28, -16, v33
	s_delay_alu instid0(VALU_DEP_2) | instskip(SKIP_2) | instid1(VALU_DEP_4)
	v_or3_b32 v29, v1, v2, 0x2000
	v_mov_b32_e32 v1, v0
	v_dual_mov_b32 v2, v0 :: v_dual_lshlrev_b32 v3, 4, v33
	v_mov_b32_e32 v16, v28
	s_delay_alu instid0(VALU_DEP_4) | instskip(NEXT) | instid1(VALU_DEP_3)
	v_mov_b32_e32 v8, v29
	v_lshl_or_b32 v30, v14, 9, v3
	v_mov_b32_e32 v3, v0
	s_waitcnt lgkmcnt(0)
	v_mov_b32_e32 v15, s1
	s_delay_alu instid0(VALU_DEP_3)
	v_mov_b32_e32 v9, v30
.LBB240_7:                              ; =>This Inner Loop Header: Depth=1
	v_add_co_u32 v16, s3, v16, 16
	s_delay_alu instid0(VALU_DEP_1)
	s_xor_b32 s3, s3, -1
	ds_store_b32 v8, v15
	ds_store_b128 v9, v[0:3]
	v_add_nc_u32_e32 v9, 0x100, v9
	v_add_nc_u32_e32 v8, 64, v8
	s_and_b32 s3, exec_lo, s3
	s_delay_alu instid0(SALU_CYCLE_1) | instskip(NEXT) | instid1(SALU_CYCLE_1)
	s_or_b32 s2, s3, s2
	s_and_not1_b32 exec_lo, exec_lo, s2
	s_cbranch_execnz .LBB240_7
; %bb.8:
	s_or_b32 exec_lo, exec_lo, s2
	s_lshl_b32 s2, s15, 4
	s_waitcnt vmcnt(0) lgkmcnt(0)
	buffer_gl0_inv
	v_and_or_b32 v0, 0xffffff0, s2, v14
	s_delay_alu instid0(VALU_DEP_1)
	v_cmp_gt_i32_e32 vcc_lo, s0, v0
	s_and_saveexec_b32 s0, vcc_lo
	s_cbranch_execz .LBB240_67
; %bb.9:
	s_cmp_eq_u64 s[42:43], 0
	s_cbranch_scc1 .LBB240_11
; %bb.10:
	s_load_b32 s0, s[40:41], 0x0
	s_waitcnt lgkmcnt(0)
	v_add_nc_u32_e32 v0, s0, v0
	s_delay_alu instid0(VALU_DEP_1) | instskip(NEXT) | instid1(VALU_DEP_1)
	v_ashrrev_i32_e32 v1, 31, v0
	v_lshlrev_b64 v[0:1], 2, v[0:1]
	s_delay_alu instid0(VALU_DEP_1) | instskip(NEXT) | instid1(VALU_DEP_2)
	v_add_co_u32 v0, vcc_lo, s42, v0
	v_add_co_ci_u32_e32 v1, vcc_lo, s43, v1, vcc_lo
	global_load_b32 v0, v[0:1], off
.LBB240_11:
	s_waitcnt vmcnt(0)
	v_ashrrev_i32_e32 v1, 31, v0
	v_lshl_or_b32 v31, v14, 7, 0x2000
	v_lshlrev_b32_e32 v32, 9, v14
	s_and_not1_b32 vcc_lo, exec_lo, s13
	s_delay_alu instid0(VALU_DEP_3)
	v_lshlrev_b64 v[8:9], 3, v[0:1]
	s_cbranch_vccnz .LBB240_39
; %bb.12:
	s_delay_alu instid0(VALU_DEP_1) | instskip(NEXT) | instid1(VALU_DEP_2)
	v_add_co_u32 v0, vcc_lo, s16, v8
	v_add_co_ci_u32_e32 v1, vcc_lo, s17, v9, vcc_lo
	v_sub_co_u32 v16, s0, v33, s24
	s_delay_alu instid0(VALU_DEP_1)
	v_sub_co_ci_u32_e64 v17, null, 0, 0, s0
	global_load_b128 v[0:3], v[0:1], off
	s_mov_b32 s2, 0
	s_mov_b32 s0, exec_lo
	s_waitcnt vmcnt(0)
	v_sub_co_u32 v14, vcc_lo, v2, s24
	v_subrev_co_ci_u32_e32 v15, vcc_lo, 0, v3, vcc_lo
	v_add_co_u32 v16, vcc_lo, v0, v16
	v_add_co_ci_u32_e32 v17, vcc_lo, v1, v17, vcc_lo
	s_delay_alu instid0(VALU_DEP_1)
	v_cmpx_lt_i64_e64 v[16:17], v[14:15]
	s_cbranch_execz .LBB240_38
; %bb.13:
	s_mov_b32 s3, s25
	s_branch .LBB240_15
.LBB240_14:                             ;   in Loop: Header=BB240_15 Depth=1
	s_or_b32 exec_lo, exec_lo, s13
	v_add_co_u32 v16, vcc_lo, v16, 16
	v_add_co_ci_u32_e32 v17, vcc_lo, 0, v17, vcc_lo
	s_delay_alu instid0(VALU_DEP_1) | instskip(SKIP_1) | instid1(SALU_CYCLE_1)
	v_cmp_ge_i64_e32 vcc_lo, v[16:17], v[14:15]
	s_or_b32 s2, vcc_lo, s2
	s_and_not1_b32 exec_lo, exec_lo, s2
	s_cbranch_execz .LBB240_38
.LBB240_15:                             ; =>This Loop Header: Depth=1
                                        ;     Child Loop BB240_18 Depth 2
                                        ;       Child Loop BB240_20 Depth 3
                                        ;         Child Loop BB240_26 Depth 4
                                        ;         Child Loop BB240_28 Depth 4
	;; [unrolled: 1-line block ×4, first 2 shown]
	v_lshlrev_b64 v[0:1], 2, v[16:17]
	s_mov_b32 s13, exec_lo
	s_delay_alu instid0(VALU_DEP_1) | instskip(NEXT) | instid1(VALU_DEP_2)
	v_add_co_u32 v0, vcc_lo, s18, v0
	v_add_co_ci_u32_e32 v1, vcc_lo, s19, v1, vcc_lo
	global_load_b32 v0, v[0:1], off
	s_waitcnt vmcnt(0)
	v_subrev_nc_u32_e32 v0, s24, v0
	s_delay_alu instid0(VALU_DEP_1) | instskip(NEXT) | instid1(VALU_DEP_1)
	v_ashrrev_i32_e32 v1, 31, v0
	v_lshlrev_b64 v[0:1], 3, v[0:1]
	s_delay_alu instid0(VALU_DEP_1) | instskip(NEXT) | instid1(VALU_DEP_2)
	v_add_co_u32 v0, vcc_lo, s22, v0
	v_add_co_ci_u32_e32 v1, vcc_lo, s23, v1, vcc_lo
	global_load_b128 v[0:3], v[0:1], off
	s_waitcnt vmcnt(0)
	v_cmpx_lt_i64_e64 v[0:1], v[2:3]
	s_cbranch_execz .LBB240_14
; %bb.16:                               ;   in Loop: Header=BB240_15 Depth=1
	v_lshlrev_b64 v[18:19], 4, v[16:17]
	s_mov_b32 s14, 0
	s_delay_alu instid0(VALU_DEP_1) | instskip(NEXT) | instid1(VALU_DEP_2)
	v_add_co_u32 v18, vcc_lo, s20, v18
	v_add_co_ci_u32_e32 v19, vcc_lo, s21, v19, vcc_lo
	v_sub_co_u32 v2, vcc_lo, v2, s3
	v_subrev_co_ci_u32_e32 v3, vcc_lo, 0, v3, vcc_lo
	global_load_b128 v[20:23], v[18:19], off
	v_sub_co_u32 v0, vcc_lo, v0, s3
	v_subrev_co_ci_u32_e32 v1, vcc_lo, 0, v1, vcc_lo
	s_waitcnt vmcnt(0)
	v_mul_f64 v[18:19], v[22:23], -v[12:13]
	v_mul_f64 v[22:23], v[10:11], v[22:23]
	s_delay_alu instid0(VALU_DEP_2) | instskip(NEXT) | instid1(VALU_DEP_2)
	v_fma_f64 v[18:19], v[10:11], v[20:21], v[18:19]
	v_fma_f64 v[20:21], v[12:13], v[20:21], v[22:23]
	s_branch .LBB240_18
.LBB240_17:                             ;   in Loop: Header=BB240_18 Depth=2
	s_or_b32 exec_lo, exec_lo, s15
	v_add_co_u32 v0, vcc_lo, v0, 1
	v_add_co_ci_u32_e32 v1, vcc_lo, 0, v1, vcc_lo
	s_delay_alu instid0(VALU_DEP_1) | instskip(SKIP_1) | instid1(SALU_CYCLE_1)
	v_cmp_ge_i64_e32 vcc_lo, v[0:1], v[2:3]
	s_or_b32 s14, vcc_lo, s14
	s_and_not1_b32 exec_lo, exec_lo, s14
	s_cbranch_execz .LBB240_14
.LBB240_18:                             ;   Parent Loop BB240_15 Depth=1
                                        ; =>  This Loop Header: Depth=2
                                        ;       Child Loop BB240_20 Depth 3
                                        ;         Child Loop BB240_26 Depth 4
                                        ;         Child Loop BB240_28 Depth 4
	;; [unrolled: 1-line block ×4, first 2 shown]
	v_lshlrev_b64 v[22:23], 4, v[0:1]
	s_mov_b32 s15, 0
	s_delay_alu instid0(VALU_DEP_1) | instskip(NEXT) | instid1(VALU_DEP_2)
	v_add_co_u32 v22, vcc_lo, s38, v22
	v_add_co_ci_u32_e32 v23, vcc_lo, s39, v23, vcc_lo
	global_load_b128 v[24:27], v[22:23], off
	v_lshlrev_b64 v[22:23], 2, v[0:1]
	s_delay_alu instid0(VALU_DEP_1) | instskip(NEXT) | instid1(VALU_DEP_2)
	v_add_co_u32 v22, vcc_lo, s36, v22
	v_add_co_ci_u32_e32 v23, vcc_lo, s37, v23, vcc_lo
	global_load_b32 v34, v[22:23], off
	s_waitcnt vmcnt(1)
	v_mul_f64 v[22:23], v[26:27], -v[20:21]
	v_mul_f64 v[26:27], v[18:19], v[26:27]
	s_waitcnt vmcnt(0)
	v_subrev_nc_u32_e32 v34, s25, v34
	s_delay_alu instid0(VALU_DEP_3) | instskip(NEXT) | instid1(VALU_DEP_3)
	v_fma_f64 v[22:23], v[18:19], v[24:25], v[22:23]
	v_fma_f64 v[24:25], v[20:21], v[24:25], v[26:27]
	s_delay_alu instid0(VALU_DEP_3) | instskip(NEXT) | instid1(VALU_DEP_1)
	v_lshl_add_u32 v26, v34, 3, v34
	v_and_b32_e32 v35, 31, v26
	s_branch .LBB240_20
.LBB240_19:                             ;   in Loop: Header=BB240_20 Depth=3
	s_or_b32 exec_lo, exec_lo, s16
	s_xor_b32 s16, s17, -1
	s_delay_alu instid0(SALU_CYCLE_1) | instskip(NEXT) | instid1(SALU_CYCLE_1)
	s_and_b32 s16, exec_lo, s16
	s_or_b32 s15, s16, s15
	s_delay_alu instid0(SALU_CYCLE_1)
	s_and_not1_b32 exec_lo, exec_lo, s15
	s_cbranch_execz .LBB240_17
.LBB240_20:                             ;   Parent Loop BB240_15 Depth=1
                                        ;     Parent Loop BB240_18 Depth=2
                                        ; =>    This Loop Header: Depth=3
                                        ;         Child Loop BB240_26 Depth 4
                                        ;         Child Loop BB240_28 Depth 4
	;; [unrolled: 1-line block ×4, first 2 shown]
	s_delay_alu instid0(VALU_DEP_1)
	v_lshl_add_u32 v26, v35, 2, v31
	s_mov_b32 s16, exec_lo
                                        ; implicit-def: $sgpr17
	ds_load_b32 v27, v26
	s_waitcnt lgkmcnt(0)
	v_cmpx_ne_u32_e64 v27, v34
	s_xor_b32 s16, exec_lo, s16
	s_cbranch_execz .LBB240_32
; %bb.21:                               ;   in Loop: Header=BB240_20 Depth=3
	s_mov_b32 s33, exec_lo
                                        ; implicit-def: $sgpr17
	v_cmpx_ne_u32_e64 s1, v27
	s_xor_b32 s33, exec_lo, s33
; %bb.22:                               ;   in Loop: Header=BB240_20 Depth=3
	v_add_nc_u32_e32 v26, 1, v35
	s_mov_b32 s17, -1
	s_delay_alu instid0(VALU_DEP_1)
	v_and_b32_e32 v35, 31, v26
                                        ; implicit-def: $vgpr26
; %bb.23:                               ;   in Loop: Header=BB240_20 Depth=3
	s_and_not1_saveexec_b32 s33, s33
	s_cbranch_execz .LBB240_31
; %bb.24:                               ;   in Loop: Header=BB240_20 Depth=3
	v_mov_b32_e32 v27, s1
	s_mov_b32 s35, -1
	s_mov_b32 s34, exec_lo
	ds_cmpstore_rtn_b32 v26, v26, v34, v27
	s_waitcnt lgkmcnt(0)
	v_cmpx_eq_u32_e64 s1, v26
	s_cbranch_execz .LBB240_30
; %bb.25:                               ;   in Loop: Header=BB240_20 Depth=3
	v_lshl_add_u32 v36, v35, 4, v32
	s_mov_b32 s35, 0
	ds_load_b64 v[26:27], v36
.LBB240_26:                             ;   Parent Loop BB240_15 Depth=1
                                        ;     Parent Loop BB240_18 Depth=2
                                        ;       Parent Loop BB240_20 Depth=3
                                        ; =>      This Inner Loop Header: Depth=4
	s_waitcnt lgkmcnt(0)
	v_add_f64 v[37:38], v[26:27], v[22:23]
	ds_cmpstore_rtn_b64 v[37:38], v36, v[37:38], v[26:27]
	s_waitcnt lgkmcnt(0)
	v_cmp_eq_u64_e32 vcc_lo, v[37:38], v[26:27]
	v_dual_mov_b32 v26, v37 :: v_dual_mov_b32 v27, v38
	s_or_b32 s35, vcc_lo, s35
	s_delay_alu instid0(SALU_CYCLE_1)
	s_and_not1_b32 exec_lo, exec_lo, s35
	s_cbranch_execnz .LBB240_26
; %bb.27:                               ;   in Loop: Header=BB240_20 Depth=3
	s_or_b32 exec_lo, exec_lo, s35
	ds_load_b64 v[26:27], v36 offset:8
	s_mov_b32 s35, 0
.LBB240_28:                             ;   Parent Loop BB240_15 Depth=1
                                        ;     Parent Loop BB240_18 Depth=2
                                        ;       Parent Loop BB240_20 Depth=3
                                        ; =>      This Inner Loop Header: Depth=4
	s_waitcnt lgkmcnt(0)
	v_add_f64 v[37:38], v[26:27], v[24:25]
	ds_cmpstore_rtn_b64 v[37:38], v36, v[37:38], v[26:27] offset:8
	s_waitcnt lgkmcnt(0)
	v_cmp_eq_u64_e32 vcc_lo, v[37:38], v[26:27]
	v_dual_mov_b32 v26, v37 :: v_dual_mov_b32 v27, v38
	s_or_b32 s35, vcc_lo, s35
	s_delay_alu instid0(SALU_CYCLE_1)
	s_and_not1_b32 exec_lo, exec_lo, s35
	s_cbranch_execnz .LBB240_28
; %bb.29:                               ;   in Loop: Header=BB240_20 Depth=3
	s_or_b32 exec_lo, exec_lo, s35
	s_delay_alu instid0(SALU_CYCLE_1)
	s_xor_b32 s35, exec_lo, -1
.LBB240_30:                             ;   in Loop: Header=BB240_20 Depth=3
	s_or_b32 exec_lo, exec_lo, s34
	s_delay_alu instid0(SALU_CYCLE_1) | instskip(SKIP_1) | instid1(SALU_CYCLE_1)
	s_and_not1_b32 s17, s17, exec_lo
	s_and_b32 s34, s35, exec_lo
	s_or_b32 s17, s17, s34
.LBB240_31:                             ;   in Loop: Header=BB240_20 Depth=3
	s_or_b32 exec_lo, exec_lo, s33
	s_delay_alu instid0(SALU_CYCLE_1)
	s_and_b32 s17, s17, exec_lo
.LBB240_32:                             ;   in Loop: Header=BB240_20 Depth=3
	s_and_not1_saveexec_b32 s16, s16
	s_cbranch_execz .LBB240_19
; %bb.33:                               ;   in Loop: Header=BB240_20 Depth=3
	v_lshl_add_u32 v36, v35, 4, v32
	s_mov_b32 s33, 0
	ds_load_b64 v[26:27], v36
.LBB240_34:                             ;   Parent Loop BB240_15 Depth=1
                                        ;     Parent Loop BB240_18 Depth=2
                                        ;       Parent Loop BB240_20 Depth=3
                                        ; =>      This Inner Loop Header: Depth=4
	s_waitcnt lgkmcnt(0)
	v_add_f64 v[37:38], v[26:27], v[22:23]
	ds_cmpstore_rtn_b64 v[37:38], v36, v[37:38], v[26:27]
	s_waitcnt lgkmcnt(0)
	v_cmp_eq_u64_e32 vcc_lo, v[37:38], v[26:27]
	v_dual_mov_b32 v26, v37 :: v_dual_mov_b32 v27, v38
	s_or_b32 s33, vcc_lo, s33
	s_delay_alu instid0(SALU_CYCLE_1)
	s_and_not1_b32 exec_lo, exec_lo, s33
	s_cbranch_execnz .LBB240_34
; %bb.35:                               ;   in Loop: Header=BB240_20 Depth=3
	s_or_b32 exec_lo, exec_lo, s33
	ds_load_b64 v[26:27], v36 offset:8
	s_mov_b32 s33, 0
.LBB240_36:                             ;   Parent Loop BB240_15 Depth=1
                                        ;     Parent Loop BB240_18 Depth=2
                                        ;       Parent Loop BB240_20 Depth=3
                                        ; =>      This Inner Loop Header: Depth=4
	s_waitcnt lgkmcnt(0)
	v_add_f64 v[37:38], v[26:27], v[24:25]
	ds_cmpstore_rtn_b64 v[37:38], v36, v[37:38], v[26:27] offset:8
	s_waitcnt lgkmcnt(0)
	v_cmp_eq_u64_e32 vcc_lo, v[37:38], v[26:27]
	v_dual_mov_b32 v26, v37 :: v_dual_mov_b32 v27, v38
	s_or_b32 s33, vcc_lo, s33
	s_delay_alu instid0(SALU_CYCLE_1)
	s_and_not1_b32 exec_lo, exec_lo, s33
	s_cbranch_execnz .LBB240_36
; %bb.37:                               ;   in Loop: Header=BB240_20 Depth=3
	s_or_b32 exec_lo, exec_lo, s33
	s_delay_alu instid0(SALU_CYCLE_1)
	s_and_not1_b32 s17, s17, exec_lo
	s_branch .LBB240_19
.LBB240_38:
	s_or_b32 exec_lo, exec_lo, s0
.LBB240_39:
	s_delay_alu instid0(SALU_CYCLE_1)
	s_and_not1_b32 vcc_lo, exec_lo, s12
	s_cbranch_vccnz .LBB240_42
; %bb.40:
	s_delay_alu instid0(VALU_DEP_1) | instskip(NEXT) | instid1(VALU_DEP_2)
	v_add_co_u32 v0, vcc_lo, s4, v8
	v_add_co_ci_u32_e32 v1, vcc_lo, s5, v9, vcc_lo
	v_sub_co_u32 v2, s0, v33, s27
	s_delay_alu instid0(VALU_DEP_1)
	v_sub_co_ci_u32_e64 v3, null, 0, 0, s0
	global_load_b128 v[10:13], v[0:1], off
	s_mov_b32 s2, 0
	s_mov_b32 s0, exec_lo
	s_waitcnt vmcnt(0)
	v_sub_co_u32 v0, vcc_lo, v12, s27
	v_subrev_co_ci_u32_e32 v1, vcc_lo, 0, v13, vcc_lo
	v_add_co_u32 v2, vcc_lo, v10, v2
	v_add_co_ci_u32_e32 v3, vcc_lo, v11, v3, vcc_lo
	s_delay_alu instid0(VALU_DEP_1)
	v_cmpx_lt_i64_e64 v[2:3], v[0:1]
	s_cbranch_execnz .LBB240_47
.LBB240_41:
	s_or_b32 exec_lo, exec_lo, s0
.LBB240_42:
	s_delay_alu instid0(VALU_DEP_1) | instskip(NEXT) | instid1(VALU_DEP_2)
	v_add_co_u32 v0, vcc_lo, s10, v8
	v_add_co_ci_u32_e32 v1, vcc_lo, s11, v9, vcc_lo
	buffer_gl0_inv
	s_mov_b32 s0, 0
	global_load_b64 v[0:1], v[0:1], off
	s_waitcnt vmcnt(0)
	v_sub_co_u32 v0, vcc_lo, v0, s26
	v_subrev_co_ci_u32_e32 v1, vcc_lo, 0, v1, vcc_lo
	s_branch .LBB240_44
.LBB240_43:                             ;   in Loop: Header=BB240_44 Depth=1
	s_or_b32 exec_lo, exec_lo, s2
	v_add_co_u32 v28, s2, v28, 16
	s_delay_alu instid0(VALU_DEP_1) | instskip(SKIP_3) | instid1(SALU_CYCLE_1)
	s_xor_b32 s2, s2, -1
	v_add_nc_u32_e32 v30, 0x100, v30
	v_add_nc_u32_e32 v29, 64, v29
	s_and_b32 s2, exec_lo, s2
	s_or_b32 s0, s2, s0
	s_delay_alu instid0(SALU_CYCLE_1)
	s_and_not1_b32 exec_lo, exec_lo, s0
	s_cbranch_execz .LBB240_67
.LBB240_44:                             ; =>This Inner Loop Header: Depth=1
	ds_load_b32 v2, v29
	s_mov_b32 s2, exec_lo
	s_waitcnt lgkmcnt(0)
	v_cmpx_gt_i32_e64 s1, v2
	s_cbranch_execz .LBB240_43
; %bb.45:                               ;   in Loop: Header=BB240_44 Depth=1
	ds_load_b128 v[3:6], v31
	ds_load_b128 v[7:10], v31 offset:16
	ds_load_b128 v[11:14], v31 offset:32
	;; [unrolled: 1-line block ×4, first 2 shown]
	s_waitcnt lgkmcnt(4)
	v_cmp_gt_i32_e32 vcc_lo, v2, v3
	v_cndmask_b32_e64 v3, 0, 1, vcc_lo
	v_cmp_gt_i32_e32 vcc_lo, v2, v4
	v_cndmask_b32_e64 v4, 0, 1, vcc_lo
	s_delay_alu instid0(VALU_DEP_3) | instskip(SKIP_3) | instid1(VALU_DEP_4)
	v_add_co_u32 v3, vcc_lo, v0, v3
	v_add_co_ci_u32_e32 v23, vcc_lo, 0, v1, vcc_lo
	v_cmp_gt_i32_e32 vcc_lo, v2, v5
	v_cndmask_b32_e64 v5, 0, 1, vcc_lo
	v_add_co_u32 v3, vcc_lo, v3, v4
	s_delay_alu instid0(VALU_DEP_4) | instskip(SKIP_2) | instid1(VALU_DEP_4)
	v_add_co_ci_u32_e32 v4, vcc_lo, 0, v23, vcc_lo
	v_cmp_gt_i32_e32 vcc_lo, v2, v6
	v_cndmask_b32_e64 v6, 0, 1, vcc_lo
	v_add_co_u32 v3, vcc_lo, v3, v5
	s_delay_alu instid0(VALU_DEP_4)
	v_add_co_ci_u32_e32 v4, vcc_lo, 0, v4, vcc_lo
	s_waitcnt lgkmcnt(3)
	v_cmp_gt_i32_e32 vcc_lo, v2, v7
	v_cndmask_b32_e64 v5, 0, 1, vcc_lo
	v_add_co_u32 v3, vcc_lo, v3, v6
	v_add_co_ci_u32_e32 v4, vcc_lo, 0, v4, vcc_lo
	v_cmp_gt_i32_e32 vcc_lo, v2, v8
	v_cndmask_b32_e64 v6, 0, 1, vcc_lo
	s_delay_alu instid0(VALU_DEP_4) | instskip(NEXT) | instid1(VALU_DEP_4)
	v_add_co_u32 v3, vcc_lo, v3, v5
	v_add_co_ci_u32_e32 v4, vcc_lo, 0, v4, vcc_lo
	v_cmp_gt_i32_e32 vcc_lo, v2, v9
	v_cndmask_b32_e64 v5, 0, 1, vcc_lo
	s_delay_alu instid0(VALU_DEP_4) | instskip(NEXT) | instid1(VALU_DEP_4)
	;; [unrolled: 5-line block ×3, first 2 shown]
	v_add_co_u32 v3, vcc_lo, v3, v5
	v_add_co_ci_u32_e32 v4, vcc_lo, 0, v4, vcc_lo
	s_waitcnt lgkmcnt(2)
	v_cmp_gt_i32_e32 vcc_lo, v2, v11
	v_cndmask_b32_e64 v5, 0, 1, vcc_lo
	v_add_co_u32 v3, vcc_lo, v3, v6
	v_add_co_ci_u32_e32 v4, vcc_lo, 0, v4, vcc_lo
	v_cmp_gt_i32_e32 vcc_lo, v2, v12
	v_cndmask_b32_e64 v6, 0, 1, vcc_lo
	s_delay_alu instid0(VALU_DEP_4) | instskip(NEXT) | instid1(VALU_DEP_4)
	v_add_co_u32 v3, vcc_lo, v3, v5
	v_add_co_ci_u32_e32 v4, vcc_lo, 0, v4, vcc_lo
	v_cmp_gt_i32_e32 vcc_lo, v2, v13
	v_cndmask_b32_e64 v5, 0, 1, vcc_lo
	s_delay_alu instid0(VALU_DEP_4) | instskip(NEXT) | instid1(VALU_DEP_4)
	;; [unrolled: 5-line block ×3, first 2 shown]
	v_add_co_u32 v3, vcc_lo, v3, v5
	v_add_co_ci_u32_e32 v4, vcc_lo, 0, v4, vcc_lo
	s_waitcnt lgkmcnt(1)
	v_cmp_gt_i32_e32 vcc_lo, v2, v15
	v_cndmask_b32_e64 v5, 0, 1, vcc_lo
	v_add_co_u32 v3, vcc_lo, v3, v6
	v_add_co_ci_u32_e32 v4, vcc_lo, 0, v4, vcc_lo
	v_cmp_gt_i32_e32 vcc_lo, v2, v16
	v_cndmask_b32_e64 v6, 0, 1, vcc_lo
	s_delay_alu instid0(VALU_DEP_4) | instskip(NEXT) | instid1(VALU_DEP_4)
	v_add_co_u32 v3, vcc_lo, v3, v5
	v_add_co_ci_u32_e32 v4, vcc_lo, 0, v4, vcc_lo
	v_cmp_gt_i32_e32 vcc_lo, v2, v17
	v_cndmask_b32_e64 v5, 0, 1, vcc_lo
	s_delay_alu instid0(VALU_DEP_4) | instskip(NEXT) | instid1(VALU_DEP_4)
	v_add_co_u32 v3, vcc_lo, v3, v6
	v_add_co_ci_u32_e32 v4, vcc_lo, 0, v4, vcc_lo
	s_delay_alu instid0(VALU_DEP_2) | instskip(NEXT) | instid1(VALU_DEP_2)
	v_add_co_u32 v7, vcc_lo, v3, v5
	v_add_co_ci_u32_e32 v8, vcc_lo, 0, v4, vcc_lo
	ds_load_b128 v[3:6], v31 offset:80
	v_cmp_gt_i32_e32 vcc_lo, v2, v18
	v_cndmask_b32_e64 v9, 0, 1, vcc_lo
	s_waitcnt lgkmcnt(1)
	v_cmp_gt_i32_e32 vcc_lo, v2, v19
	v_cndmask_b32_e64 v10, 0, 1, vcc_lo
	s_delay_alu instid0(VALU_DEP_3) | instskip(SKIP_3) | instid1(VALU_DEP_4)
	v_add_co_u32 v7, vcc_lo, v7, v9
	v_add_co_ci_u32_e32 v8, vcc_lo, 0, v8, vcc_lo
	v_cmp_gt_i32_e32 vcc_lo, v2, v20
	v_cndmask_b32_e64 v9, 0, 1, vcc_lo
	v_add_co_u32 v7, vcc_lo, v7, v10
	s_delay_alu instid0(VALU_DEP_4) | instskip(SKIP_2) | instid1(VALU_DEP_4)
	v_add_co_ci_u32_e32 v8, vcc_lo, 0, v8, vcc_lo
	v_cmp_gt_i32_e32 vcc_lo, v2, v21
	v_cndmask_b32_e64 v10, 0, 1, vcc_lo
	v_add_co_u32 v7, vcc_lo, v7, v9
	s_delay_alu instid0(VALU_DEP_4) | instskip(SKIP_2) | instid1(VALU_DEP_4)
	v_add_co_ci_u32_e32 v8, vcc_lo, 0, v8, vcc_lo
	v_cmp_gt_i32_e32 vcc_lo, v2, v22
	v_cndmask_b32_e64 v9, 0, 1, vcc_lo
	v_add_co_u32 v7, vcc_lo, v7, v10
	s_delay_alu instid0(VALU_DEP_4) | instskip(NEXT) | instid1(VALU_DEP_2)
	v_add_co_ci_u32_e32 v8, vcc_lo, 0, v8, vcc_lo
	v_add_co_u32 v11, vcc_lo, v7, v9
	s_delay_alu instid0(VALU_DEP_2)
	v_add_co_ci_u32_e32 v12, vcc_lo, 0, v8, vcc_lo
	s_waitcnt lgkmcnt(0)
	v_cmp_gt_i32_e32 vcc_lo, v2, v3
	ds_load_b128 v[7:10], v31 offset:96
	v_cndmask_b32_e64 v3, 0, 1, vcc_lo
	v_cmp_gt_i32_e32 vcc_lo, v2, v4
	v_cndmask_b32_e64 v4, 0, 1, vcc_lo
	s_delay_alu instid0(VALU_DEP_3) | instskip(SKIP_3) | instid1(VALU_DEP_4)
	v_add_co_u32 v3, vcc_lo, v11, v3
	v_add_co_ci_u32_e32 v11, vcc_lo, 0, v12, vcc_lo
	v_cmp_gt_i32_e32 vcc_lo, v2, v5
	v_cndmask_b32_e64 v5, 0, 1, vcc_lo
	v_add_co_u32 v3, vcc_lo, v3, v4
	s_delay_alu instid0(VALU_DEP_4) | instskip(NEXT) | instid1(VALU_DEP_2)
	v_add_co_ci_u32_e32 v4, vcc_lo, 0, v11, vcc_lo
	v_add_co_u32 v11, vcc_lo, v3, v5
	s_delay_alu instid0(VALU_DEP_2)
	v_add_co_ci_u32_e32 v12, vcc_lo, 0, v4, vcc_lo
	v_cmp_gt_i32_e32 vcc_lo, v2, v6
	ds_load_b128 v[3:6], v31 offset:112
	v_cndmask_b32_e64 v13, 0, 1, vcc_lo
	s_waitcnt lgkmcnt(1)
	v_cmp_gt_i32_e32 vcc_lo, v2, v7
	v_cndmask_b32_e64 v7, 0, 1, vcc_lo
	s_delay_alu instid0(VALU_DEP_3) | instskip(SKIP_3) | instid1(VALU_DEP_4)
	v_add_co_u32 v11, vcc_lo, v11, v13
	v_add_co_ci_u32_e32 v12, vcc_lo, 0, v12, vcc_lo
	v_cmp_gt_i32_e32 vcc_lo, v2, v8
	v_cndmask_b32_e64 v8, 0, 1, vcc_lo
	v_add_co_u32 v7, vcc_lo, v11, v7
	s_delay_alu instid0(VALU_DEP_4) | instskip(SKIP_2) | instid1(VALU_DEP_4)
	v_add_co_ci_u32_e32 v11, vcc_lo, 0, v12, vcc_lo
	v_cmp_gt_i32_e32 vcc_lo, v2, v9
	v_cndmask_b32_e64 v9, 0, 1, vcc_lo
	v_add_co_u32 v7, vcc_lo, v7, v8
	s_delay_alu instid0(VALU_DEP_4) | instskip(SKIP_2) | instid1(VALU_DEP_4)
	v_add_co_ci_u32_e32 v8, vcc_lo, 0, v11, vcc_lo
	v_cmp_gt_i32_e32 vcc_lo, v2, v10
	v_cndmask_b32_e64 v10, 0, 1, vcc_lo
	v_add_co_u32 v7, vcc_lo, v7, v9
	s_delay_alu instid0(VALU_DEP_4)
	v_add_co_ci_u32_e32 v8, vcc_lo, 0, v8, vcc_lo
	s_waitcnt lgkmcnt(0)
	v_cmp_gt_i32_e32 vcc_lo, v2, v3
	v_cndmask_b32_e64 v3, 0, 1, vcc_lo
	v_add_co_u32 v7, vcc_lo, v7, v10
	v_add_co_ci_u32_e32 v8, vcc_lo, 0, v8, vcc_lo
	v_cmp_gt_i32_e32 vcc_lo, v2, v4
	v_cndmask_b32_e64 v4, 0, 1, vcc_lo
	s_delay_alu instid0(VALU_DEP_4) | instskip(NEXT) | instid1(VALU_DEP_4)
	v_add_co_u32 v3, vcc_lo, v7, v3
	v_add_co_ci_u32_e32 v7, vcc_lo, 0, v8, vcc_lo
	v_cmp_gt_i32_e32 vcc_lo, v2, v5
	v_cndmask_b32_e64 v5, 0, 1, vcc_lo
	s_delay_alu instid0(VALU_DEP_4) | instskip(NEXT) | instid1(VALU_DEP_4)
	v_add_co_u32 v3, vcc_lo, v3, v4
	v_add_co_ci_u32_e32 v4, vcc_lo, 0, v7, vcc_lo
	v_cmp_gt_i32_e32 vcc_lo, v2, v6
	v_add_nc_u32_e32 v2, s26, v2
	v_cndmask_b32_e64 v6, 0, 1, vcc_lo
	v_add_co_u32 v3, vcc_lo, v3, v5
	v_add_co_ci_u32_e32 v4, vcc_lo, 0, v4, vcc_lo
	s_delay_alu instid0(VALU_DEP_2) | instskip(NEXT) | instid1(VALU_DEP_2)
	v_add_co_u32 v7, vcc_lo, v3, v6
	v_add_co_ci_u32_e32 v8, vcc_lo, 0, v4, vcc_lo
	ds_load_2addr_b64 v[3:6], v30 offset1:1
	v_lshlrev_b64 v[9:10], 2, v[7:8]
	v_lshlrev_b64 v[7:8], 4, v[7:8]
	s_delay_alu instid0(VALU_DEP_2) | instskip(NEXT) | instid1(VALU_DEP_3)
	v_add_co_u32 v9, vcc_lo, s28, v9
	v_add_co_ci_u32_e32 v10, vcc_lo, s29, v10, vcc_lo
	s_delay_alu instid0(VALU_DEP_3) | instskip(NEXT) | instid1(VALU_DEP_4)
	v_add_co_u32 v7, vcc_lo, s30, v7
	v_add_co_ci_u32_e32 v8, vcc_lo, s31, v8, vcc_lo
	global_store_b32 v[9:10], v2, off
	s_waitcnt lgkmcnt(0)
	global_store_b128 v[7:8], v[3:6], off
	s_branch .LBB240_43
.LBB240_46:                             ;   in Loop: Header=BB240_47 Depth=1
	s_or_b32 exec_lo, exec_lo, s3
	v_add_co_u32 v2, vcc_lo, v2, 16
	v_add_co_ci_u32_e32 v3, vcc_lo, 0, v3, vcc_lo
	s_delay_alu instid0(VALU_DEP_1) | instskip(SKIP_1) | instid1(SALU_CYCLE_1)
	v_cmp_ge_i64_e32 vcc_lo, v[2:3], v[0:1]
	s_or_b32 s2, vcc_lo, s2
	s_and_not1_b32 exec_lo, exec_lo, s2
	s_cbranch_execz .LBB240_41
.LBB240_47:                             ; =>This Loop Header: Depth=1
                                        ;     Child Loop BB240_49 Depth 2
                                        ;       Child Loop BB240_55 Depth 3
                                        ;       Child Loop BB240_57 Depth 3
	;; [unrolled: 1-line block ×4, first 2 shown]
	v_lshlrev_b64 v[10:11], 4, v[2:3]
	s_mov_b32 s3, 0
	s_delay_alu instid0(VALU_DEP_1) | instskip(NEXT) | instid1(VALU_DEP_2)
	v_add_co_u32 v10, vcc_lo, s8, v10
	v_add_co_ci_u32_e32 v11, vcc_lo, s9, v11, vcc_lo
	global_load_b128 v[12:15], v[10:11], off
	v_lshlrev_b64 v[10:11], 2, v[2:3]
	s_delay_alu instid0(VALU_DEP_1) | instskip(NEXT) | instid1(VALU_DEP_2)
	v_add_co_u32 v10, vcc_lo, s6, v10
	v_add_co_ci_u32_e32 v11, vcc_lo, s7, v11, vcc_lo
	global_load_b32 v16, v[10:11], off
	s_waitcnt vmcnt(1)
	v_mul_f64 v[10:11], v[14:15], -v[4:5]
	v_mul_f64 v[14:15], v[6:7], v[14:15]
	s_waitcnt vmcnt(0)
	v_subrev_nc_u32_e32 v16, s27, v16
	s_delay_alu instid0(VALU_DEP_3) | instskip(NEXT) | instid1(VALU_DEP_3)
	v_fma_f64 v[10:11], v[6:7], v[12:13], v[10:11]
	v_fma_f64 v[12:13], v[4:5], v[12:13], v[14:15]
	s_delay_alu instid0(VALU_DEP_3) | instskip(NEXT) | instid1(VALU_DEP_1)
	v_lshl_add_u32 v14, v16, 3, v16
	v_and_b32_e32 v17, 31, v14
	s_branch .LBB240_49
.LBB240_48:                             ;   in Loop: Header=BB240_49 Depth=2
	s_or_b32 exec_lo, exec_lo, s4
	s_xor_b32 s4, s5, -1
	s_delay_alu instid0(SALU_CYCLE_1) | instskip(NEXT) | instid1(SALU_CYCLE_1)
	s_and_b32 s4, exec_lo, s4
	s_or_b32 s3, s4, s3
	s_delay_alu instid0(SALU_CYCLE_1)
	s_and_not1_b32 exec_lo, exec_lo, s3
	s_cbranch_execz .LBB240_46
.LBB240_49:                             ;   Parent Loop BB240_47 Depth=1
                                        ; =>  This Loop Header: Depth=2
                                        ;       Child Loop BB240_55 Depth 3
                                        ;       Child Loop BB240_57 Depth 3
	;; [unrolled: 1-line block ×4, first 2 shown]
	s_delay_alu instid0(VALU_DEP_1)
	v_lshl_add_u32 v14, v17, 2, v31
	s_mov_b32 s4, exec_lo
                                        ; implicit-def: $sgpr5
	ds_load_b32 v15, v14
	s_waitcnt lgkmcnt(0)
	v_cmpx_ne_u32_e64 v15, v16
	s_xor_b32 s4, exec_lo, s4
	s_cbranch_execz .LBB240_61
; %bb.50:                               ;   in Loop: Header=BB240_49 Depth=2
	s_mov_b32 s12, exec_lo
                                        ; implicit-def: $sgpr5
	v_cmpx_ne_u32_e64 s1, v15
	s_xor_b32 s12, exec_lo, s12
; %bb.51:                               ;   in Loop: Header=BB240_49 Depth=2
	v_add_nc_u32_e32 v14, 1, v17
	s_mov_b32 s5, -1
	s_delay_alu instid0(VALU_DEP_1)
	v_and_b32_e32 v17, 31, v14
                                        ; implicit-def: $vgpr14
; %bb.52:                               ;   in Loop: Header=BB240_49 Depth=2
	s_and_not1_saveexec_b32 s12, s12
	s_cbranch_execz .LBB240_60
; %bb.53:                               ;   in Loop: Header=BB240_49 Depth=2
	v_mov_b32_e32 v15, s1
	s_mov_b32 s14, -1
	s_mov_b32 s13, exec_lo
	ds_cmpstore_rtn_b32 v14, v14, v16, v15
	s_waitcnt lgkmcnt(0)
	v_cmpx_eq_u32_e64 s1, v14
	s_cbranch_execz .LBB240_59
; %bb.54:                               ;   in Loop: Header=BB240_49 Depth=2
	v_lshl_add_u32 v18, v17, 4, v32
	s_mov_b32 s14, 0
	ds_load_b64 v[14:15], v18
.LBB240_55:                             ;   Parent Loop BB240_47 Depth=1
                                        ;     Parent Loop BB240_49 Depth=2
                                        ; =>    This Inner Loop Header: Depth=3
	s_waitcnt lgkmcnt(0)
	v_add_f64 v[19:20], v[14:15], v[10:11]
	ds_cmpstore_rtn_b64 v[19:20], v18, v[19:20], v[14:15]
	s_waitcnt lgkmcnt(0)
	v_cmp_eq_u64_e32 vcc_lo, v[19:20], v[14:15]
	v_dual_mov_b32 v14, v19 :: v_dual_mov_b32 v15, v20
	s_or_b32 s14, vcc_lo, s14
	s_delay_alu instid0(SALU_CYCLE_1)
	s_and_not1_b32 exec_lo, exec_lo, s14
	s_cbranch_execnz .LBB240_55
; %bb.56:                               ;   in Loop: Header=BB240_49 Depth=2
	s_or_b32 exec_lo, exec_lo, s14
	ds_load_b64 v[14:15], v18 offset:8
	s_mov_b32 s14, 0
.LBB240_57:                             ;   Parent Loop BB240_47 Depth=1
                                        ;     Parent Loop BB240_49 Depth=2
                                        ; =>    This Inner Loop Header: Depth=3
	s_waitcnt lgkmcnt(0)
	v_add_f64 v[19:20], v[14:15], v[12:13]
	ds_cmpstore_rtn_b64 v[19:20], v18, v[19:20], v[14:15] offset:8
	s_waitcnt lgkmcnt(0)
	v_cmp_eq_u64_e32 vcc_lo, v[19:20], v[14:15]
	v_dual_mov_b32 v14, v19 :: v_dual_mov_b32 v15, v20
	s_or_b32 s14, vcc_lo, s14
	s_delay_alu instid0(SALU_CYCLE_1)
	s_and_not1_b32 exec_lo, exec_lo, s14
	s_cbranch_execnz .LBB240_57
; %bb.58:                               ;   in Loop: Header=BB240_49 Depth=2
	s_or_b32 exec_lo, exec_lo, s14
	s_delay_alu instid0(SALU_CYCLE_1)
	s_xor_b32 s14, exec_lo, -1
.LBB240_59:                             ;   in Loop: Header=BB240_49 Depth=2
	s_or_b32 exec_lo, exec_lo, s13
	s_delay_alu instid0(SALU_CYCLE_1) | instskip(SKIP_1) | instid1(SALU_CYCLE_1)
	s_and_not1_b32 s5, s5, exec_lo
	s_and_b32 s13, s14, exec_lo
	s_or_b32 s5, s5, s13
.LBB240_60:                             ;   in Loop: Header=BB240_49 Depth=2
	s_or_b32 exec_lo, exec_lo, s12
	s_delay_alu instid0(SALU_CYCLE_1)
	s_and_b32 s5, s5, exec_lo
.LBB240_61:                             ;   in Loop: Header=BB240_49 Depth=2
	s_and_not1_saveexec_b32 s4, s4
	s_cbranch_execz .LBB240_48
; %bb.62:                               ;   in Loop: Header=BB240_49 Depth=2
	v_lshl_add_u32 v18, v17, 4, v32
	s_mov_b32 s12, 0
	ds_load_b64 v[14:15], v18
.LBB240_63:                             ;   Parent Loop BB240_47 Depth=1
                                        ;     Parent Loop BB240_49 Depth=2
                                        ; =>    This Inner Loop Header: Depth=3
	s_waitcnt lgkmcnt(0)
	v_add_f64 v[19:20], v[14:15], v[10:11]
	ds_cmpstore_rtn_b64 v[19:20], v18, v[19:20], v[14:15]
	s_waitcnt lgkmcnt(0)
	v_cmp_eq_u64_e32 vcc_lo, v[19:20], v[14:15]
	v_dual_mov_b32 v14, v19 :: v_dual_mov_b32 v15, v20
	s_or_b32 s12, vcc_lo, s12
	s_delay_alu instid0(SALU_CYCLE_1)
	s_and_not1_b32 exec_lo, exec_lo, s12
	s_cbranch_execnz .LBB240_63
; %bb.64:                               ;   in Loop: Header=BB240_49 Depth=2
	s_or_b32 exec_lo, exec_lo, s12
	ds_load_b64 v[14:15], v18 offset:8
	s_mov_b32 s12, 0
.LBB240_65:                             ;   Parent Loop BB240_47 Depth=1
                                        ;     Parent Loop BB240_49 Depth=2
                                        ; =>    This Inner Loop Header: Depth=3
	s_waitcnt lgkmcnt(0)
	v_add_f64 v[19:20], v[14:15], v[12:13]
	ds_cmpstore_rtn_b64 v[19:20], v18, v[19:20], v[14:15] offset:8
	s_waitcnt lgkmcnt(0)
	v_cmp_eq_u64_e32 vcc_lo, v[19:20], v[14:15]
	v_dual_mov_b32 v14, v19 :: v_dual_mov_b32 v15, v20
	s_or_b32 s12, vcc_lo, s12
	s_delay_alu instid0(SALU_CYCLE_1)
	s_and_not1_b32 exec_lo, exec_lo, s12
	s_cbranch_execnz .LBB240_65
; %bb.66:                               ;   in Loop: Header=BB240_49 Depth=2
	s_or_b32 exec_lo, exec_lo, s12
	s_delay_alu instid0(SALU_CYCLE_1)
	s_and_not1_b32 s5, s5, exec_lo
	s_branch .LBB240_48
.LBB240_67:
	s_nop 0
	s_sendmsg sendmsg(MSG_DEALLOC_VGPRS)
	s_endpgm
	.section	.rodata,"a",@progbits
	.p2align	6, 0x0
	.amdhsa_kernel _ZN9rocsparseL23csrgemm_fill_wf_per_rowILj256ELj16ELj32ELj137Eli21rocsparse_complex_numIdEEEvT4_S3_PKS3_S5_NS_24const_host_device_scalarIT5_EEPKT3_S5_PKS7_SB_S5_SD_S8_SB_S5_SD_SB_PS3_PS7_21rocsparse_index_base_SG_SG_SG_bbb
		.amdhsa_group_segment_fixed_size 14336
		.amdhsa_private_segment_fixed_size 0
		.amdhsa_kernarg_size 172
		.amdhsa_user_sgpr_count 15
		.amdhsa_user_sgpr_dispatch_ptr 1
		.amdhsa_user_sgpr_queue_ptr 0
		.amdhsa_user_sgpr_kernarg_segment_ptr 1
		.amdhsa_user_sgpr_dispatch_id 0
		.amdhsa_user_sgpr_private_segment_size 0
		.amdhsa_wavefront_size32 1
		.amdhsa_uses_dynamic_stack 0
		.amdhsa_enable_private_segment 0
		.amdhsa_system_sgpr_workgroup_id_x 1
		.amdhsa_system_sgpr_workgroup_id_y 0
		.amdhsa_system_sgpr_workgroup_id_z 0
		.amdhsa_system_sgpr_workgroup_info 0
		.amdhsa_system_vgpr_workitem_id 2
		.amdhsa_next_free_vgpr 39
		.amdhsa_next_free_sgpr 48
		.amdhsa_reserve_vcc 1
		.amdhsa_float_round_mode_32 0
		.amdhsa_float_round_mode_16_64 0
		.amdhsa_float_denorm_mode_32 3
		.amdhsa_float_denorm_mode_16_64 3
		.amdhsa_dx10_clamp 1
		.amdhsa_ieee_mode 1
		.amdhsa_fp16_overflow 0
		.amdhsa_workgroup_processor_mode 1
		.amdhsa_memory_ordered 1
		.amdhsa_forward_progress 0
		.amdhsa_shared_vgpr_count 0
		.amdhsa_exception_fp_ieee_invalid_op 0
		.amdhsa_exception_fp_denorm_src 0
		.amdhsa_exception_fp_ieee_div_zero 0
		.amdhsa_exception_fp_ieee_overflow 0
		.amdhsa_exception_fp_ieee_underflow 0
		.amdhsa_exception_fp_ieee_inexact 0
		.amdhsa_exception_int_div_zero 0
	.end_amdhsa_kernel
	.section	.text._ZN9rocsparseL23csrgemm_fill_wf_per_rowILj256ELj16ELj32ELj137Eli21rocsparse_complex_numIdEEEvT4_S3_PKS3_S5_NS_24const_host_device_scalarIT5_EEPKT3_S5_PKS7_SB_S5_SD_S8_SB_S5_SD_SB_PS3_PS7_21rocsparse_index_base_SG_SG_SG_bbb,"axG",@progbits,_ZN9rocsparseL23csrgemm_fill_wf_per_rowILj256ELj16ELj32ELj137Eli21rocsparse_complex_numIdEEEvT4_S3_PKS3_S5_NS_24const_host_device_scalarIT5_EEPKT3_S5_PKS7_SB_S5_SD_S8_SB_S5_SD_SB_PS3_PS7_21rocsparse_index_base_SG_SG_SG_bbb,comdat
.Lfunc_end240:
	.size	_ZN9rocsparseL23csrgemm_fill_wf_per_rowILj256ELj16ELj32ELj137Eli21rocsparse_complex_numIdEEEvT4_S3_PKS3_S5_NS_24const_host_device_scalarIT5_EEPKT3_S5_PKS7_SB_S5_SD_S8_SB_S5_SD_SB_PS3_PS7_21rocsparse_index_base_SG_SG_SG_bbb, .Lfunc_end240-_ZN9rocsparseL23csrgemm_fill_wf_per_rowILj256ELj16ELj32ELj137Eli21rocsparse_complex_numIdEEEvT4_S3_PKS3_S5_NS_24const_host_device_scalarIT5_EEPKT3_S5_PKS7_SB_S5_SD_S8_SB_S5_SD_SB_PS3_PS7_21rocsparse_index_base_SG_SG_SG_bbb
                                        ; -- End function
	.section	.AMDGPU.csdata,"",@progbits
; Kernel info:
; codeLenInByte = 3768
; NumSgprs: 50
; NumVgprs: 39
; ScratchSize: 0
; MemoryBound: 0
; FloatMode: 240
; IeeeMode: 1
; LDSByteSize: 14336 bytes/workgroup (compile time only)
; SGPRBlocks: 6
; VGPRBlocks: 4
; NumSGPRsForWavesPerEU: 50
; NumVGPRsForWavesPerEU: 39
; Occupancy: 16
; WaveLimiterHint : 1
; COMPUTE_PGM_RSRC2:SCRATCH_EN: 0
; COMPUTE_PGM_RSRC2:USER_SGPR: 15
; COMPUTE_PGM_RSRC2:TRAP_HANDLER: 0
; COMPUTE_PGM_RSRC2:TGID_X_EN: 1
; COMPUTE_PGM_RSRC2:TGID_Y_EN: 0
; COMPUTE_PGM_RSRC2:TGID_Z_EN: 0
; COMPUTE_PGM_RSRC2:TIDIG_COMP_CNT: 2
	.section	.text._ZN9rocsparseL26csrgemm_fill_block_per_rowILj128ELj16ELj256ELj137ELj32Eli21rocsparse_complex_numIdEEEvT5_PKS3_S5_NS_24const_host_device_scalarIT6_EEPKT4_S5_PKS7_SB_S5_SD_S8_SB_S5_SD_SB_PS3_PS7_21rocsparse_index_base_SG_SG_SG_bbb,"axG",@progbits,_ZN9rocsparseL26csrgemm_fill_block_per_rowILj128ELj16ELj256ELj137ELj32Eli21rocsparse_complex_numIdEEEvT5_PKS3_S5_NS_24const_host_device_scalarIT6_EEPKT4_S5_PKS7_SB_S5_SD_S8_SB_S5_SD_SB_PS3_PS7_21rocsparse_index_base_SG_SG_SG_bbb,comdat
	.globl	_ZN9rocsparseL26csrgemm_fill_block_per_rowILj128ELj16ELj256ELj137ELj32Eli21rocsparse_complex_numIdEEEvT5_PKS3_S5_NS_24const_host_device_scalarIT6_EEPKT4_S5_PKS7_SB_S5_SD_S8_SB_S5_SD_SB_PS3_PS7_21rocsparse_index_base_SG_SG_SG_bbb ; -- Begin function _ZN9rocsparseL26csrgemm_fill_block_per_rowILj128ELj16ELj256ELj137ELj32Eli21rocsparse_complex_numIdEEEvT5_PKS3_S5_NS_24const_host_device_scalarIT6_EEPKT4_S5_PKS7_SB_S5_SD_S8_SB_S5_SD_SB_PS3_PS7_21rocsparse_index_base_SG_SG_SG_bbb
	.p2align	8
	.type	_ZN9rocsparseL26csrgemm_fill_block_per_rowILj128ELj16ELj256ELj137ELj32Eli21rocsparse_complex_numIdEEEvT5_PKS3_S5_NS_24const_host_device_scalarIT6_EEPKT4_S5_PKS7_SB_S5_SD_S8_SB_S5_SD_SB_PS3_PS7_21rocsparse_index_base_SG_SG_SG_bbb,@function
_ZN9rocsparseL26csrgemm_fill_block_per_rowILj128ELj16ELj256ELj137ELj32Eli21rocsparse_complex_numIdEEEvT5_PKS3_S5_NS_24const_host_device_scalarIT6_EEPKT4_S5_PKS7_SB_S5_SD_S8_SB_S5_SD_SB_PS3_PS7_21rocsparse_index_base_SG_SG_SG_bbb: ; @_ZN9rocsparseL26csrgemm_fill_block_per_rowILj128ELj16ELj256ELj137ELj32Eli21rocsparse_complex_numIdEEEvT5_PKS3_S5_NS_24const_host_device_scalarIT6_EEPKT4_S5_PKS7_SB_S5_SD_S8_SB_S5_SD_SB_PS3_PS7_21rocsparse_index_base_SG_SG_SG_bbb
; %bb.0:
	s_clause 0x2
	s_load_b32 s12, s[0:1], 0xa8
	s_load_b128 s[8:11], s[0:1], 0x18
	s_load_b128 s[4:7], s[0:1], 0x58
	v_mov_b32_e32 v1, 0
	v_mov_b32_e32 v2, 0
	s_waitcnt lgkmcnt(0)
	s_bitcmp1_b32 s12, 0
	v_mov_b32_e32 v3, s8
	s_cselect_b32 s13, -1, 0
	s_bitcmp1_b32 s12, 16
	v_dual_mov_b32 v6, v2 :: v_dual_mov_b32 v5, v1
	s_cselect_b32 s2, -1, 0
	v_mov_b32_e32 v4, s9
	s_xor_b32 s3, s2, -1
	v_dual_mov_b32 v10, s5 :: v_dual_mov_b32 v9, s4
	v_cndmask_b32_e64 v7, 0, 1, s3
	s_bitcmp0_b32 s12, 0
	s_clause 0x1
	scratch_store_b64 off, v[3:4], off offset:16
	scratch_store_b64 off, v[9:10], off offset:24
	v_cmp_ne_u32_e32 vcc_lo, 1, v7
	v_dual_mov_b32 v8, v2 :: v_dual_mov_b32 v7, v1
	s_cbranch_scc1 .LBB241_3
; %bb.1:
	s_mov_b64 s[16:17], src_private_base
	s_and_b32 s14, s2, exec_lo
	s_cselect_b32 s14, s17, s9
	s_delay_alu instid0(SALU_CYCLE_1) | instskip(SKIP_2) | instid1(VALU_DEP_2)
	v_dual_mov_b32 v3, 16 :: v_dual_mov_b32 v4, s14
	v_dual_mov_b32 v7, s10 :: v_dual_mov_b32 v8, s11
	s_and_b32 vcc_lo, exec_lo, vcc_lo
	v_cndmask_b32_e64 v3, s8, v3, s2
	flat_load_b64 v[5:6], v[3:4]
	s_cbranch_vccnz .LBB241_3
; %bb.2:
	v_dual_mov_b32 v3, s8 :: v_dual_mov_b32 v4, s9
	flat_load_b64 v[7:8], v[3:4] offset:8
.LBB241_3:
	s_load_b128 s[24:27], s[0:1], 0x98
	s_bitcmp1_b32 s12, 8
	v_dual_mov_b32 v4, v2 :: v_dual_mov_b32 v3, v1
	s_cselect_b32 s33, -1, 0
	s_bfe_u32 s8, s12, 0x10008
	s_delay_alu instid0(SALU_CYCLE_1)
	s_cmp_eq_u32 s8, 0
	s_cbranch_scc1 .LBB241_6
; %bb.4:
	s_mov_b64 s[8:9], src_private_base
	s_and_b32 s8, s2, exec_lo
	s_cselect_b32 s8, s9, s5
	s_delay_alu instid0(SALU_CYCLE_1) | instskip(SKIP_1) | instid1(VALU_DEP_1)
	v_dual_mov_b32 v1, 24 :: v_dual_mov_b32 v2, s8
	s_and_not1_b32 vcc_lo, exec_lo, s3
	v_cndmask_b32_e64 v1, s4, v1, s2
	flat_load_b64 v[3:4], v[1:2]
	v_dual_mov_b32 v1, s6 :: v_dual_mov_b32 v2, s7
	s_cbranch_vccnz .LBB241_6
; %bb.5:
	v_dual_mov_b32 v1, s4 :: v_dual_mov_b32 v2, s5
	flat_load_b64 v[1:2], v[1:2] offset:8
.LBB241_6:
	s_clause 0x5
	s_load_b128 s[28:31], s[0:1], 0x88
	s_load_b256 s[4:11], s[0:1], 0x68
	s_load_b128 s[36:39], s[0:1], 0x48
	s_load_b256 s[16:23], s[0:1], 0x28
	s_load_b128 s[40:43], s[0:1], 0x8
	s_load_b32 s14, s[0:1], 0x0
	v_cmp_gt_u32_e64 s0, 0x100, v0
	v_lshlrev_b32_e32 v27, 4, v0
	v_or_b32_e32 v25, 0xffffff80, v0
	v_lshl_add_u32 v26, v0, 2, 0
	s_delay_alu instid0(VALU_DEP_4)
	s_and_saveexec_b32 s1, s0
	s_cbranch_execz .LBB241_9
; %bb.7:
	s_mov_b32 s2, 0
	v_add3_u32 v13, v27, 0, 0x400
	s_mov_b32 s3, s2
	s_mov_b32 s34, s2
	;; [unrolled: 1-line block ×3, first 2 shown]
	v_dual_mov_b32 v10, s3 :: v_dual_mov_b32 v11, s34
	v_or_b32_e32 v14, 0xffffff80, v0
	v_lshl_add_u32 v15, v0, 2, 0
	s_waitcnt lgkmcnt(0)
	v_dual_mov_b32 v16, s14 :: v_dual_mov_b32 v9, s2
	v_mov_b32_e32 v12, s35
.LBB241_8:                              ; =>This Inner Loop Header: Depth=1
	v_add_co_u32 v14, s3, 0x80, v14
	s_delay_alu instid0(VALU_DEP_1)
	s_xor_b32 s3, s3, -1
	ds_store_b32 v15, v16
	ds_store_2addr_b64 v13, v[9:10], v[11:12] offset1:1
	v_add_nc_u32_e32 v13, 0x800, v13
	v_add_nc_u32_e32 v15, 0x200, v15
	s_and_b32 s3, exec_lo, s3
	s_delay_alu instid0(SALU_CYCLE_1) | instskip(NEXT) | instid1(SALU_CYCLE_1)
	s_or_b32 s2, s3, s2
	s_and_not1_b32 exec_lo, exec_lo, s2
	s_cbranch_execnz .LBB241_8
.LBB241_9:
	s_or_b32 exec_lo, exec_lo, s1
	s_waitcnt vmcnt(0) lgkmcnt(0)
	s_waitcnt_vscnt null, 0x0
	s_barrier
	buffer_gl0_inv
	s_load_b32 s1, s[40:41], 0x0
	s_mov_b32 s3, 0
	s_waitcnt lgkmcnt(0)
	s_add_i32 s2, s1, s15
	s_delay_alu instid0(SALU_CYCLE_1) | instskip(NEXT) | instid1(SALU_CYCLE_1)
	s_lshl_b64 s[2:3], s[2:3], 2
	s_add_u32 s2, s42, s2
	s_addc_u32 s3, s43, s3
	s_and_b32 vcc_lo, exec_lo, s13
	s_load_b32 s12, s[2:3], 0x0
	s_cbranch_vccz .LBB241_37
; %bb.10:
	s_waitcnt lgkmcnt(0)
	s_ashr_i32 s13, s12, 31
	v_lshrrev_b32_e32 v9, 4, v0
	s_lshl_b64 s[2:3], s[12:13], 3
	s_delay_alu instid0(SALU_CYCLE_1) | instskip(SKIP_1) | instid1(VALU_DEP_1)
	s_add_u32 s2, s16, s2
	s_addc_u32 s3, s17, s3
	v_sub_co_u32 v9, s1, v9, s24
	s_load_b128 s[40:43], s[2:3], 0x0
	v_sub_co_ci_u32_e64 v10, null, 0, 0, s1
	s_mov_b32 s1, exec_lo
	s_waitcnt lgkmcnt(0)
	v_add_co_u32 v9, vcc_lo, s40, v9
	s_delay_alu instid0(VALU_DEP_2)
	v_add_co_ci_u32_e32 v10, vcc_lo, s41, v10, vcc_lo
	s_sub_u32 s2, s42, s24
	s_subb_u32 s3, s43, 0
	s_delay_alu instid0(VALU_DEP_1) | instid1(SALU_CYCLE_1)
	v_cmpx_gt_i64_e64 s[2:3], v[9:10]
	s_cbranch_execz .LBB241_36
; %bb.11:
	v_and_b32_e32 v11, 15, v0
	s_mov_b32 s15, s25
	s_delay_alu instid0(VALU_DEP_1) | instskip(NEXT) | instid1(VALU_DEP_1)
	v_sub_co_u32 v28, s13, v11, s25
	v_sub_co_ci_u32_e64 v29, null, 0, 0, s13
	s_mov_b32 s13, 0
	s_branch .LBB241_13
.LBB241_12:                             ;   in Loop: Header=BB241_13 Depth=1
	s_or_b32 exec_lo, exec_lo, s16
	v_add_co_u32 v9, vcc_lo, v9, 8
	v_add_co_ci_u32_e32 v10, vcc_lo, 0, v10, vcc_lo
	s_delay_alu instid0(VALU_DEP_1) | instskip(SKIP_1) | instid1(SALU_CYCLE_1)
	v_cmp_le_i64_e32 vcc_lo, s[2:3], v[9:10]
	s_or_b32 s13, vcc_lo, s13
	s_and_not1_b32 exec_lo, exec_lo, s13
	s_cbranch_execz .LBB241_36
.LBB241_13:                             ; =>This Loop Header: Depth=1
                                        ;     Child Loop BB241_16 Depth 2
                                        ;       Child Loop BB241_18 Depth 3
                                        ;         Child Loop BB241_24 Depth 4
                                        ;         Child Loop BB241_26 Depth 4
	;; [unrolled: 1-line block ×4, first 2 shown]
	v_lshlrev_b64 v[11:12], 2, v[9:10]
	s_mov_b32 s16, exec_lo
	s_delay_alu instid0(VALU_DEP_1) | instskip(NEXT) | instid1(VALU_DEP_2)
	v_add_co_u32 v11, vcc_lo, s18, v11
	v_add_co_ci_u32_e32 v12, vcc_lo, s19, v12, vcc_lo
	global_load_b32 v11, v[11:12], off
	s_waitcnt vmcnt(0)
	v_subrev_nc_u32_e32 v11, s24, v11
	s_delay_alu instid0(VALU_DEP_1) | instskip(NEXT) | instid1(VALU_DEP_1)
	v_ashrrev_i32_e32 v12, 31, v11
	v_lshlrev_b64 v[11:12], 3, v[11:12]
	s_delay_alu instid0(VALU_DEP_1) | instskip(NEXT) | instid1(VALU_DEP_2)
	v_add_co_u32 v11, vcc_lo, s22, v11
	v_add_co_ci_u32_e32 v12, vcc_lo, s23, v12, vcc_lo
	global_load_b128 v[13:16], v[11:12], off
	s_waitcnt vmcnt(0)
	v_sub_co_u32 v11, vcc_lo, v15, s15
	v_subrev_co_ci_u32_e32 v12, vcc_lo, 0, v16, vcc_lo
	v_add_co_u32 v13, vcc_lo, v13, v28
	v_add_co_ci_u32_e32 v14, vcc_lo, v14, v29, vcc_lo
	s_delay_alu instid0(VALU_DEP_1)
	v_cmpx_lt_i64_e64 v[13:14], v[11:12]
	s_cbranch_execz .LBB241_12
; %bb.14:                               ;   in Loop: Header=BB241_13 Depth=1
	v_lshlrev_b64 v[15:16], 4, v[9:10]
	s_mov_b32 s17, 0
	s_delay_alu instid0(VALU_DEP_1) | instskip(NEXT) | instid1(VALU_DEP_2)
	v_add_co_u32 v15, vcc_lo, s20, v15
	v_add_co_ci_u32_e32 v16, vcc_lo, s21, v16, vcc_lo
	global_load_b128 v[17:20], v[15:16], off
	s_waitcnt vmcnt(0)
	v_mul_f64 v[15:16], v[19:20], -v[7:8]
	v_mul_f64 v[19:20], v[5:6], v[19:20]
	s_delay_alu instid0(VALU_DEP_2) | instskip(NEXT) | instid1(VALU_DEP_2)
	v_fma_f64 v[15:16], v[5:6], v[17:18], v[15:16]
	v_fma_f64 v[17:18], v[7:8], v[17:18], v[19:20]
	s_branch .LBB241_16
.LBB241_15:                             ;   in Loop: Header=BB241_16 Depth=2
	s_or_b32 exec_lo, exec_lo, s34
	v_add_co_u32 v13, vcc_lo, v13, 16
	v_add_co_ci_u32_e32 v14, vcc_lo, 0, v14, vcc_lo
	s_delay_alu instid0(VALU_DEP_1) | instskip(SKIP_1) | instid1(SALU_CYCLE_1)
	v_cmp_ge_i64_e32 vcc_lo, v[13:14], v[11:12]
	s_or_b32 s17, vcc_lo, s17
	s_and_not1_b32 exec_lo, exec_lo, s17
	s_cbranch_execz .LBB241_12
.LBB241_16:                             ;   Parent Loop BB241_13 Depth=1
                                        ; =>  This Loop Header: Depth=2
                                        ;       Child Loop BB241_18 Depth 3
                                        ;         Child Loop BB241_24 Depth 4
                                        ;         Child Loop BB241_26 Depth 4
	;; [unrolled: 1-line block ×4, first 2 shown]
	v_lshlrev_b64 v[19:20], 4, v[13:14]
	s_mov_b32 s34, 0
	s_delay_alu instid0(VALU_DEP_1) | instskip(NEXT) | instid1(VALU_DEP_2)
	v_add_co_u32 v19, vcc_lo, s38, v19
	v_add_co_ci_u32_e32 v20, vcc_lo, s39, v20, vcc_lo
	global_load_b128 v[21:24], v[19:20], off
	v_lshlrev_b64 v[19:20], 2, v[13:14]
	s_delay_alu instid0(VALU_DEP_1) | instskip(NEXT) | instid1(VALU_DEP_2)
	v_add_co_u32 v19, vcc_lo, s36, v19
	v_add_co_ci_u32_e32 v20, vcc_lo, s37, v20, vcc_lo
	global_load_b32 v30, v[19:20], off
	s_waitcnt vmcnt(1)
	v_mul_f64 v[19:20], v[23:24], -v[17:18]
	v_mul_f64 v[23:24], v[15:16], v[23:24]
	s_waitcnt vmcnt(0)
	v_subrev_nc_u32_e32 v30, s25, v30
	s_delay_alu instid0(VALU_DEP_3) | instskip(NEXT) | instid1(VALU_DEP_3)
	v_fma_f64 v[19:20], v[15:16], v[21:22], v[19:20]
	v_fma_f64 v[21:22], v[17:18], v[21:22], v[23:24]
	s_delay_alu instid0(VALU_DEP_3) | instskip(NEXT) | instid1(VALU_DEP_1)
	v_mul_lo_u32 v23, 0x89, v30
	v_and_b32_e32 v31, 0xff, v23
	s_branch .LBB241_18
.LBB241_17:                             ;   in Loop: Header=BB241_18 Depth=3
	s_or_b32 exec_lo, exec_lo, s35
	s_xor_b32 s35, s40, -1
	s_delay_alu instid0(SALU_CYCLE_1) | instskip(NEXT) | instid1(SALU_CYCLE_1)
	s_and_b32 s35, exec_lo, s35
	s_or_b32 s34, s35, s34
	s_delay_alu instid0(SALU_CYCLE_1)
	s_and_not1_b32 exec_lo, exec_lo, s34
	s_cbranch_execz .LBB241_15
.LBB241_18:                             ;   Parent Loop BB241_13 Depth=1
                                        ;     Parent Loop BB241_16 Depth=2
                                        ; =>    This Loop Header: Depth=3
                                        ;         Child Loop BB241_24 Depth 4
                                        ;         Child Loop BB241_26 Depth 4
                                        ;         Child Loop BB241_32 Depth 4
                                        ;         Child Loop BB241_34 Depth 4
	s_delay_alu instid0(VALU_DEP_1)
	v_lshl_add_u32 v23, v31, 2, 0
	s_mov_b32 s35, exec_lo
                                        ; implicit-def: $sgpr40
	ds_load_b32 v24, v23
	s_waitcnt lgkmcnt(0)
	v_cmpx_ne_u32_e64 v24, v30
	s_xor_b32 s35, exec_lo, s35
	s_cbranch_execz .LBB241_30
; %bb.19:                               ;   in Loop: Header=BB241_18 Depth=3
	s_mov_b32 s41, exec_lo
                                        ; implicit-def: $sgpr40
	v_cmpx_ne_u32_e64 s14, v24
	s_xor_b32 s41, exec_lo, s41
; %bb.20:                               ;   in Loop: Header=BB241_18 Depth=3
	v_add_nc_u32_e32 v23, 1, v31
	s_mov_b32 s40, -1
	s_delay_alu instid0(VALU_DEP_1)
	v_and_b32_e32 v31, 0xff, v23
                                        ; implicit-def: $vgpr23
; %bb.21:                               ;   in Loop: Header=BB241_18 Depth=3
	s_and_not1_saveexec_b32 s41, s41
	s_cbranch_execz .LBB241_29
; %bb.22:                               ;   in Loop: Header=BB241_18 Depth=3
	v_mov_b32_e32 v24, s14
	s_mov_b32 s43, -1
	s_mov_b32 s42, exec_lo
	ds_cmpstore_rtn_b32 v24, v23, v30, v24
	s_waitcnt lgkmcnt(0)
	v_cmpx_eq_u32_e64 s14, v24
	s_cbranch_execz .LBB241_28
; %bb.23:                               ;   in Loop: Header=BB241_18 Depth=3
	v_mul_lo_u32 v24, v31, 12
	s_mov_b32 s43, 0
	s_delay_alu instid0(VALU_DEP_1)
	v_add_nc_u32_e32 v32, v23, v24
	ds_load_b64 v[23:24], v32 offset:1024
.LBB241_24:                             ;   Parent Loop BB241_13 Depth=1
                                        ;     Parent Loop BB241_16 Depth=2
                                        ;       Parent Loop BB241_18 Depth=3
                                        ; =>      This Inner Loop Header: Depth=4
	s_waitcnt lgkmcnt(0)
	v_add_f64 v[33:34], v[23:24], v[19:20]
	ds_cmpstore_rtn_b64 v[33:34], v32, v[33:34], v[23:24] offset:1024
	s_waitcnt lgkmcnt(0)
	v_cmp_eq_u64_e32 vcc_lo, v[33:34], v[23:24]
	v_dual_mov_b32 v23, v33 :: v_dual_mov_b32 v24, v34
	s_or_b32 s43, vcc_lo, s43
	s_delay_alu instid0(SALU_CYCLE_1)
	s_and_not1_b32 exec_lo, exec_lo, s43
	s_cbranch_execnz .LBB241_24
; %bb.25:                               ;   in Loop: Header=BB241_18 Depth=3
	s_or_b32 exec_lo, exec_lo, s43
	ds_load_b64 v[23:24], v32 offset:1032
	s_mov_b32 s43, 0
.LBB241_26:                             ;   Parent Loop BB241_13 Depth=1
                                        ;     Parent Loop BB241_16 Depth=2
                                        ;       Parent Loop BB241_18 Depth=3
                                        ; =>      This Inner Loop Header: Depth=4
	s_waitcnt lgkmcnt(0)
	v_add_f64 v[33:34], v[23:24], v[21:22]
	ds_cmpstore_rtn_b64 v[33:34], v32, v[33:34], v[23:24] offset:1032
	s_waitcnt lgkmcnt(0)
	v_cmp_eq_u64_e32 vcc_lo, v[33:34], v[23:24]
	v_dual_mov_b32 v23, v33 :: v_dual_mov_b32 v24, v34
	s_or_b32 s43, vcc_lo, s43
	s_delay_alu instid0(SALU_CYCLE_1)
	s_and_not1_b32 exec_lo, exec_lo, s43
	s_cbranch_execnz .LBB241_26
; %bb.27:                               ;   in Loop: Header=BB241_18 Depth=3
	s_or_b32 exec_lo, exec_lo, s43
	s_delay_alu instid0(SALU_CYCLE_1)
	s_xor_b32 s43, exec_lo, -1
.LBB241_28:                             ;   in Loop: Header=BB241_18 Depth=3
	s_or_b32 exec_lo, exec_lo, s42
	s_delay_alu instid0(SALU_CYCLE_1) | instskip(SKIP_1) | instid1(SALU_CYCLE_1)
	s_and_not1_b32 s40, s40, exec_lo
	s_and_b32 s42, s43, exec_lo
	s_or_b32 s40, s40, s42
.LBB241_29:                             ;   in Loop: Header=BB241_18 Depth=3
	s_or_b32 exec_lo, exec_lo, s41
	s_delay_alu instid0(SALU_CYCLE_1)
	s_and_b32 s40, s40, exec_lo
                                        ; implicit-def: $vgpr23
.LBB241_30:                             ;   in Loop: Header=BB241_18 Depth=3
	s_and_not1_saveexec_b32 s35, s35
	s_cbranch_execz .LBB241_17
; %bb.31:                               ;   in Loop: Header=BB241_18 Depth=3
	v_mul_lo_u32 v24, v31, 12
	s_mov_b32 s41, 0
	s_delay_alu instid0(VALU_DEP_1)
	v_add_nc_u32_e32 v32, v23, v24
	ds_load_b64 v[23:24], v32 offset:1024
.LBB241_32:                             ;   Parent Loop BB241_13 Depth=1
                                        ;     Parent Loop BB241_16 Depth=2
                                        ;       Parent Loop BB241_18 Depth=3
                                        ; =>      This Inner Loop Header: Depth=4
	s_waitcnt lgkmcnt(0)
	v_add_f64 v[33:34], v[23:24], v[19:20]
	ds_cmpstore_rtn_b64 v[33:34], v32, v[33:34], v[23:24] offset:1024
	s_waitcnt lgkmcnt(0)
	v_cmp_eq_u64_e32 vcc_lo, v[33:34], v[23:24]
	v_dual_mov_b32 v23, v33 :: v_dual_mov_b32 v24, v34
	s_or_b32 s41, vcc_lo, s41
	s_delay_alu instid0(SALU_CYCLE_1)
	s_and_not1_b32 exec_lo, exec_lo, s41
	s_cbranch_execnz .LBB241_32
; %bb.33:                               ;   in Loop: Header=BB241_18 Depth=3
	s_or_b32 exec_lo, exec_lo, s41
	ds_load_b64 v[23:24], v32 offset:1032
	s_mov_b32 s41, 0
.LBB241_34:                             ;   Parent Loop BB241_13 Depth=1
                                        ;     Parent Loop BB241_16 Depth=2
                                        ;       Parent Loop BB241_18 Depth=3
                                        ; =>      This Inner Loop Header: Depth=4
	s_waitcnt lgkmcnt(0)
	v_add_f64 v[33:34], v[23:24], v[21:22]
	ds_cmpstore_rtn_b64 v[33:34], v32, v[33:34], v[23:24] offset:1032
	s_waitcnt lgkmcnt(0)
	v_cmp_eq_u64_e32 vcc_lo, v[33:34], v[23:24]
	v_dual_mov_b32 v23, v33 :: v_dual_mov_b32 v24, v34
	s_or_b32 s41, vcc_lo, s41
	s_delay_alu instid0(SALU_CYCLE_1)
	s_and_not1_b32 exec_lo, exec_lo, s41
	s_cbranch_execnz .LBB241_34
; %bb.35:                               ;   in Loop: Header=BB241_18 Depth=3
	s_or_b32 exec_lo, exec_lo, s41
	s_delay_alu instid0(SALU_CYCLE_1)
	s_and_not1_b32 s40, s40, exec_lo
	s_branch .LBB241_17
.LBB241_36:
	s_or_b32 exec_lo, exec_lo, s1
.LBB241_37:
	s_delay_alu instid0(SALU_CYCLE_1)
	s_and_not1_b32 vcc_lo, exec_lo, s33
	s_cbranch_vccnz .LBB241_40
; %bb.38:
	s_waitcnt lgkmcnt(0)
	s_ashr_i32 s13, s12, 31
	v_sub_co_u32 v5, s1, v0, s27
	s_lshl_b64 s[2:3], s[12:13], 3
	v_sub_co_ci_u32_e64 v6, null, 0, 0, s1
	s_add_u32 s2, s4, s2
	s_addc_u32 s3, s5, s3
	s_mov_b32 s4, 0
	s_load_b128 s[16:19], s[2:3], 0x0
	s_mov_b32 s1, exec_lo
	s_waitcnt lgkmcnt(0)
	v_add_co_u32 v5, vcc_lo, s16, v5
	v_add_co_ci_u32_e32 v6, vcc_lo, s17, v6, vcc_lo
	s_sub_u32 s2, s18, s27
	s_subb_u32 s3, s19, 0
	s_delay_alu instid0(VALU_DEP_1) | instid1(SALU_CYCLE_1)
	v_cmpx_gt_i64_e64 s[2:3], v[5:6]
	s_cbranch_execnz .LBB241_54
.LBB241_39:
	s_or_b32 exec_lo, exec_lo, s1
.LBB241_40:
	s_waitcnt lgkmcnt(0)
	s_barrier
	buffer_gl0_inv
	s_and_saveexec_b32 s4, s0
	s_cbranch_execz .LBB241_74
; %bb.41:
	v_mbcnt_lo_u32_b32 v1, -1, 0
	v_lshrrev_b32_e32 v2, 3, v0
	v_cmp_eq_u32_e32 vcc_lo, 0x7f, v0
	v_cmp_lt_u32_e64 s0, 31, v0
	v_cmp_lt_u32_e64 s1, 63, v0
	v_xor_b32_e32 v1, 63, v1
	v_dual_mov_b32 v5, 0 :: v_dual_and_b32 v4, 12, v2
	v_cmp_lt_u32_e64 s2, 0x5f, v0
	v_add3_u32 v3, v27, 0, 0x400
	s_delay_alu instid0(VALU_DEP_4) | instskip(NEXT) | instid1(VALU_DEP_4)
	v_lshrrev_b64 v[1:2], v1, -1
	v_add_nc_u32_e32 v2, 0, v4
	v_mov_b32_e32 v4, 0
	s_mov_b32 s5, 0
	s_branch .LBB241_43
.LBB241_42:                             ;   in Loop: Header=BB241_43 Depth=1
	s_or_b32 exec_lo, exec_lo, s3
	s_waitcnt lgkmcnt(0)
	s_barrier
	buffer_gl0_inv
	ds_load_b32 v6, v4 offset:5132
	v_add_co_u32 v25, s3, 0x80, v25
	s_delay_alu instid0(VALU_DEP_1) | instskip(SKIP_3) | instid1(SALU_CYCLE_1)
	s_xor_b32 s3, s3, -1
	v_add_nc_u32_e32 v3, 0x800, v3
	v_add_nc_u32_e32 v26, 0x200, v26
	s_and_b32 s3, exec_lo, s3
	s_or_b32 s5, s3, s5
	s_waitcnt lgkmcnt(0)
	v_add_nc_u32_e32 v5, v6, v5
	s_and_not1_b32 exec_lo, exec_lo, s5
	s_cbranch_execz .LBB241_74
.LBB241_43:                             ; =>This Inner Loop Header: Depth=1
	ds_load_b32 v6, v26
	ds_load_2addr_b64 v[7:10], v3 offset1:1
	s_waitcnt lgkmcnt(1)
	v_cmp_gt_i32_e64 s3, s14, v6
	s_waitcnt lgkmcnt(0)
	scratch_store_b128 off, v[7:10], off
	s_waitcnt_vscnt null, 0x0
	s_barrier
	buffer_gl0_inv
	s_bcnt1_i32_b32 s6, s3
	s_delay_alu instid0(SALU_CYCLE_1) | instskip(NEXT) | instid1(VALU_DEP_1)
	v_dual_mov_b32 v8, s6 :: v_dual_and_b32 v7, s3, v1
	v_bcnt_u32_b32 v7, v7, 0
	ds_store_b32 v2, v8 offset:5120
	s_waitcnt lgkmcnt(0)
	s_barrier
	buffer_gl0_inv
	s_and_saveexec_b32 s6, s0
	s_cbranch_execnz .LBB241_48
; %bb.44:                               ;   in Loop: Header=BB241_43 Depth=1
	s_or_b32 exec_lo, exec_lo, s6
	s_and_saveexec_b32 s6, s1
	s_cbranch_execnz .LBB241_49
.LBB241_45:                             ;   in Loop: Header=BB241_43 Depth=1
	s_or_b32 exec_lo, exec_lo, s6
	s_and_saveexec_b32 s6, s2
	s_cbranch_execnz .LBB241_50
.LBB241_46:                             ;   in Loop: Header=BB241_43 Depth=1
	s_or_b32 exec_lo, exec_lo, s6
	s_and_saveexec_b32 s6, s3
	s_cbranch_execnz .LBB241_51
.LBB241_47:                             ;   in Loop: Header=BB241_43 Depth=1
	s_or_b32 exec_lo, exec_lo, s6
	s_and_saveexec_b32 s3, vcc_lo
	s_cbranch_execz .LBB241_42
	s_branch .LBB241_52
.LBB241_48:                             ;   in Loop: Header=BB241_43 Depth=1
	ds_load_b32 v8, v4 offset:5120
	s_waitcnt lgkmcnt(0)
	v_add_nc_u32_e32 v7, v8, v7
	s_or_b32 exec_lo, exec_lo, s6
	s_and_saveexec_b32 s6, s1
	s_cbranch_execz .LBB241_45
.LBB241_49:                             ;   in Loop: Header=BB241_43 Depth=1
	ds_load_b32 v8, v4 offset:5124
	s_waitcnt lgkmcnt(0)
	v_add_nc_u32_e32 v7, v8, v7
	s_or_b32 exec_lo, exec_lo, s6
	s_and_saveexec_b32 s6, s2
	s_cbranch_execz .LBB241_46
.LBB241_50:                             ;   in Loop: Header=BB241_43 Depth=1
	ds_load_b32 v8, v4 offset:5128
	s_waitcnt lgkmcnt(0)
	v_add_nc_u32_e32 v7, v8, v7
	s_or_b32 exec_lo, exec_lo, s6
	s_and_saveexec_b32 s6, s3
	s_cbranch_execz .LBB241_47
.LBB241_51:                             ;   in Loop: Header=BB241_43 Depth=1
	scratch_load_b128 v[8:11], off, off
	v_add3_u32 v12, v5, -1, v7
	s_delay_alu instid0(VALU_DEP_1)
	v_lshl_add_u32 v13, v12, 2, 0
	v_lshl_add_u32 v12, v12, 4, 0
	ds_store_b32 v13, v6
	s_waitcnt vmcnt(0)
	ds_store_2addr_b64 v12, v[8:9], v[10:11] offset0:128 offset1:129
	s_or_b32 exec_lo, exec_lo, s6
	s_and_saveexec_b32 s3, vcc_lo
	s_cbranch_execz .LBB241_42
.LBB241_52:                             ;   in Loop: Header=BB241_43 Depth=1
	ds_store_b32 v4, v7 offset:5132
	s_branch .LBB241_42
.LBB241_53:                             ;   in Loop: Header=BB241_54 Depth=1
	s_or_b32 exec_lo, exec_lo, s5
	v_add_co_u32 v5, vcc_lo, 0x80, v5
	v_add_co_ci_u32_e32 v6, vcc_lo, 0, v6, vcc_lo
	s_delay_alu instid0(VALU_DEP_1) | instskip(SKIP_1) | instid1(SALU_CYCLE_1)
	v_cmp_le_i64_e32 vcc_lo, s[2:3], v[5:6]
	s_or_b32 s4, vcc_lo, s4
	s_and_not1_b32 exec_lo, exec_lo, s4
	s_cbranch_execz .LBB241_39
.LBB241_54:                             ; =>This Loop Header: Depth=1
                                        ;     Child Loop BB241_56 Depth 2
                                        ;       Child Loop BB241_62 Depth 3
                                        ;       Child Loop BB241_64 Depth 3
	;; [unrolled: 1-line block ×4, first 2 shown]
	v_lshlrev_b64 v[7:8], 4, v[5:6]
	s_mov_b32 s5, 0
	s_delay_alu instid0(VALU_DEP_1) | instskip(NEXT) | instid1(VALU_DEP_2)
	v_add_co_u32 v7, vcc_lo, s8, v7
	v_add_co_ci_u32_e32 v8, vcc_lo, s9, v8, vcc_lo
	global_load_b128 v[9:12], v[7:8], off
	v_lshlrev_b64 v[7:8], 2, v[5:6]
	s_delay_alu instid0(VALU_DEP_1) | instskip(NEXT) | instid1(VALU_DEP_2)
	v_add_co_u32 v7, vcc_lo, s6, v7
	v_add_co_ci_u32_e32 v8, vcc_lo, s7, v8, vcc_lo
	global_load_b32 v13, v[7:8], off
	s_waitcnt vmcnt(1)
	v_mul_f64 v[7:8], v[11:12], -v[1:2]
	v_mul_f64 v[11:12], v[3:4], v[11:12]
	s_waitcnt vmcnt(0)
	v_subrev_nc_u32_e32 v13, s27, v13
	s_delay_alu instid0(VALU_DEP_3) | instskip(NEXT) | instid1(VALU_DEP_3)
	v_fma_f64 v[7:8], v[3:4], v[9:10], v[7:8]
	v_fma_f64 v[9:10], v[1:2], v[9:10], v[11:12]
	s_delay_alu instid0(VALU_DEP_3) | instskip(NEXT) | instid1(VALU_DEP_1)
	v_mul_lo_u32 v11, 0x89, v13
	v_and_b32_e32 v14, 0xff, v11
	s_branch .LBB241_56
.LBB241_55:                             ;   in Loop: Header=BB241_56 Depth=2
	s_or_b32 exec_lo, exec_lo, s13
	s_xor_b32 s13, s15, -1
	s_delay_alu instid0(SALU_CYCLE_1) | instskip(NEXT) | instid1(SALU_CYCLE_1)
	s_and_b32 s13, exec_lo, s13
	s_or_b32 s5, s13, s5
	s_delay_alu instid0(SALU_CYCLE_1)
	s_and_not1_b32 exec_lo, exec_lo, s5
	s_cbranch_execz .LBB241_53
.LBB241_56:                             ;   Parent Loop BB241_54 Depth=1
                                        ; =>  This Loop Header: Depth=2
                                        ;       Child Loop BB241_62 Depth 3
                                        ;       Child Loop BB241_64 Depth 3
	;; [unrolled: 1-line block ×4, first 2 shown]
	s_delay_alu instid0(VALU_DEP_1)
	v_lshl_add_u32 v11, v14, 2, 0
	s_mov_b32 s13, exec_lo
                                        ; implicit-def: $sgpr15
	ds_load_b32 v12, v11
	s_waitcnt lgkmcnt(0)
	v_cmpx_ne_u32_e64 v12, v13
	s_xor_b32 s13, exec_lo, s13
	s_cbranch_execz .LBB241_68
; %bb.57:                               ;   in Loop: Header=BB241_56 Depth=2
	s_mov_b32 s16, exec_lo
                                        ; implicit-def: $sgpr15
	v_cmpx_ne_u32_e64 s14, v12
	s_xor_b32 s16, exec_lo, s16
; %bb.58:                               ;   in Loop: Header=BB241_56 Depth=2
	v_add_nc_u32_e32 v11, 1, v14
	s_mov_b32 s15, -1
	s_delay_alu instid0(VALU_DEP_1)
	v_and_b32_e32 v14, 0xff, v11
                                        ; implicit-def: $vgpr11
; %bb.59:                               ;   in Loop: Header=BB241_56 Depth=2
	s_and_not1_saveexec_b32 s16, s16
	s_cbranch_execz .LBB241_67
; %bb.60:                               ;   in Loop: Header=BB241_56 Depth=2
	v_mov_b32_e32 v12, s14
	s_mov_b32 s18, -1
	s_mov_b32 s17, exec_lo
	ds_cmpstore_rtn_b32 v12, v11, v13, v12
	s_waitcnt lgkmcnt(0)
	v_cmpx_eq_u32_e64 s14, v12
	s_cbranch_execz .LBB241_66
; %bb.61:                               ;   in Loop: Header=BB241_56 Depth=2
	v_mul_lo_u32 v12, v14, 12
	s_mov_b32 s18, 0
	s_delay_alu instid0(VALU_DEP_1)
	v_add_nc_u32_e32 v15, v11, v12
	ds_load_b64 v[11:12], v15 offset:1024
.LBB241_62:                             ;   Parent Loop BB241_54 Depth=1
                                        ;     Parent Loop BB241_56 Depth=2
                                        ; =>    This Inner Loop Header: Depth=3
	s_waitcnt lgkmcnt(0)
	v_add_f64 v[16:17], v[11:12], v[7:8]
	ds_cmpstore_rtn_b64 v[16:17], v15, v[16:17], v[11:12] offset:1024
	s_waitcnt lgkmcnt(0)
	v_cmp_eq_u64_e32 vcc_lo, v[16:17], v[11:12]
	v_dual_mov_b32 v11, v16 :: v_dual_mov_b32 v12, v17
	s_or_b32 s18, vcc_lo, s18
	s_delay_alu instid0(SALU_CYCLE_1)
	s_and_not1_b32 exec_lo, exec_lo, s18
	s_cbranch_execnz .LBB241_62
; %bb.63:                               ;   in Loop: Header=BB241_56 Depth=2
	s_or_b32 exec_lo, exec_lo, s18
	ds_load_b64 v[11:12], v15 offset:1032
	s_mov_b32 s18, 0
.LBB241_64:                             ;   Parent Loop BB241_54 Depth=1
                                        ;     Parent Loop BB241_56 Depth=2
                                        ; =>    This Inner Loop Header: Depth=3
	s_waitcnt lgkmcnt(0)
	v_add_f64 v[16:17], v[11:12], v[9:10]
	ds_cmpstore_rtn_b64 v[16:17], v15, v[16:17], v[11:12] offset:1032
	s_waitcnt lgkmcnt(0)
	v_cmp_eq_u64_e32 vcc_lo, v[16:17], v[11:12]
	v_dual_mov_b32 v11, v16 :: v_dual_mov_b32 v12, v17
	s_or_b32 s18, vcc_lo, s18
	s_delay_alu instid0(SALU_CYCLE_1)
	s_and_not1_b32 exec_lo, exec_lo, s18
	s_cbranch_execnz .LBB241_64
; %bb.65:                               ;   in Loop: Header=BB241_56 Depth=2
	s_or_b32 exec_lo, exec_lo, s18
	s_delay_alu instid0(SALU_CYCLE_1)
	s_xor_b32 s18, exec_lo, -1
.LBB241_66:                             ;   in Loop: Header=BB241_56 Depth=2
	s_or_b32 exec_lo, exec_lo, s17
	s_delay_alu instid0(SALU_CYCLE_1) | instskip(SKIP_1) | instid1(SALU_CYCLE_1)
	s_and_not1_b32 s15, s15, exec_lo
	s_and_b32 s17, s18, exec_lo
	s_or_b32 s15, s15, s17
.LBB241_67:                             ;   in Loop: Header=BB241_56 Depth=2
	s_or_b32 exec_lo, exec_lo, s16
	s_delay_alu instid0(SALU_CYCLE_1)
	s_and_b32 s15, s15, exec_lo
                                        ; implicit-def: $vgpr11
.LBB241_68:                             ;   in Loop: Header=BB241_56 Depth=2
	s_and_not1_saveexec_b32 s13, s13
	s_cbranch_execz .LBB241_55
; %bb.69:                               ;   in Loop: Header=BB241_56 Depth=2
	v_mul_lo_u32 v12, v14, 12
	s_mov_b32 s16, 0
	s_delay_alu instid0(VALU_DEP_1)
	v_add_nc_u32_e32 v15, v11, v12
	ds_load_b64 v[11:12], v15 offset:1024
.LBB241_70:                             ;   Parent Loop BB241_54 Depth=1
                                        ;     Parent Loop BB241_56 Depth=2
                                        ; =>    This Inner Loop Header: Depth=3
	s_waitcnt lgkmcnt(0)
	v_add_f64 v[16:17], v[11:12], v[7:8]
	ds_cmpstore_rtn_b64 v[16:17], v15, v[16:17], v[11:12] offset:1024
	s_waitcnt lgkmcnt(0)
	v_cmp_eq_u64_e32 vcc_lo, v[16:17], v[11:12]
	v_dual_mov_b32 v11, v16 :: v_dual_mov_b32 v12, v17
	s_or_b32 s16, vcc_lo, s16
	s_delay_alu instid0(SALU_CYCLE_1)
	s_and_not1_b32 exec_lo, exec_lo, s16
	s_cbranch_execnz .LBB241_70
; %bb.71:                               ;   in Loop: Header=BB241_56 Depth=2
	s_or_b32 exec_lo, exec_lo, s16
	ds_load_b64 v[11:12], v15 offset:1032
	s_mov_b32 s16, 0
.LBB241_72:                             ;   Parent Loop BB241_54 Depth=1
                                        ;     Parent Loop BB241_56 Depth=2
                                        ; =>    This Inner Loop Header: Depth=3
	s_waitcnt lgkmcnt(0)
	v_add_f64 v[16:17], v[11:12], v[9:10]
	ds_cmpstore_rtn_b64 v[16:17], v15, v[16:17], v[11:12] offset:1032
	s_waitcnt lgkmcnt(0)
	v_cmp_eq_u64_e32 vcc_lo, v[16:17], v[11:12]
	v_dual_mov_b32 v11, v16 :: v_dual_mov_b32 v12, v17
	s_or_b32 s16, vcc_lo, s16
	s_delay_alu instid0(SALU_CYCLE_1)
	s_and_not1_b32 exec_lo, exec_lo, s16
	s_cbranch_execnz .LBB241_72
; %bb.73:                               ;   in Loop: Header=BB241_56 Depth=2
	s_or_b32 exec_lo, exec_lo, s16
	s_delay_alu instid0(SALU_CYCLE_1)
	s_and_not1_b32 s15, s15, exec_lo
	s_branch .LBB241_55
.LBB241_74:
	s_or_b32 exec_lo, exec_lo, s4
	s_ashr_i32 s13, s12, 31
	s_mov_b32 s4, exec_lo
	s_lshl_b64 s[0:1], s[12:13], 3
	s_delay_alu instid0(SALU_CYCLE_1) | instskip(SKIP_4) | instid1(SALU_CYCLE_1)
	s_add_u32 s0, s10, s0
	s_addc_u32 s1, s11, s1
	s_load_b128 s[0:3], s[0:1], 0x0
	s_waitcnt lgkmcnt(0)
	s_sub_i32 s3, s2, s0
	v_cmpx_gt_i32_e64 s3, v0
	s_cbranch_execz .LBB241_84
; %bb.75:
	s_sub_u32 s4, s0, s26
	s_subb_u32 s5, s1, 0
	s_sub_i32 s0, s0, s2
	s_and_b32 s1, s3, 7
	s_cmp_lt_u32 s0, -7
	s_mov_b32 s8, 0
	s_cselect_b32 s2, -1, 0
	s_and_b32 s6, s3, -8
	s_cmp_lg_u32 s1, 0
	s_cselect_b32 s7, -1, 0
	s_branch .LBB241_77
.LBB241_76:                             ;   in Loop: Header=BB241_77 Depth=1
	s_delay_alu instid0(VALU_DEP_2) | instskip(NEXT) | instid1(VALU_DEP_2)
	v_mad_u64_u32 v[5:6], null, v0, 12, v[1:2]
	v_lshlrev_b64 v[9:10], 2, v[2:3]
	v_lshlrev_b64 v[1:2], 4, v[2:3]
	v_add_nc_u32_e32 v0, 0x80, v0
	s_waitcnt lgkmcnt(0)
	v_add_nc_u32_e32 v11, s26, v4
	s_delay_alu instid0(VALU_DEP_4) | instskip(SKIP_4) | instid1(VALU_DEP_1)
	v_add_co_u32 v3, vcc_lo, s28, v9
	ds_load_2addr_b64 v[5:8], v5 offset0:128 offset1:129
	v_add_co_ci_u32_e32 v4, vcc_lo, s29, v10, vcc_lo
	v_cmp_le_i32_e32 vcc_lo, s3, v0
	v_add_co_u32 v1, s0, s30, v1
	v_add_co_ci_u32_e64 v2, s0, s31, v2, s0
	s_or_b32 s8, vcc_lo, s8
	global_store_b32 v[3:4], v11, off
	s_waitcnt lgkmcnt(0)
	global_store_b128 v[1:2], v[5:8], off
	s_and_not1_b32 exec_lo, exec_lo, s8
	s_cbranch_execz .LBB241_84
.LBB241_77:                             ; =>This Loop Header: Depth=1
                                        ;     Child Loop BB241_79 Depth 2
                                        ;     Child Loop BB241_83 Depth 2
	v_lshl_add_u32 v1, v0, 2, 0
	v_dual_mov_b32 v2, s4 :: v_dual_mov_b32 v3, s5
	s_and_not1_b32 vcc_lo, exec_lo, s2
	s_mov_b32 s0, 0
	ds_load_b32 v4, v1
	s_cbranch_vccnz .LBB241_81
; %bb.78:                               ;   in Loop: Header=BB241_77 Depth=1
	v_dual_mov_b32 v2, s4 :: v_dual_mov_b32 v3, s5
	s_mov_b32 s9, 0
	s_mov_b32 s10, 0
.LBB241_79:                             ;   Parent Loop BB241_77 Depth=1
                                        ; =>  This Inner Loop Header: Depth=2
	s_delay_alu instid0(SALU_CYCLE_1)
	v_mov_b32_e32 v11, s10
	s_add_i32 s9, s9, 8
	s_add_i32 s10, s10, 32
	s_cmp_eq_u32 s6, s9
	ds_load_2addr_b32 v[5:6], v11 offset1:1
	ds_load_2addr_b32 v[7:8], v11 offset0:2 offset1:3
	ds_load_2addr_b32 v[9:10], v11 offset0:4 offset1:5
	;; [unrolled: 1-line block ×3, first 2 shown]
	s_waitcnt lgkmcnt(3)
	v_cmp_gt_i32_e32 vcc_lo, v4, v5
	v_cndmask_b32_e64 v5, 0, 1, vcc_lo
	v_cmp_gt_i32_e32 vcc_lo, v4, v6
	v_cndmask_b32_e64 v6, 0, 1, vcc_lo
	s_waitcnt lgkmcnt(2)
	v_cmp_gt_i32_e32 vcc_lo, v4, v7
	v_cndmask_b32_e64 v7, 0, 1, vcc_lo
	v_cmp_gt_i32_e32 vcc_lo, v4, v8
	v_cndmask_b32_e64 v8, 0, 1, vcc_lo
	s_waitcnt lgkmcnt(1)
	v_cmp_gt_i32_e32 vcc_lo, v4, v9
	v_cndmask_b32_e64 v9, 0, 1, vcc_lo
	v_add_co_u32 v2, vcc_lo, v2, v5
	v_add_co_ci_u32_e32 v3, vcc_lo, 0, v3, vcc_lo
	v_cmp_gt_i32_e32 vcc_lo, v4, v10
	s_delay_alu instid0(VALU_DEP_3) | instskip(NEXT) | instid1(VALU_DEP_1)
	v_add_co_u32 v2, s0, v2, v6
	v_add_co_ci_u32_e64 v3, s0, 0, v3, s0
	v_cndmask_b32_e64 v5, 0, 1, vcc_lo
	s_delay_alu instid0(VALU_DEP_3) | instskip(NEXT) | instid1(VALU_DEP_3)
	v_add_co_u32 v2, vcc_lo, v2, v7
	v_add_co_ci_u32_e32 v3, vcc_lo, 0, v3, vcc_lo
	s_waitcnt lgkmcnt(0)
	v_cmp_gt_i32_e32 vcc_lo, v4, v11
	s_delay_alu instid0(VALU_DEP_3) | instskip(NEXT) | instid1(VALU_DEP_1)
	v_add_co_u32 v2, s0, v2, v8
	v_add_co_ci_u32_e64 v3, s0, 0, v3, s0
	v_cndmask_b32_e64 v6, 0, 1, vcc_lo
	s_delay_alu instid0(VALU_DEP_3) | instskip(NEXT) | instid1(VALU_DEP_3)
	v_add_co_u32 v2, vcc_lo, v2, v9
	v_add_co_ci_u32_e32 v3, vcc_lo, 0, v3, vcc_lo
	v_cmp_gt_i32_e32 vcc_lo, v4, v12
	s_delay_alu instid0(VALU_DEP_3) | instskip(NEXT) | instid1(VALU_DEP_1)
	v_add_co_u32 v2, s0, v2, v5
	v_add_co_ci_u32_e64 v3, s0, 0, v3, s0
	v_cndmask_b32_e64 v5, 0, 1, vcc_lo
	s_delay_alu instid0(VALU_DEP_3) | instskip(NEXT) | instid1(VALU_DEP_3)
	v_add_co_u32 v2, vcc_lo, v2, v6
	v_add_co_ci_u32_e32 v3, vcc_lo, 0, v3, vcc_lo
	s_delay_alu instid0(VALU_DEP_2) | instskip(NEXT) | instid1(VALU_DEP_2)
	v_add_co_u32 v2, vcc_lo, v2, v5
	v_add_co_ci_u32_e32 v3, vcc_lo, 0, v3, vcc_lo
	s_cbranch_scc0 .LBB241_79
; %bb.80:                               ;   in Loop: Header=BB241_77 Depth=1
	s_mov_b32 s0, s6
.LBB241_81:                             ;   in Loop: Header=BB241_77 Depth=1
	s_and_not1_b32 vcc_lo, exec_lo, s7
	s_cbranch_vccnz .LBB241_76
; %bb.82:                               ;   in Loop: Header=BB241_77 Depth=1
	s_lshl_b32 s0, s0, 2
	s_mov_b32 s9, s1
	s_add_i32 s0, s0, 0
.LBB241_83:                             ;   Parent Loop BB241_77 Depth=1
                                        ; =>  This Inner Loop Header: Depth=2
	s_delay_alu instid0(SALU_CYCLE_1)
	v_mov_b32_e32 v5, s0
	s_add_i32 s9, s9, -1
	s_add_i32 s0, s0, 4
	s_cmp_lg_u32 s9, 0
	ds_load_b32 v5, v5
	s_waitcnt lgkmcnt(0)
	v_cmp_gt_i32_e32 vcc_lo, v4, v5
	v_cndmask_b32_e64 v5, 0, 1, vcc_lo
	s_delay_alu instid0(VALU_DEP_1)
	v_add_co_u32 v2, vcc_lo, v2, v5
	v_add_co_ci_u32_e32 v3, vcc_lo, 0, v3, vcc_lo
	s_cbranch_scc1 .LBB241_83
	s_branch .LBB241_76
.LBB241_84:
	s_nop 0
	s_sendmsg sendmsg(MSG_DEALLOC_VGPRS)
	s_endpgm
	.section	.rodata,"a",@progbits
	.p2align	6, 0x0
	.amdhsa_kernel _ZN9rocsparseL26csrgemm_fill_block_per_rowILj128ELj16ELj256ELj137ELj32Eli21rocsparse_complex_numIdEEEvT5_PKS3_S5_NS_24const_host_device_scalarIT6_EEPKT4_S5_PKS7_SB_S5_SD_S8_SB_S5_SD_SB_PS3_PS7_21rocsparse_index_base_SG_SG_SG_bbb
		.amdhsa_group_segment_fixed_size 0
		.amdhsa_private_segment_fixed_size 40
		.amdhsa_kernarg_size 172
		.amdhsa_user_sgpr_count 15
		.amdhsa_user_sgpr_dispatch_ptr 0
		.amdhsa_user_sgpr_queue_ptr 0
		.amdhsa_user_sgpr_kernarg_segment_ptr 1
		.amdhsa_user_sgpr_dispatch_id 0
		.amdhsa_user_sgpr_private_segment_size 0
		.amdhsa_wavefront_size32 1
		.amdhsa_uses_dynamic_stack 0
		.amdhsa_enable_private_segment 1
		.amdhsa_system_sgpr_workgroup_id_x 1
		.amdhsa_system_sgpr_workgroup_id_y 0
		.amdhsa_system_sgpr_workgroup_id_z 0
		.amdhsa_system_sgpr_workgroup_info 0
		.amdhsa_system_vgpr_workitem_id 0
		.amdhsa_next_free_vgpr 35
		.amdhsa_next_free_sgpr 44
		.amdhsa_reserve_vcc 1
		.amdhsa_float_round_mode_32 0
		.amdhsa_float_round_mode_16_64 0
		.amdhsa_float_denorm_mode_32 3
		.amdhsa_float_denorm_mode_16_64 3
		.amdhsa_dx10_clamp 1
		.amdhsa_ieee_mode 1
		.amdhsa_fp16_overflow 0
		.amdhsa_workgroup_processor_mode 1
		.amdhsa_memory_ordered 1
		.amdhsa_forward_progress 0
		.amdhsa_shared_vgpr_count 0
		.amdhsa_exception_fp_ieee_invalid_op 0
		.amdhsa_exception_fp_denorm_src 0
		.amdhsa_exception_fp_ieee_div_zero 0
		.amdhsa_exception_fp_ieee_overflow 0
		.amdhsa_exception_fp_ieee_underflow 0
		.amdhsa_exception_fp_ieee_inexact 0
		.amdhsa_exception_int_div_zero 0
	.end_amdhsa_kernel
	.section	.text._ZN9rocsparseL26csrgemm_fill_block_per_rowILj128ELj16ELj256ELj137ELj32Eli21rocsparse_complex_numIdEEEvT5_PKS3_S5_NS_24const_host_device_scalarIT6_EEPKT4_S5_PKS7_SB_S5_SD_S8_SB_S5_SD_SB_PS3_PS7_21rocsparse_index_base_SG_SG_SG_bbb,"axG",@progbits,_ZN9rocsparseL26csrgemm_fill_block_per_rowILj128ELj16ELj256ELj137ELj32Eli21rocsparse_complex_numIdEEEvT5_PKS3_S5_NS_24const_host_device_scalarIT6_EEPKT4_S5_PKS7_SB_S5_SD_S8_SB_S5_SD_SB_PS3_PS7_21rocsparse_index_base_SG_SG_SG_bbb,comdat
.Lfunc_end241:
	.size	_ZN9rocsparseL26csrgemm_fill_block_per_rowILj128ELj16ELj256ELj137ELj32Eli21rocsparse_complex_numIdEEEvT5_PKS3_S5_NS_24const_host_device_scalarIT6_EEPKT4_S5_PKS7_SB_S5_SD_S8_SB_S5_SD_SB_PS3_PS7_21rocsparse_index_base_SG_SG_SG_bbb, .Lfunc_end241-_ZN9rocsparseL26csrgemm_fill_block_per_rowILj128ELj16ELj256ELj137ELj32Eli21rocsparse_complex_numIdEEEvT5_PKS3_S5_NS_24const_host_device_scalarIT6_EEPKT4_S5_PKS7_SB_S5_SD_S8_SB_S5_SD_SB_PS3_PS7_21rocsparse_index_base_SG_SG_SG_bbb
                                        ; -- End function
	.section	.AMDGPU.csdata,"",@progbits
; Kernel info:
; codeLenInByte = 3748
; NumSgprs: 46
; NumVgprs: 35
; ScratchSize: 40
; MemoryBound: 0
; FloatMode: 240
; IeeeMode: 1
; LDSByteSize: 0 bytes/workgroup (compile time only)
; SGPRBlocks: 5
; VGPRBlocks: 4
; NumSGPRsForWavesPerEU: 46
; NumVGPRsForWavesPerEU: 35
; Occupancy: 16
; WaveLimiterHint : 1
; COMPUTE_PGM_RSRC2:SCRATCH_EN: 1
; COMPUTE_PGM_RSRC2:USER_SGPR: 15
; COMPUTE_PGM_RSRC2:TRAP_HANDLER: 0
; COMPUTE_PGM_RSRC2:TGID_X_EN: 1
; COMPUTE_PGM_RSRC2:TGID_Y_EN: 0
; COMPUTE_PGM_RSRC2:TGID_Z_EN: 0
; COMPUTE_PGM_RSRC2:TIDIG_COMP_CNT: 0
	.section	.text._ZN9rocsparseL26csrgemm_fill_block_per_rowILj128ELj16ELj256ELj137ELj64Eli21rocsparse_complex_numIdEEEvT5_PKS3_S5_NS_24const_host_device_scalarIT6_EEPKT4_S5_PKS7_SB_S5_SD_S8_SB_S5_SD_SB_PS3_PS7_21rocsparse_index_base_SG_SG_SG_bbb,"axG",@progbits,_ZN9rocsparseL26csrgemm_fill_block_per_rowILj128ELj16ELj256ELj137ELj64Eli21rocsparse_complex_numIdEEEvT5_PKS3_S5_NS_24const_host_device_scalarIT6_EEPKT4_S5_PKS7_SB_S5_SD_S8_SB_S5_SD_SB_PS3_PS7_21rocsparse_index_base_SG_SG_SG_bbb,comdat
	.globl	_ZN9rocsparseL26csrgemm_fill_block_per_rowILj128ELj16ELj256ELj137ELj64Eli21rocsparse_complex_numIdEEEvT5_PKS3_S5_NS_24const_host_device_scalarIT6_EEPKT4_S5_PKS7_SB_S5_SD_S8_SB_S5_SD_SB_PS3_PS7_21rocsparse_index_base_SG_SG_SG_bbb ; -- Begin function _ZN9rocsparseL26csrgemm_fill_block_per_rowILj128ELj16ELj256ELj137ELj64Eli21rocsparse_complex_numIdEEEvT5_PKS3_S5_NS_24const_host_device_scalarIT6_EEPKT4_S5_PKS7_SB_S5_SD_S8_SB_S5_SD_SB_PS3_PS7_21rocsparse_index_base_SG_SG_SG_bbb
	.p2align	8
	.type	_ZN9rocsparseL26csrgemm_fill_block_per_rowILj128ELj16ELj256ELj137ELj64Eli21rocsparse_complex_numIdEEEvT5_PKS3_S5_NS_24const_host_device_scalarIT6_EEPKT4_S5_PKS7_SB_S5_SD_S8_SB_S5_SD_SB_PS3_PS7_21rocsparse_index_base_SG_SG_SG_bbb,@function
_ZN9rocsparseL26csrgemm_fill_block_per_rowILj128ELj16ELj256ELj137ELj64Eli21rocsparse_complex_numIdEEEvT5_PKS3_S5_NS_24const_host_device_scalarIT6_EEPKT4_S5_PKS7_SB_S5_SD_S8_SB_S5_SD_SB_PS3_PS7_21rocsparse_index_base_SG_SG_SG_bbb: ; @_ZN9rocsparseL26csrgemm_fill_block_per_rowILj128ELj16ELj256ELj137ELj64Eli21rocsparse_complex_numIdEEEvT5_PKS3_S5_NS_24const_host_device_scalarIT6_EEPKT4_S5_PKS7_SB_S5_SD_S8_SB_S5_SD_SB_PS3_PS7_21rocsparse_index_base_SG_SG_SG_bbb
; %bb.0:
	s_clause 0x2
	s_load_b32 s13, s[0:1], 0xa8
	s_load_b128 s[8:11], s[0:1], 0x18
	s_load_b128 s[4:7], s[0:1], 0x58
	v_mov_b32_e32 v1, 0
	v_mov_b32_e32 v2, 0
	s_waitcnt lgkmcnt(0)
	s_bitcmp1_b32 s13, 0
	v_mov_b32_e32 v3, s8
	s_cselect_b32 s12, -1, 0
	s_bitcmp1_b32 s13, 16
	v_dual_mov_b32 v6, v2 :: v_dual_mov_b32 v5, v1
	s_cselect_b32 s2, -1, 0
	v_mov_b32_e32 v4, s9
	s_xor_b32 s3, s2, -1
	v_dual_mov_b32 v10, s5 :: v_dual_mov_b32 v9, s4
	v_cndmask_b32_e64 v7, 0, 1, s3
	s_bitcmp0_b32 s13, 0
	s_clause 0x1
	scratch_store_b64 off, v[3:4], off offset:16
	scratch_store_b64 off, v[9:10], off offset:24
	v_cmp_ne_u32_e32 vcc_lo, 1, v7
	v_dual_mov_b32 v8, v2 :: v_dual_mov_b32 v7, v1
	s_cbranch_scc1 .LBB242_3
; %bb.1:
	s_mov_b64 s[16:17], src_private_base
	s_and_b32 s14, s2, exec_lo
	s_cselect_b32 s14, s17, s9
	s_delay_alu instid0(SALU_CYCLE_1) | instskip(SKIP_2) | instid1(VALU_DEP_2)
	v_dual_mov_b32 v3, 16 :: v_dual_mov_b32 v4, s14
	v_dual_mov_b32 v7, s10 :: v_dual_mov_b32 v8, s11
	s_and_b32 vcc_lo, exec_lo, vcc_lo
	v_cndmask_b32_e64 v3, s8, v3, s2
	flat_load_b64 v[5:6], v[3:4]
	s_cbranch_vccnz .LBB242_3
; %bb.2:
	v_dual_mov_b32 v3, s8 :: v_dual_mov_b32 v4, s9
	flat_load_b64 v[7:8], v[3:4] offset:8
.LBB242_3:
	s_load_b128 s[24:27], s[0:1], 0x98
	s_bitcmp1_b32 s13, 8
	v_dual_mov_b32 v4, v2 :: v_dual_mov_b32 v3, v1
	s_cselect_b32 s33, -1, 0
	s_bfe_u32 s8, s13, 0x10008
	s_delay_alu instid0(SALU_CYCLE_1)
	s_cmp_eq_u32 s8, 0
	s_cbranch_scc1 .LBB242_6
; %bb.4:
	s_mov_b64 s[8:9], src_private_base
	s_and_b32 s8, s2, exec_lo
	s_cselect_b32 s8, s9, s5
	s_delay_alu instid0(SALU_CYCLE_1) | instskip(SKIP_1) | instid1(VALU_DEP_1)
	v_dual_mov_b32 v1, 24 :: v_dual_mov_b32 v2, s8
	s_and_not1_b32 vcc_lo, exec_lo, s3
	v_cndmask_b32_e64 v1, s4, v1, s2
	flat_load_b64 v[3:4], v[1:2]
	v_dual_mov_b32 v1, s6 :: v_dual_mov_b32 v2, s7
	s_cbranch_vccnz .LBB242_6
; %bb.5:
	v_dual_mov_b32 v1, s4 :: v_dual_mov_b32 v2, s5
	flat_load_b64 v[1:2], v[1:2] offset:8
.LBB242_6:
	s_clause 0x5
	s_load_b128 s[28:31], s[0:1], 0x88
	s_load_b256 s[4:11], s[0:1], 0x68
	s_load_b128 s[36:39], s[0:1], 0x48
	s_load_b256 s[16:23], s[0:1], 0x28
	s_load_b128 s[40:43], s[0:1], 0x8
	s_load_b32 s14, s[0:1], 0x0
	v_cmp_gt_u32_e64 s0, 0x100, v0
	v_lshlrev_b32_e32 v27, 4, v0
	v_or_b32_e32 v25, 0xffffff80, v0
	v_lshl_add_u32 v26, v0, 2, 0
	s_delay_alu instid0(VALU_DEP_4)
	s_and_saveexec_b32 s1, s0
	s_cbranch_execz .LBB242_9
; %bb.7:
	s_mov_b32 s2, 0
	v_add3_u32 v13, v27, 0, 0x400
	s_mov_b32 s3, s2
	s_mov_b32 s34, s2
	;; [unrolled: 1-line block ×3, first 2 shown]
	v_dual_mov_b32 v10, s3 :: v_dual_mov_b32 v11, s34
	v_or_b32_e32 v14, 0xffffff80, v0
	v_lshl_add_u32 v15, v0, 2, 0
	s_waitcnt lgkmcnt(0)
	v_dual_mov_b32 v16, s14 :: v_dual_mov_b32 v9, s2
	v_mov_b32_e32 v12, s35
.LBB242_8:                              ; =>This Inner Loop Header: Depth=1
	v_add_co_u32 v14, s3, 0x80, v14
	s_delay_alu instid0(VALU_DEP_1)
	s_xor_b32 s3, s3, -1
	ds_store_b32 v15, v16
	ds_store_2addr_b64 v13, v[9:10], v[11:12] offset1:1
	v_add_nc_u32_e32 v13, 0x800, v13
	v_add_nc_u32_e32 v15, 0x200, v15
	s_and_b32 s3, exec_lo, s3
	s_delay_alu instid0(SALU_CYCLE_1) | instskip(NEXT) | instid1(SALU_CYCLE_1)
	s_or_b32 s2, s3, s2
	s_and_not1_b32 exec_lo, exec_lo, s2
	s_cbranch_execnz .LBB242_8
.LBB242_9:
	s_or_b32 exec_lo, exec_lo, s1
	s_waitcnt vmcnt(0) lgkmcnt(0)
	s_waitcnt_vscnt null, 0x0
	s_barrier
	buffer_gl0_inv
	s_load_b32 s1, s[40:41], 0x0
	s_mov_b32 s3, 0
	v_lshrrev_b32_e32 v28, 4, v0
	s_waitcnt lgkmcnt(0)
	s_add_i32 s2, s1, s15
	s_delay_alu instid0(SALU_CYCLE_1) | instskip(NEXT) | instid1(SALU_CYCLE_1)
	s_lshl_b64 s[2:3], s[2:3], 2
	s_add_u32 s2, s42, s2
	s_addc_u32 s3, s43, s3
	s_and_b32 vcc_lo, exec_lo, s12
	s_load_b32 s2, s[2:3], 0x0
	s_cbranch_vccz .LBB242_37
; %bb.10:
	s_waitcnt lgkmcnt(0)
	s_ashr_i32 s3, s2, 31
	v_sub_co_u32 v9, s1, v28, s24
	s_lshl_b64 s[12:13], s[2:3], 3
	v_sub_co_ci_u32_e64 v10, null, 0, 0, s1
	s_add_u32 s12, s16, s12
	s_addc_u32 s13, s17, s13
	s_mov_b32 s1, exec_lo
	s_load_b128 s[40:43], s[12:13], 0x0
	s_waitcnt lgkmcnt(0)
	v_add_co_u32 v9, vcc_lo, s40, v9
	v_add_co_ci_u32_e32 v10, vcc_lo, s41, v10, vcc_lo
	s_sub_u32 s12, s42, s24
	s_subb_u32 s13, s43, 0
	s_delay_alu instid0(VALU_DEP_1) | instid1(SALU_CYCLE_1)
	v_cmpx_gt_i64_e64 s[12:13], v[9:10]
	s_cbranch_execz .LBB242_36
; %bb.11:
	v_and_b32_e32 v11, 15, v0
	s_mov_b32 s15, s25
	s_delay_alu instid0(VALU_DEP_1) | instskip(NEXT) | instid1(VALU_DEP_1)
	v_sub_co_u32 v29, s3, v11, s25
	v_sub_co_ci_u32_e64 v30, null, 0, 0, s3
	s_mov_b32 s3, 0
	s_branch .LBB242_13
.LBB242_12:                             ;   in Loop: Header=BB242_13 Depth=1
	s_or_b32 exec_lo, exec_lo, s16
	v_add_co_u32 v9, vcc_lo, v9, 8
	v_add_co_ci_u32_e32 v10, vcc_lo, 0, v10, vcc_lo
	s_delay_alu instid0(VALU_DEP_1) | instskip(SKIP_1) | instid1(SALU_CYCLE_1)
	v_cmp_le_i64_e32 vcc_lo, s[12:13], v[9:10]
	s_or_b32 s3, vcc_lo, s3
	s_and_not1_b32 exec_lo, exec_lo, s3
	s_cbranch_execz .LBB242_36
.LBB242_13:                             ; =>This Loop Header: Depth=1
                                        ;     Child Loop BB242_16 Depth 2
                                        ;       Child Loop BB242_18 Depth 3
                                        ;         Child Loop BB242_24 Depth 4
                                        ;         Child Loop BB242_26 Depth 4
	;; [unrolled: 1-line block ×4, first 2 shown]
	v_lshlrev_b64 v[11:12], 2, v[9:10]
	s_mov_b32 s16, exec_lo
	s_delay_alu instid0(VALU_DEP_1) | instskip(NEXT) | instid1(VALU_DEP_2)
	v_add_co_u32 v11, vcc_lo, s18, v11
	v_add_co_ci_u32_e32 v12, vcc_lo, s19, v12, vcc_lo
	global_load_b32 v11, v[11:12], off
	s_waitcnt vmcnt(0)
	v_subrev_nc_u32_e32 v11, s24, v11
	s_delay_alu instid0(VALU_DEP_1) | instskip(NEXT) | instid1(VALU_DEP_1)
	v_ashrrev_i32_e32 v12, 31, v11
	v_lshlrev_b64 v[11:12], 3, v[11:12]
	s_delay_alu instid0(VALU_DEP_1) | instskip(NEXT) | instid1(VALU_DEP_2)
	v_add_co_u32 v11, vcc_lo, s22, v11
	v_add_co_ci_u32_e32 v12, vcc_lo, s23, v12, vcc_lo
	global_load_b128 v[13:16], v[11:12], off
	s_waitcnt vmcnt(0)
	v_sub_co_u32 v11, vcc_lo, v15, s15
	v_subrev_co_ci_u32_e32 v12, vcc_lo, 0, v16, vcc_lo
	v_add_co_u32 v13, vcc_lo, v13, v29
	v_add_co_ci_u32_e32 v14, vcc_lo, v14, v30, vcc_lo
	s_delay_alu instid0(VALU_DEP_1)
	v_cmpx_lt_i64_e64 v[13:14], v[11:12]
	s_cbranch_execz .LBB242_12
; %bb.14:                               ;   in Loop: Header=BB242_13 Depth=1
	v_lshlrev_b64 v[15:16], 4, v[9:10]
	s_mov_b32 s17, 0
	s_delay_alu instid0(VALU_DEP_1) | instskip(NEXT) | instid1(VALU_DEP_2)
	v_add_co_u32 v15, vcc_lo, s20, v15
	v_add_co_ci_u32_e32 v16, vcc_lo, s21, v16, vcc_lo
	global_load_b128 v[17:20], v[15:16], off
	s_waitcnt vmcnt(0)
	v_mul_f64 v[15:16], v[19:20], -v[7:8]
	v_mul_f64 v[19:20], v[5:6], v[19:20]
	s_delay_alu instid0(VALU_DEP_2) | instskip(NEXT) | instid1(VALU_DEP_2)
	v_fma_f64 v[15:16], v[5:6], v[17:18], v[15:16]
	v_fma_f64 v[17:18], v[7:8], v[17:18], v[19:20]
	s_branch .LBB242_16
.LBB242_15:                             ;   in Loop: Header=BB242_16 Depth=2
	s_or_b32 exec_lo, exec_lo, s34
	v_add_co_u32 v13, vcc_lo, v13, 16
	v_add_co_ci_u32_e32 v14, vcc_lo, 0, v14, vcc_lo
	s_delay_alu instid0(VALU_DEP_1) | instskip(SKIP_1) | instid1(SALU_CYCLE_1)
	v_cmp_ge_i64_e32 vcc_lo, v[13:14], v[11:12]
	s_or_b32 s17, vcc_lo, s17
	s_and_not1_b32 exec_lo, exec_lo, s17
	s_cbranch_execz .LBB242_12
.LBB242_16:                             ;   Parent Loop BB242_13 Depth=1
                                        ; =>  This Loop Header: Depth=2
                                        ;       Child Loop BB242_18 Depth 3
                                        ;         Child Loop BB242_24 Depth 4
                                        ;         Child Loop BB242_26 Depth 4
	;; [unrolled: 1-line block ×4, first 2 shown]
	v_lshlrev_b64 v[19:20], 4, v[13:14]
	s_mov_b32 s34, 0
	s_delay_alu instid0(VALU_DEP_1) | instskip(NEXT) | instid1(VALU_DEP_2)
	v_add_co_u32 v19, vcc_lo, s38, v19
	v_add_co_ci_u32_e32 v20, vcc_lo, s39, v20, vcc_lo
	global_load_b128 v[21:24], v[19:20], off
	v_lshlrev_b64 v[19:20], 2, v[13:14]
	s_delay_alu instid0(VALU_DEP_1) | instskip(NEXT) | instid1(VALU_DEP_2)
	v_add_co_u32 v19, vcc_lo, s36, v19
	v_add_co_ci_u32_e32 v20, vcc_lo, s37, v20, vcc_lo
	global_load_b32 v31, v[19:20], off
	s_waitcnt vmcnt(1)
	v_mul_f64 v[19:20], v[23:24], -v[17:18]
	v_mul_f64 v[23:24], v[15:16], v[23:24]
	s_waitcnt vmcnt(0)
	v_subrev_nc_u32_e32 v31, s25, v31
	s_delay_alu instid0(VALU_DEP_3) | instskip(NEXT) | instid1(VALU_DEP_3)
	v_fma_f64 v[19:20], v[15:16], v[21:22], v[19:20]
	v_fma_f64 v[21:22], v[17:18], v[21:22], v[23:24]
	s_delay_alu instid0(VALU_DEP_3) | instskip(NEXT) | instid1(VALU_DEP_1)
	v_mul_lo_u32 v23, 0x89, v31
	v_and_b32_e32 v32, 0xff, v23
	s_branch .LBB242_18
.LBB242_17:                             ;   in Loop: Header=BB242_18 Depth=3
	s_or_b32 exec_lo, exec_lo, s35
	s_xor_b32 s35, s40, -1
	s_delay_alu instid0(SALU_CYCLE_1) | instskip(NEXT) | instid1(SALU_CYCLE_1)
	s_and_b32 s35, exec_lo, s35
	s_or_b32 s34, s35, s34
	s_delay_alu instid0(SALU_CYCLE_1)
	s_and_not1_b32 exec_lo, exec_lo, s34
	s_cbranch_execz .LBB242_15
.LBB242_18:                             ;   Parent Loop BB242_13 Depth=1
                                        ;     Parent Loop BB242_16 Depth=2
                                        ; =>    This Loop Header: Depth=3
                                        ;         Child Loop BB242_24 Depth 4
                                        ;         Child Loop BB242_26 Depth 4
	;; [unrolled: 1-line block ×4, first 2 shown]
	s_delay_alu instid0(VALU_DEP_1)
	v_lshl_add_u32 v23, v32, 2, 0
	s_mov_b32 s35, exec_lo
                                        ; implicit-def: $sgpr40
	ds_load_b32 v24, v23
	s_waitcnt lgkmcnt(0)
	v_cmpx_ne_u32_e64 v24, v31
	s_xor_b32 s35, exec_lo, s35
	s_cbranch_execz .LBB242_30
; %bb.19:                               ;   in Loop: Header=BB242_18 Depth=3
	s_mov_b32 s41, exec_lo
                                        ; implicit-def: $sgpr40
	v_cmpx_ne_u32_e64 s14, v24
	s_xor_b32 s41, exec_lo, s41
; %bb.20:                               ;   in Loop: Header=BB242_18 Depth=3
	v_add_nc_u32_e32 v23, 1, v32
	s_mov_b32 s40, -1
	s_delay_alu instid0(VALU_DEP_1)
	v_and_b32_e32 v32, 0xff, v23
                                        ; implicit-def: $vgpr23
; %bb.21:                               ;   in Loop: Header=BB242_18 Depth=3
	s_and_not1_saveexec_b32 s41, s41
	s_cbranch_execz .LBB242_29
; %bb.22:                               ;   in Loop: Header=BB242_18 Depth=3
	v_mov_b32_e32 v24, s14
	s_mov_b32 s43, -1
	s_mov_b32 s42, exec_lo
	ds_cmpstore_rtn_b32 v24, v23, v31, v24
	s_waitcnt lgkmcnt(0)
	v_cmpx_eq_u32_e64 s14, v24
	s_cbranch_execz .LBB242_28
; %bb.23:                               ;   in Loop: Header=BB242_18 Depth=3
	v_mul_lo_u32 v24, v32, 12
	s_mov_b32 s43, 0
	s_delay_alu instid0(VALU_DEP_1)
	v_add_nc_u32_e32 v33, v23, v24
	ds_load_b64 v[23:24], v33 offset:1024
.LBB242_24:                             ;   Parent Loop BB242_13 Depth=1
                                        ;     Parent Loop BB242_16 Depth=2
                                        ;       Parent Loop BB242_18 Depth=3
                                        ; =>      This Inner Loop Header: Depth=4
	s_waitcnt lgkmcnt(0)
	v_add_f64 v[34:35], v[23:24], v[19:20]
	ds_cmpstore_rtn_b64 v[34:35], v33, v[34:35], v[23:24] offset:1024
	s_waitcnt lgkmcnt(0)
	v_cmp_eq_u64_e32 vcc_lo, v[34:35], v[23:24]
	v_dual_mov_b32 v23, v34 :: v_dual_mov_b32 v24, v35
	s_or_b32 s43, vcc_lo, s43
	s_delay_alu instid0(SALU_CYCLE_1)
	s_and_not1_b32 exec_lo, exec_lo, s43
	s_cbranch_execnz .LBB242_24
; %bb.25:                               ;   in Loop: Header=BB242_18 Depth=3
	s_or_b32 exec_lo, exec_lo, s43
	ds_load_b64 v[23:24], v33 offset:1032
	s_mov_b32 s43, 0
.LBB242_26:                             ;   Parent Loop BB242_13 Depth=1
                                        ;     Parent Loop BB242_16 Depth=2
                                        ;       Parent Loop BB242_18 Depth=3
                                        ; =>      This Inner Loop Header: Depth=4
	s_waitcnt lgkmcnt(0)
	v_add_f64 v[34:35], v[23:24], v[21:22]
	ds_cmpstore_rtn_b64 v[34:35], v33, v[34:35], v[23:24] offset:1032
	s_waitcnt lgkmcnt(0)
	v_cmp_eq_u64_e32 vcc_lo, v[34:35], v[23:24]
	v_dual_mov_b32 v23, v34 :: v_dual_mov_b32 v24, v35
	s_or_b32 s43, vcc_lo, s43
	s_delay_alu instid0(SALU_CYCLE_1)
	s_and_not1_b32 exec_lo, exec_lo, s43
	s_cbranch_execnz .LBB242_26
; %bb.27:                               ;   in Loop: Header=BB242_18 Depth=3
	s_or_b32 exec_lo, exec_lo, s43
	s_delay_alu instid0(SALU_CYCLE_1)
	s_xor_b32 s43, exec_lo, -1
.LBB242_28:                             ;   in Loop: Header=BB242_18 Depth=3
	s_or_b32 exec_lo, exec_lo, s42
	s_delay_alu instid0(SALU_CYCLE_1) | instskip(SKIP_1) | instid1(SALU_CYCLE_1)
	s_and_not1_b32 s40, s40, exec_lo
	s_and_b32 s42, s43, exec_lo
	s_or_b32 s40, s40, s42
.LBB242_29:                             ;   in Loop: Header=BB242_18 Depth=3
	s_or_b32 exec_lo, exec_lo, s41
	s_delay_alu instid0(SALU_CYCLE_1)
	s_and_b32 s40, s40, exec_lo
                                        ; implicit-def: $vgpr23
.LBB242_30:                             ;   in Loop: Header=BB242_18 Depth=3
	s_and_not1_saveexec_b32 s35, s35
	s_cbranch_execz .LBB242_17
; %bb.31:                               ;   in Loop: Header=BB242_18 Depth=3
	v_mul_lo_u32 v24, v32, 12
	s_mov_b32 s41, 0
	s_delay_alu instid0(VALU_DEP_1)
	v_add_nc_u32_e32 v33, v23, v24
	ds_load_b64 v[23:24], v33 offset:1024
.LBB242_32:                             ;   Parent Loop BB242_13 Depth=1
                                        ;     Parent Loop BB242_16 Depth=2
                                        ;       Parent Loop BB242_18 Depth=3
                                        ; =>      This Inner Loop Header: Depth=4
	s_waitcnt lgkmcnt(0)
	v_add_f64 v[34:35], v[23:24], v[19:20]
	ds_cmpstore_rtn_b64 v[34:35], v33, v[34:35], v[23:24] offset:1024
	s_waitcnt lgkmcnt(0)
	v_cmp_eq_u64_e32 vcc_lo, v[34:35], v[23:24]
	v_dual_mov_b32 v23, v34 :: v_dual_mov_b32 v24, v35
	s_or_b32 s41, vcc_lo, s41
	s_delay_alu instid0(SALU_CYCLE_1)
	s_and_not1_b32 exec_lo, exec_lo, s41
	s_cbranch_execnz .LBB242_32
; %bb.33:                               ;   in Loop: Header=BB242_18 Depth=3
	s_or_b32 exec_lo, exec_lo, s41
	ds_load_b64 v[23:24], v33 offset:1032
	s_mov_b32 s41, 0
.LBB242_34:                             ;   Parent Loop BB242_13 Depth=1
                                        ;     Parent Loop BB242_16 Depth=2
                                        ;       Parent Loop BB242_18 Depth=3
                                        ; =>      This Inner Loop Header: Depth=4
	s_waitcnt lgkmcnt(0)
	v_add_f64 v[34:35], v[23:24], v[21:22]
	ds_cmpstore_rtn_b64 v[34:35], v33, v[34:35], v[23:24] offset:1032
	s_waitcnt lgkmcnt(0)
	v_cmp_eq_u64_e32 vcc_lo, v[34:35], v[23:24]
	v_dual_mov_b32 v23, v34 :: v_dual_mov_b32 v24, v35
	s_or_b32 s41, vcc_lo, s41
	s_delay_alu instid0(SALU_CYCLE_1)
	s_and_not1_b32 exec_lo, exec_lo, s41
	s_cbranch_execnz .LBB242_34
; %bb.35:                               ;   in Loop: Header=BB242_18 Depth=3
	s_or_b32 exec_lo, exec_lo, s41
	s_delay_alu instid0(SALU_CYCLE_1)
	s_and_not1_b32 s40, s40, exec_lo
	s_branch .LBB242_17
.LBB242_36:
	s_or_b32 exec_lo, exec_lo, s1
.LBB242_37:
	s_delay_alu instid0(SALU_CYCLE_1)
	s_and_not1_b32 vcc_lo, exec_lo, s33
	s_cbranch_vccnz .LBB242_40
; %bb.38:
	s_waitcnt lgkmcnt(0)
	s_ashr_i32 s3, s2, 31
	v_sub_co_u32 v5, s1, v0, s27
	s_lshl_b64 s[12:13], s[2:3], 3
	v_sub_co_ci_u32_e64 v6, null, 0, 0, s1
	s_add_u32 s4, s4, s12
	s_addc_u32 s5, s5, s13
	s_mov_b32 s3, 0
	s_load_b128 s[16:19], s[4:5], 0x0
	s_mov_b32 s1, exec_lo
	s_waitcnt lgkmcnt(0)
	v_add_co_u32 v5, vcc_lo, s16, v5
	v_add_co_ci_u32_e32 v6, vcc_lo, s17, v6, vcc_lo
	s_sub_u32 s4, s18, s27
	s_subb_u32 s5, s19, 0
	s_delay_alu instid0(VALU_DEP_1) | instid1(SALU_CYCLE_1)
	v_cmpx_gt_i64_e64 s[4:5], v[5:6]
	s_cbranch_execnz .LBB242_50
.LBB242_39:
	s_or_b32 exec_lo, exec_lo, s1
.LBB242_40:
	s_waitcnt lgkmcnt(0)
	s_barrier
	buffer_gl0_inv
	s_and_saveexec_b32 s3, s0
	s_cbranch_execz .LBB242_70
; %bb.41:
	v_mbcnt_lo_u32_b32 v1, -1, 0
	v_dual_mov_b32 v5, 0 :: v_dual_and_b32 v2, 4, v28
	v_cmp_lt_u32_e32 vcc_lo, 63, v0
	v_cmp_eq_u32_e64 s0, 0x7f, v0
	s_delay_alu instid0(VALU_DEP_4) | instskip(NEXT) | instid1(VALU_DEP_4)
	v_xor_b32_e32 v1, 63, v1
	v_add_nc_u32_e32 v4, 0, v2
	v_add3_u32 v3, v27, 0, 0x400
	s_mov_b32 s4, 0
	s_delay_alu instid0(VALU_DEP_3)
	v_lshrrev_b64 v[1:2], v1, -1
	v_mov_b32_e32 v2, 0
	s_branch .LBB242_43
.LBB242_42:                             ;   in Loop: Header=BB242_43 Depth=1
	s_or_b32 exec_lo, exec_lo, s1
	s_waitcnt lgkmcnt(0)
	s_barrier
	buffer_gl0_inv
	ds_load_b32 v6, v2 offset:5124
	v_add_co_u32 v25, s1, 0x80, v25
	s_delay_alu instid0(VALU_DEP_1) | instskip(SKIP_3) | instid1(SALU_CYCLE_1)
	s_xor_b32 s1, s1, -1
	v_add_nc_u32_e32 v3, 0x800, v3
	v_add_nc_u32_e32 v26, 0x200, v26
	s_and_b32 s1, exec_lo, s1
	s_or_b32 s4, s1, s4
	s_waitcnt lgkmcnt(0)
	v_add_nc_u32_e32 v5, v6, v5
	s_and_not1_b32 exec_lo, exec_lo, s4
	s_cbranch_execz .LBB242_70
.LBB242_43:                             ; =>This Inner Loop Header: Depth=1
	ds_load_b32 v6, v26
	ds_load_2addr_b64 v[7:10], v3 offset1:1
	s_waitcnt lgkmcnt(1)
	v_cmp_gt_i32_e64 s1, s14, v6
	s_waitcnt lgkmcnt(0)
	scratch_store_b128 off, v[7:10], off
	s_waitcnt_vscnt null, 0x0
	s_barrier
	buffer_gl0_inv
	s_bcnt1_i32_b32 s5, s1
	s_delay_alu instid0(SALU_CYCLE_1) | instskip(NEXT) | instid1(VALU_DEP_1)
	v_dual_mov_b32 v8, s5 :: v_dual_and_b32 v7, s1, v1
	v_bcnt_u32_b32 v7, v7, 0
	ds_store_b32 v4, v8 offset:5120
	s_waitcnt lgkmcnt(0)
	s_barrier
	buffer_gl0_inv
	s_and_saveexec_b32 s5, vcc_lo
	s_cbranch_execnz .LBB242_46
; %bb.44:                               ;   in Loop: Header=BB242_43 Depth=1
	s_or_b32 exec_lo, exec_lo, s5
	s_and_saveexec_b32 s5, s1
	s_cbranch_execnz .LBB242_47
.LBB242_45:                             ;   in Loop: Header=BB242_43 Depth=1
	s_or_b32 exec_lo, exec_lo, s5
	s_and_saveexec_b32 s1, s0
	s_cbranch_execz .LBB242_42
	s_branch .LBB242_48
.LBB242_46:                             ;   in Loop: Header=BB242_43 Depth=1
	ds_load_b32 v8, v2 offset:5120
	s_waitcnt lgkmcnt(0)
	v_add_nc_u32_e32 v7, v8, v7
	s_or_b32 exec_lo, exec_lo, s5
	s_and_saveexec_b32 s5, s1
	s_cbranch_execz .LBB242_45
.LBB242_47:                             ;   in Loop: Header=BB242_43 Depth=1
	scratch_load_b128 v[8:11], off, off
	v_add3_u32 v12, v5, -1, v7
	s_delay_alu instid0(VALU_DEP_1)
	v_lshl_add_u32 v13, v12, 2, 0
	v_lshl_add_u32 v12, v12, 4, 0
	ds_store_b32 v13, v6
	s_waitcnt vmcnt(0)
	ds_store_2addr_b64 v12, v[8:9], v[10:11] offset0:128 offset1:129
	s_or_b32 exec_lo, exec_lo, s5
	s_and_saveexec_b32 s1, s0
	s_cbranch_execz .LBB242_42
.LBB242_48:                             ;   in Loop: Header=BB242_43 Depth=1
	ds_store_b32 v2, v7 offset:5124
	s_branch .LBB242_42
.LBB242_49:                             ;   in Loop: Header=BB242_50 Depth=1
	s_or_b32 exec_lo, exec_lo, s12
	v_add_co_u32 v5, vcc_lo, 0x80, v5
	v_add_co_ci_u32_e32 v6, vcc_lo, 0, v6, vcc_lo
	s_delay_alu instid0(VALU_DEP_1) | instskip(SKIP_1) | instid1(SALU_CYCLE_1)
	v_cmp_le_i64_e32 vcc_lo, s[4:5], v[5:6]
	s_or_b32 s3, vcc_lo, s3
	s_and_not1_b32 exec_lo, exec_lo, s3
	s_cbranch_execz .LBB242_39
.LBB242_50:                             ; =>This Loop Header: Depth=1
                                        ;     Child Loop BB242_52 Depth 2
                                        ;       Child Loop BB242_58 Depth 3
                                        ;       Child Loop BB242_60 Depth 3
	;; [unrolled: 1-line block ×4, first 2 shown]
	v_lshlrev_b64 v[7:8], 4, v[5:6]
	s_mov_b32 s12, 0
	s_delay_alu instid0(VALU_DEP_1) | instskip(NEXT) | instid1(VALU_DEP_2)
	v_add_co_u32 v7, vcc_lo, s8, v7
	v_add_co_ci_u32_e32 v8, vcc_lo, s9, v8, vcc_lo
	global_load_b128 v[9:12], v[7:8], off
	v_lshlrev_b64 v[7:8], 2, v[5:6]
	s_delay_alu instid0(VALU_DEP_1) | instskip(NEXT) | instid1(VALU_DEP_2)
	v_add_co_u32 v7, vcc_lo, s6, v7
	v_add_co_ci_u32_e32 v8, vcc_lo, s7, v8, vcc_lo
	global_load_b32 v13, v[7:8], off
	s_waitcnt vmcnt(1)
	v_mul_f64 v[7:8], v[11:12], -v[1:2]
	v_mul_f64 v[11:12], v[3:4], v[11:12]
	s_waitcnt vmcnt(0)
	v_subrev_nc_u32_e32 v13, s27, v13
	s_delay_alu instid0(VALU_DEP_3) | instskip(NEXT) | instid1(VALU_DEP_3)
	v_fma_f64 v[7:8], v[3:4], v[9:10], v[7:8]
	v_fma_f64 v[9:10], v[1:2], v[9:10], v[11:12]
	s_delay_alu instid0(VALU_DEP_3) | instskip(NEXT) | instid1(VALU_DEP_1)
	v_mul_lo_u32 v11, 0x89, v13
	v_and_b32_e32 v14, 0xff, v11
	s_branch .LBB242_52
.LBB242_51:                             ;   in Loop: Header=BB242_52 Depth=2
	s_or_b32 exec_lo, exec_lo, s13
	s_xor_b32 s13, s15, -1
	s_delay_alu instid0(SALU_CYCLE_1) | instskip(NEXT) | instid1(SALU_CYCLE_1)
	s_and_b32 s13, exec_lo, s13
	s_or_b32 s12, s13, s12
	s_delay_alu instid0(SALU_CYCLE_1)
	s_and_not1_b32 exec_lo, exec_lo, s12
	s_cbranch_execz .LBB242_49
.LBB242_52:                             ;   Parent Loop BB242_50 Depth=1
                                        ; =>  This Loop Header: Depth=2
                                        ;       Child Loop BB242_58 Depth 3
                                        ;       Child Loop BB242_60 Depth 3
	;; [unrolled: 1-line block ×4, first 2 shown]
	s_delay_alu instid0(VALU_DEP_1)
	v_lshl_add_u32 v11, v14, 2, 0
	s_mov_b32 s13, exec_lo
                                        ; implicit-def: $sgpr15
	ds_load_b32 v12, v11
	s_waitcnt lgkmcnt(0)
	v_cmpx_ne_u32_e64 v12, v13
	s_xor_b32 s13, exec_lo, s13
	s_cbranch_execz .LBB242_64
; %bb.53:                               ;   in Loop: Header=BB242_52 Depth=2
	s_mov_b32 s16, exec_lo
                                        ; implicit-def: $sgpr15
	v_cmpx_ne_u32_e64 s14, v12
	s_xor_b32 s16, exec_lo, s16
; %bb.54:                               ;   in Loop: Header=BB242_52 Depth=2
	v_add_nc_u32_e32 v11, 1, v14
	s_mov_b32 s15, -1
	s_delay_alu instid0(VALU_DEP_1)
	v_and_b32_e32 v14, 0xff, v11
                                        ; implicit-def: $vgpr11
; %bb.55:                               ;   in Loop: Header=BB242_52 Depth=2
	s_and_not1_saveexec_b32 s16, s16
	s_cbranch_execz .LBB242_63
; %bb.56:                               ;   in Loop: Header=BB242_52 Depth=2
	v_mov_b32_e32 v12, s14
	s_mov_b32 s18, -1
	s_mov_b32 s17, exec_lo
	ds_cmpstore_rtn_b32 v12, v11, v13, v12
	s_waitcnt lgkmcnt(0)
	v_cmpx_eq_u32_e64 s14, v12
	s_cbranch_execz .LBB242_62
; %bb.57:                               ;   in Loop: Header=BB242_52 Depth=2
	v_mul_lo_u32 v12, v14, 12
	s_mov_b32 s18, 0
	s_delay_alu instid0(VALU_DEP_1)
	v_add_nc_u32_e32 v15, v11, v12
	ds_load_b64 v[11:12], v15 offset:1024
.LBB242_58:                             ;   Parent Loop BB242_50 Depth=1
                                        ;     Parent Loop BB242_52 Depth=2
                                        ; =>    This Inner Loop Header: Depth=3
	s_waitcnt lgkmcnt(0)
	v_add_f64 v[16:17], v[11:12], v[7:8]
	ds_cmpstore_rtn_b64 v[16:17], v15, v[16:17], v[11:12] offset:1024
	s_waitcnt lgkmcnt(0)
	v_cmp_eq_u64_e32 vcc_lo, v[16:17], v[11:12]
	v_dual_mov_b32 v11, v16 :: v_dual_mov_b32 v12, v17
	s_or_b32 s18, vcc_lo, s18
	s_delay_alu instid0(SALU_CYCLE_1)
	s_and_not1_b32 exec_lo, exec_lo, s18
	s_cbranch_execnz .LBB242_58
; %bb.59:                               ;   in Loop: Header=BB242_52 Depth=2
	s_or_b32 exec_lo, exec_lo, s18
	ds_load_b64 v[11:12], v15 offset:1032
	s_mov_b32 s18, 0
.LBB242_60:                             ;   Parent Loop BB242_50 Depth=1
                                        ;     Parent Loop BB242_52 Depth=2
                                        ; =>    This Inner Loop Header: Depth=3
	s_waitcnt lgkmcnt(0)
	v_add_f64 v[16:17], v[11:12], v[9:10]
	ds_cmpstore_rtn_b64 v[16:17], v15, v[16:17], v[11:12] offset:1032
	s_waitcnt lgkmcnt(0)
	v_cmp_eq_u64_e32 vcc_lo, v[16:17], v[11:12]
	v_dual_mov_b32 v11, v16 :: v_dual_mov_b32 v12, v17
	s_or_b32 s18, vcc_lo, s18
	s_delay_alu instid0(SALU_CYCLE_1)
	s_and_not1_b32 exec_lo, exec_lo, s18
	s_cbranch_execnz .LBB242_60
; %bb.61:                               ;   in Loop: Header=BB242_52 Depth=2
	s_or_b32 exec_lo, exec_lo, s18
	s_delay_alu instid0(SALU_CYCLE_1)
	s_xor_b32 s18, exec_lo, -1
.LBB242_62:                             ;   in Loop: Header=BB242_52 Depth=2
	s_or_b32 exec_lo, exec_lo, s17
	s_delay_alu instid0(SALU_CYCLE_1) | instskip(SKIP_1) | instid1(SALU_CYCLE_1)
	s_and_not1_b32 s15, s15, exec_lo
	s_and_b32 s17, s18, exec_lo
	s_or_b32 s15, s15, s17
.LBB242_63:                             ;   in Loop: Header=BB242_52 Depth=2
	s_or_b32 exec_lo, exec_lo, s16
	s_delay_alu instid0(SALU_CYCLE_1)
	s_and_b32 s15, s15, exec_lo
                                        ; implicit-def: $vgpr11
.LBB242_64:                             ;   in Loop: Header=BB242_52 Depth=2
	s_and_not1_saveexec_b32 s13, s13
	s_cbranch_execz .LBB242_51
; %bb.65:                               ;   in Loop: Header=BB242_52 Depth=2
	v_mul_lo_u32 v12, v14, 12
	s_mov_b32 s16, 0
	s_delay_alu instid0(VALU_DEP_1)
	v_add_nc_u32_e32 v15, v11, v12
	ds_load_b64 v[11:12], v15 offset:1024
.LBB242_66:                             ;   Parent Loop BB242_50 Depth=1
                                        ;     Parent Loop BB242_52 Depth=2
                                        ; =>    This Inner Loop Header: Depth=3
	s_waitcnt lgkmcnt(0)
	v_add_f64 v[16:17], v[11:12], v[7:8]
	ds_cmpstore_rtn_b64 v[16:17], v15, v[16:17], v[11:12] offset:1024
	s_waitcnt lgkmcnt(0)
	v_cmp_eq_u64_e32 vcc_lo, v[16:17], v[11:12]
	v_dual_mov_b32 v11, v16 :: v_dual_mov_b32 v12, v17
	s_or_b32 s16, vcc_lo, s16
	s_delay_alu instid0(SALU_CYCLE_1)
	s_and_not1_b32 exec_lo, exec_lo, s16
	s_cbranch_execnz .LBB242_66
; %bb.67:                               ;   in Loop: Header=BB242_52 Depth=2
	s_or_b32 exec_lo, exec_lo, s16
	ds_load_b64 v[11:12], v15 offset:1032
	s_mov_b32 s16, 0
.LBB242_68:                             ;   Parent Loop BB242_50 Depth=1
                                        ;     Parent Loop BB242_52 Depth=2
                                        ; =>    This Inner Loop Header: Depth=3
	s_waitcnt lgkmcnt(0)
	v_add_f64 v[16:17], v[11:12], v[9:10]
	ds_cmpstore_rtn_b64 v[16:17], v15, v[16:17], v[11:12] offset:1032
	s_waitcnt lgkmcnt(0)
	v_cmp_eq_u64_e32 vcc_lo, v[16:17], v[11:12]
	v_dual_mov_b32 v11, v16 :: v_dual_mov_b32 v12, v17
	s_or_b32 s16, vcc_lo, s16
	s_delay_alu instid0(SALU_CYCLE_1)
	s_and_not1_b32 exec_lo, exec_lo, s16
	s_cbranch_execnz .LBB242_68
; %bb.69:                               ;   in Loop: Header=BB242_52 Depth=2
	s_or_b32 exec_lo, exec_lo, s16
	s_delay_alu instid0(SALU_CYCLE_1)
	s_and_not1_b32 s15, s15, exec_lo
	s_branch .LBB242_51
.LBB242_70:
	s_or_b32 exec_lo, exec_lo, s3
	s_ashr_i32 s3, s2, 31
	s_mov_b32 s4, exec_lo
	s_lshl_b64 s[0:1], s[2:3], 3
	s_delay_alu instid0(SALU_CYCLE_1) | instskip(SKIP_4) | instid1(SALU_CYCLE_1)
	s_add_u32 s0, s10, s0
	s_addc_u32 s1, s11, s1
	s_load_b128 s[0:3], s[0:1], 0x0
	s_waitcnt lgkmcnt(0)
	s_sub_i32 s3, s2, s0
	v_cmpx_gt_i32_e64 s3, v0
	s_cbranch_execz .LBB242_80
; %bb.71:
	s_sub_u32 s4, s0, s26
	s_subb_u32 s5, s1, 0
	s_sub_i32 s0, s0, s2
	s_and_b32 s1, s3, 7
	s_cmp_lt_u32 s0, -7
	s_mov_b32 s8, 0
	s_cselect_b32 s2, -1, 0
	s_and_b32 s6, s3, -8
	s_cmp_lg_u32 s1, 0
	s_cselect_b32 s7, -1, 0
	s_branch .LBB242_73
.LBB242_72:                             ;   in Loop: Header=BB242_73 Depth=1
	s_delay_alu instid0(VALU_DEP_2) | instskip(NEXT) | instid1(VALU_DEP_2)
	v_mad_u64_u32 v[5:6], null, v0, 12, v[1:2]
	v_lshlrev_b64 v[9:10], 2, v[2:3]
	v_lshlrev_b64 v[1:2], 4, v[2:3]
	v_add_nc_u32_e32 v0, 0x80, v0
	s_waitcnt lgkmcnt(0)
	v_add_nc_u32_e32 v11, s26, v4
	s_delay_alu instid0(VALU_DEP_4) | instskip(SKIP_4) | instid1(VALU_DEP_1)
	v_add_co_u32 v3, vcc_lo, s28, v9
	ds_load_2addr_b64 v[5:8], v5 offset0:128 offset1:129
	v_add_co_ci_u32_e32 v4, vcc_lo, s29, v10, vcc_lo
	v_cmp_le_i32_e32 vcc_lo, s3, v0
	v_add_co_u32 v1, s0, s30, v1
	v_add_co_ci_u32_e64 v2, s0, s31, v2, s0
	s_or_b32 s8, vcc_lo, s8
	global_store_b32 v[3:4], v11, off
	s_waitcnt lgkmcnt(0)
	global_store_b128 v[1:2], v[5:8], off
	s_and_not1_b32 exec_lo, exec_lo, s8
	s_cbranch_execz .LBB242_80
.LBB242_73:                             ; =>This Loop Header: Depth=1
                                        ;     Child Loop BB242_75 Depth 2
                                        ;     Child Loop BB242_79 Depth 2
	v_lshl_add_u32 v1, v0, 2, 0
	v_dual_mov_b32 v2, s4 :: v_dual_mov_b32 v3, s5
	s_and_not1_b32 vcc_lo, exec_lo, s2
	s_mov_b32 s0, 0
	ds_load_b32 v4, v1
	s_cbranch_vccnz .LBB242_77
; %bb.74:                               ;   in Loop: Header=BB242_73 Depth=1
	v_dual_mov_b32 v2, s4 :: v_dual_mov_b32 v3, s5
	s_mov_b32 s9, 0
	s_mov_b32 s10, 0
.LBB242_75:                             ;   Parent Loop BB242_73 Depth=1
                                        ; =>  This Inner Loop Header: Depth=2
	s_delay_alu instid0(SALU_CYCLE_1)
	v_mov_b32_e32 v11, s10
	s_add_i32 s9, s9, 8
	s_add_i32 s10, s10, 32
	s_cmp_eq_u32 s6, s9
	ds_load_2addr_b32 v[5:6], v11 offset1:1
	ds_load_2addr_b32 v[7:8], v11 offset0:2 offset1:3
	ds_load_2addr_b32 v[9:10], v11 offset0:4 offset1:5
	;; [unrolled: 1-line block ×3, first 2 shown]
	s_waitcnt lgkmcnt(3)
	v_cmp_gt_i32_e32 vcc_lo, v4, v5
	v_cndmask_b32_e64 v5, 0, 1, vcc_lo
	v_cmp_gt_i32_e32 vcc_lo, v4, v6
	v_cndmask_b32_e64 v6, 0, 1, vcc_lo
	s_waitcnt lgkmcnt(2)
	v_cmp_gt_i32_e32 vcc_lo, v4, v7
	v_cndmask_b32_e64 v7, 0, 1, vcc_lo
	v_cmp_gt_i32_e32 vcc_lo, v4, v8
	v_cndmask_b32_e64 v8, 0, 1, vcc_lo
	s_waitcnt lgkmcnt(1)
	v_cmp_gt_i32_e32 vcc_lo, v4, v9
	v_cndmask_b32_e64 v9, 0, 1, vcc_lo
	v_add_co_u32 v2, vcc_lo, v2, v5
	v_add_co_ci_u32_e32 v3, vcc_lo, 0, v3, vcc_lo
	v_cmp_gt_i32_e32 vcc_lo, v4, v10
	s_delay_alu instid0(VALU_DEP_3) | instskip(NEXT) | instid1(VALU_DEP_1)
	v_add_co_u32 v2, s0, v2, v6
	v_add_co_ci_u32_e64 v3, s0, 0, v3, s0
	v_cndmask_b32_e64 v5, 0, 1, vcc_lo
	s_delay_alu instid0(VALU_DEP_3) | instskip(NEXT) | instid1(VALU_DEP_3)
	v_add_co_u32 v2, vcc_lo, v2, v7
	v_add_co_ci_u32_e32 v3, vcc_lo, 0, v3, vcc_lo
	s_waitcnt lgkmcnt(0)
	v_cmp_gt_i32_e32 vcc_lo, v4, v11
	s_delay_alu instid0(VALU_DEP_3) | instskip(NEXT) | instid1(VALU_DEP_1)
	v_add_co_u32 v2, s0, v2, v8
	v_add_co_ci_u32_e64 v3, s0, 0, v3, s0
	v_cndmask_b32_e64 v6, 0, 1, vcc_lo
	s_delay_alu instid0(VALU_DEP_3) | instskip(NEXT) | instid1(VALU_DEP_3)
	v_add_co_u32 v2, vcc_lo, v2, v9
	v_add_co_ci_u32_e32 v3, vcc_lo, 0, v3, vcc_lo
	v_cmp_gt_i32_e32 vcc_lo, v4, v12
	s_delay_alu instid0(VALU_DEP_3) | instskip(NEXT) | instid1(VALU_DEP_1)
	v_add_co_u32 v2, s0, v2, v5
	v_add_co_ci_u32_e64 v3, s0, 0, v3, s0
	v_cndmask_b32_e64 v5, 0, 1, vcc_lo
	s_delay_alu instid0(VALU_DEP_3) | instskip(NEXT) | instid1(VALU_DEP_3)
	v_add_co_u32 v2, vcc_lo, v2, v6
	v_add_co_ci_u32_e32 v3, vcc_lo, 0, v3, vcc_lo
	s_delay_alu instid0(VALU_DEP_2) | instskip(NEXT) | instid1(VALU_DEP_2)
	v_add_co_u32 v2, vcc_lo, v2, v5
	v_add_co_ci_u32_e32 v3, vcc_lo, 0, v3, vcc_lo
	s_cbranch_scc0 .LBB242_75
; %bb.76:                               ;   in Loop: Header=BB242_73 Depth=1
	s_mov_b32 s0, s6
.LBB242_77:                             ;   in Loop: Header=BB242_73 Depth=1
	s_and_not1_b32 vcc_lo, exec_lo, s7
	s_cbranch_vccnz .LBB242_72
; %bb.78:                               ;   in Loop: Header=BB242_73 Depth=1
	s_lshl_b32 s0, s0, 2
	s_mov_b32 s9, s1
	s_add_i32 s0, s0, 0
.LBB242_79:                             ;   Parent Loop BB242_73 Depth=1
                                        ; =>  This Inner Loop Header: Depth=2
	s_delay_alu instid0(SALU_CYCLE_1)
	v_mov_b32_e32 v5, s0
	s_add_i32 s9, s9, -1
	s_add_i32 s0, s0, 4
	s_cmp_lg_u32 s9, 0
	ds_load_b32 v5, v5
	s_waitcnt lgkmcnt(0)
	v_cmp_gt_i32_e32 vcc_lo, v4, v5
	v_cndmask_b32_e64 v5, 0, 1, vcc_lo
	s_delay_alu instid0(VALU_DEP_1)
	v_add_co_u32 v2, vcc_lo, v2, v5
	v_add_co_ci_u32_e32 v3, vcc_lo, 0, v3, vcc_lo
	s_cbranch_scc1 .LBB242_79
	s_branch .LBB242_72
.LBB242_80:
	s_nop 0
	s_sendmsg sendmsg(MSG_DEALLOC_VGPRS)
	s_endpgm
	.section	.rodata,"a",@progbits
	.p2align	6, 0x0
	.amdhsa_kernel _ZN9rocsparseL26csrgemm_fill_block_per_rowILj128ELj16ELj256ELj137ELj64Eli21rocsparse_complex_numIdEEEvT5_PKS3_S5_NS_24const_host_device_scalarIT6_EEPKT4_S5_PKS7_SB_S5_SD_S8_SB_S5_SD_SB_PS3_PS7_21rocsparse_index_base_SG_SG_SG_bbb
		.amdhsa_group_segment_fixed_size 0
		.amdhsa_private_segment_fixed_size 40
		.amdhsa_kernarg_size 172
		.amdhsa_user_sgpr_count 15
		.amdhsa_user_sgpr_dispatch_ptr 0
		.amdhsa_user_sgpr_queue_ptr 0
		.amdhsa_user_sgpr_kernarg_segment_ptr 1
		.amdhsa_user_sgpr_dispatch_id 0
		.amdhsa_user_sgpr_private_segment_size 0
		.amdhsa_wavefront_size32 1
		.amdhsa_uses_dynamic_stack 0
		.amdhsa_enable_private_segment 1
		.amdhsa_system_sgpr_workgroup_id_x 1
		.amdhsa_system_sgpr_workgroup_id_y 0
		.amdhsa_system_sgpr_workgroup_id_z 0
		.amdhsa_system_sgpr_workgroup_info 0
		.amdhsa_system_vgpr_workitem_id 0
		.amdhsa_next_free_vgpr 36
		.amdhsa_next_free_sgpr 44
		.amdhsa_reserve_vcc 1
		.amdhsa_float_round_mode_32 0
		.amdhsa_float_round_mode_16_64 0
		.amdhsa_float_denorm_mode_32 3
		.amdhsa_float_denorm_mode_16_64 3
		.amdhsa_dx10_clamp 1
		.amdhsa_ieee_mode 1
		.amdhsa_fp16_overflow 0
		.amdhsa_workgroup_processor_mode 1
		.amdhsa_memory_ordered 1
		.amdhsa_forward_progress 0
		.amdhsa_shared_vgpr_count 0
		.amdhsa_exception_fp_ieee_invalid_op 0
		.amdhsa_exception_fp_denorm_src 0
		.amdhsa_exception_fp_ieee_div_zero 0
		.amdhsa_exception_fp_ieee_overflow 0
		.amdhsa_exception_fp_ieee_underflow 0
		.amdhsa_exception_fp_ieee_inexact 0
		.amdhsa_exception_int_div_zero 0
	.end_amdhsa_kernel
	.section	.text._ZN9rocsparseL26csrgemm_fill_block_per_rowILj128ELj16ELj256ELj137ELj64Eli21rocsparse_complex_numIdEEEvT5_PKS3_S5_NS_24const_host_device_scalarIT6_EEPKT4_S5_PKS7_SB_S5_SD_S8_SB_S5_SD_SB_PS3_PS7_21rocsparse_index_base_SG_SG_SG_bbb,"axG",@progbits,_ZN9rocsparseL26csrgemm_fill_block_per_rowILj128ELj16ELj256ELj137ELj64Eli21rocsparse_complex_numIdEEEvT5_PKS3_S5_NS_24const_host_device_scalarIT6_EEPKT4_S5_PKS7_SB_S5_SD_S8_SB_S5_SD_SB_PS3_PS7_21rocsparse_index_base_SG_SG_SG_bbb,comdat
.Lfunc_end242:
	.size	_ZN9rocsparseL26csrgemm_fill_block_per_rowILj128ELj16ELj256ELj137ELj64Eli21rocsparse_complex_numIdEEEvT5_PKS3_S5_NS_24const_host_device_scalarIT6_EEPKT4_S5_PKS7_SB_S5_SD_S8_SB_S5_SD_SB_PS3_PS7_21rocsparse_index_base_SG_SG_SG_bbb, .Lfunc_end242-_ZN9rocsparseL26csrgemm_fill_block_per_rowILj128ELj16ELj256ELj137ELj64Eli21rocsparse_complex_numIdEEEvT5_PKS3_S5_NS_24const_host_device_scalarIT6_EEPKT4_S5_PKS7_SB_S5_SD_S8_SB_S5_SD_SB_PS3_PS7_21rocsparse_index_base_SG_SG_SG_bbb
                                        ; -- End function
	.section	.AMDGPU.csdata,"",@progbits
; Kernel info:
; codeLenInByte = 3640
; NumSgprs: 46
; NumVgprs: 36
; ScratchSize: 40
; MemoryBound: 0
; FloatMode: 240
; IeeeMode: 1
; LDSByteSize: 0 bytes/workgroup (compile time only)
; SGPRBlocks: 5
; VGPRBlocks: 4
; NumSGPRsForWavesPerEU: 46
; NumVGPRsForWavesPerEU: 36
; Occupancy: 16
; WaveLimiterHint : 1
; COMPUTE_PGM_RSRC2:SCRATCH_EN: 1
; COMPUTE_PGM_RSRC2:USER_SGPR: 15
; COMPUTE_PGM_RSRC2:TRAP_HANDLER: 0
; COMPUTE_PGM_RSRC2:TGID_X_EN: 1
; COMPUTE_PGM_RSRC2:TGID_Y_EN: 0
; COMPUTE_PGM_RSRC2:TGID_Z_EN: 0
; COMPUTE_PGM_RSRC2:TIDIG_COMP_CNT: 0
	.section	.text._ZN9rocsparseL26csrgemm_fill_block_per_rowILj256ELj32ELj512ELj137ELj32Eli21rocsparse_complex_numIdEEEvT5_PKS3_S5_NS_24const_host_device_scalarIT6_EEPKT4_S5_PKS7_SB_S5_SD_S8_SB_S5_SD_SB_PS3_PS7_21rocsparse_index_base_SG_SG_SG_bbb,"axG",@progbits,_ZN9rocsparseL26csrgemm_fill_block_per_rowILj256ELj32ELj512ELj137ELj32Eli21rocsparse_complex_numIdEEEvT5_PKS3_S5_NS_24const_host_device_scalarIT6_EEPKT4_S5_PKS7_SB_S5_SD_S8_SB_S5_SD_SB_PS3_PS7_21rocsparse_index_base_SG_SG_SG_bbb,comdat
	.globl	_ZN9rocsparseL26csrgemm_fill_block_per_rowILj256ELj32ELj512ELj137ELj32Eli21rocsparse_complex_numIdEEEvT5_PKS3_S5_NS_24const_host_device_scalarIT6_EEPKT4_S5_PKS7_SB_S5_SD_S8_SB_S5_SD_SB_PS3_PS7_21rocsparse_index_base_SG_SG_SG_bbb ; -- Begin function _ZN9rocsparseL26csrgemm_fill_block_per_rowILj256ELj32ELj512ELj137ELj32Eli21rocsparse_complex_numIdEEEvT5_PKS3_S5_NS_24const_host_device_scalarIT6_EEPKT4_S5_PKS7_SB_S5_SD_S8_SB_S5_SD_SB_PS3_PS7_21rocsparse_index_base_SG_SG_SG_bbb
	.p2align	8
	.type	_ZN9rocsparseL26csrgemm_fill_block_per_rowILj256ELj32ELj512ELj137ELj32Eli21rocsparse_complex_numIdEEEvT5_PKS3_S5_NS_24const_host_device_scalarIT6_EEPKT4_S5_PKS7_SB_S5_SD_S8_SB_S5_SD_SB_PS3_PS7_21rocsparse_index_base_SG_SG_SG_bbb,@function
_ZN9rocsparseL26csrgemm_fill_block_per_rowILj256ELj32ELj512ELj137ELj32Eli21rocsparse_complex_numIdEEEvT5_PKS3_S5_NS_24const_host_device_scalarIT6_EEPKT4_S5_PKS7_SB_S5_SD_S8_SB_S5_SD_SB_PS3_PS7_21rocsparse_index_base_SG_SG_SG_bbb: ; @_ZN9rocsparseL26csrgemm_fill_block_per_rowILj256ELj32ELj512ELj137ELj32Eli21rocsparse_complex_numIdEEEvT5_PKS3_S5_NS_24const_host_device_scalarIT6_EEPKT4_S5_PKS7_SB_S5_SD_S8_SB_S5_SD_SB_PS3_PS7_21rocsparse_index_base_SG_SG_SG_bbb
; %bb.0:
	s_clause 0x2
	s_load_b32 s12, s[0:1], 0xa8
	s_load_b128 s[8:11], s[0:1], 0x18
	s_load_b128 s[4:7], s[0:1], 0x58
	v_mov_b32_e32 v1, 0
	v_mov_b32_e32 v2, 0
	s_waitcnt lgkmcnt(0)
	s_bitcmp1_b32 s12, 0
	v_mov_b32_e32 v3, s8
	s_cselect_b32 s13, -1, 0
	s_bitcmp1_b32 s12, 16
	v_dual_mov_b32 v6, v2 :: v_dual_mov_b32 v5, v1
	s_cselect_b32 s2, -1, 0
	v_mov_b32_e32 v4, s9
	s_xor_b32 s3, s2, -1
	v_dual_mov_b32 v10, s5 :: v_dual_mov_b32 v9, s4
	v_cndmask_b32_e64 v7, 0, 1, s3
	s_bitcmp0_b32 s12, 0
	s_clause 0x1
	scratch_store_b64 off, v[3:4], off offset:16
	scratch_store_b64 off, v[9:10], off offset:24
	v_cmp_ne_u32_e32 vcc_lo, 1, v7
	v_dual_mov_b32 v8, v2 :: v_dual_mov_b32 v7, v1
	s_cbranch_scc1 .LBB243_3
; %bb.1:
	s_mov_b64 s[16:17], src_private_base
	s_and_b32 s14, s2, exec_lo
	s_cselect_b32 s14, s17, s9
	s_delay_alu instid0(SALU_CYCLE_1) | instskip(SKIP_2) | instid1(VALU_DEP_2)
	v_dual_mov_b32 v3, 16 :: v_dual_mov_b32 v4, s14
	v_dual_mov_b32 v7, s10 :: v_dual_mov_b32 v8, s11
	s_and_b32 vcc_lo, exec_lo, vcc_lo
	v_cndmask_b32_e64 v3, s8, v3, s2
	flat_load_b64 v[5:6], v[3:4]
	s_cbranch_vccnz .LBB243_3
; %bb.2:
	v_dual_mov_b32 v3, s8 :: v_dual_mov_b32 v4, s9
	flat_load_b64 v[7:8], v[3:4] offset:8
.LBB243_3:
	s_load_b128 s[24:27], s[0:1], 0x98
	s_bitcmp1_b32 s12, 8
	v_dual_mov_b32 v4, v2 :: v_dual_mov_b32 v3, v1
	s_cselect_b32 s33, -1, 0
	s_bfe_u32 s8, s12, 0x10008
	s_delay_alu instid0(SALU_CYCLE_1)
	s_cmp_eq_u32 s8, 0
	s_cbranch_scc1 .LBB243_6
; %bb.4:
	s_mov_b64 s[8:9], src_private_base
	s_and_b32 s8, s2, exec_lo
	s_cselect_b32 s8, s9, s5
	s_delay_alu instid0(SALU_CYCLE_1) | instskip(SKIP_1) | instid1(VALU_DEP_1)
	v_dual_mov_b32 v1, 24 :: v_dual_mov_b32 v2, s8
	s_and_not1_b32 vcc_lo, exec_lo, s3
	v_cndmask_b32_e64 v1, s4, v1, s2
	flat_load_b64 v[3:4], v[1:2]
	v_dual_mov_b32 v1, s6 :: v_dual_mov_b32 v2, s7
	s_cbranch_vccnz .LBB243_6
; %bb.5:
	v_dual_mov_b32 v1, s4 :: v_dual_mov_b32 v2, s5
	flat_load_b64 v[1:2], v[1:2] offset:8
.LBB243_6:
	s_clause 0x5
	s_load_b128 s[28:31], s[0:1], 0x88
	s_load_b256 s[4:11], s[0:1], 0x68
	s_load_b128 s[36:39], s[0:1], 0x48
	s_load_b256 s[16:23], s[0:1], 0x28
	s_load_b128 s[40:43], s[0:1], 0x8
	s_load_b32 s14, s[0:1], 0x0
	v_cmp_gt_u32_e64 s0, 0x200, v0
	v_lshlrev_b32_e32 v27, 4, v0
	v_or_b32_e32 v25, 0xffffff00, v0
	v_lshl_add_u32 v26, v0, 2, 0
	s_delay_alu instid0(VALU_DEP_4)
	s_and_saveexec_b32 s1, s0
	s_cbranch_execz .LBB243_9
; %bb.7:
	s_mov_b32 s2, 0
	v_add3_u32 v13, v27, 0, 0x800
	s_mov_b32 s3, s2
	s_mov_b32 s34, s2
	;; [unrolled: 1-line block ×3, first 2 shown]
	v_dual_mov_b32 v10, s3 :: v_dual_mov_b32 v11, s34
	v_or_b32_e32 v14, 0xffffff00, v0
	v_lshl_add_u32 v15, v0, 2, 0
	s_waitcnt lgkmcnt(0)
	v_dual_mov_b32 v16, s14 :: v_dual_mov_b32 v9, s2
	v_mov_b32_e32 v12, s35
.LBB243_8:                              ; =>This Inner Loop Header: Depth=1
	v_add_co_u32 v14, s3, 0x100, v14
	s_delay_alu instid0(VALU_DEP_1)
	s_xor_b32 s3, s3, -1
	ds_store_b32 v15, v16
	ds_store_2addr_b64 v13, v[9:10], v[11:12] offset1:1
	v_add_nc_u32_e32 v13, 0x1000, v13
	v_add_nc_u32_e32 v15, 0x400, v15
	s_and_b32 s3, exec_lo, s3
	s_delay_alu instid0(SALU_CYCLE_1) | instskip(NEXT) | instid1(SALU_CYCLE_1)
	s_or_b32 s2, s3, s2
	s_and_not1_b32 exec_lo, exec_lo, s2
	s_cbranch_execnz .LBB243_8
.LBB243_9:
	s_or_b32 exec_lo, exec_lo, s1
	s_waitcnt vmcnt(0) lgkmcnt(0)
	s_waitcnt_vscnt null, 0x0
	s_barrier
	buffer_gl0_inv
	s_load_b32 s1, s[40:41], 0x0
	s_mov_b32 s3, 0
	v_lshrrev_b32_e32 v28, 5, v0
	s_waitcnt lgkmcnt(0)
	s_add_i32 s2, s1, s15
	s_delay_alu instid0(SALU_CYCLE_1) | instskip(NEXT) | instid1(SALU_CYCLE_1)
	s_lshl_b64 s[2:3], s[2:3], 2
	s_add_u32 s2, s42, s2
	s_addc_u32 s3, s43, s3
	s_and_b32 vcc_lo, exec_lo, s13
	s_load_b32 s12, s[2:3], 0x0
	s_cbranch_vccz .LBB243_37
; %bb.10:
	s_waitcnt lgkmcnt(0)
	s_ashr_i32 s13, s12, 31
	v_sub_co_u32 v9, s1, v28, s24
	s_lshl_b64 s[2:3], s[12:13], 3
	v_sub_co_ci_u32_e64 v10, null, 0, 0, s1
	s_add_u32 s2, s16, s2
	s_addc_u32 s3, s17, s3
	s_mov_b32 s1, exec_lo
	s_load_b128 s[40:43], s[2:3], 0x0
	s_waitcnt lgkmcnt(0)
	v_add_co_u32 v9, vcc_lo, s40, v9
	v_add_co_ci_u32_e32 v10, vcc_lo, s41, v10, vcc_lo
	s_sub_u32 s2, s42, s24
	s_subb_u32 s3, s43, 0
	s_delay_alu instid0(VALU_DEP_1) | instid1(SALU_CYCLE_1)
	v_cmpx_gt_i64_e64 s[2:3], v[9:10]
	s_cbranch_execz .LBB243_36
; %bb.11:
	v_and_b32_e32 v11, 31, v0
	s_mov_b32 s15, s25
	s_delay_alu instid0(VALU_DEP_1) | instskip(NEXT) | instid1(VALU_DEP_1)
	v_sub_co_u32 v29, s13, v11, s25
	v_sub_co_ci_u32_e64 v30, null, 0, 0, s13
	s_mov_b32 s13, 0
	s_branch .LBB243_13
.LBB243_12:                             ;   in Loop: Header=BB243_13 Depth=1
	s_or_b32 exec_lo, exec_lo, s16
	v_add_co_u32 v9, vcc_lo, v9, 8
	v_add_co_ci_u32_e32 v10, vcc_lo, 0, v10, vcc_lo
	s_delay_alu instid0(VALU_DEP_1) | instskip(SKIP_1) | instid1(SALU_CYCLE_1)
	v_cmp_le_i64_e32 vcc_lo, s[2:3], v[9:10]
	s_or_b32 s13, vcc_lo, s13
	s_and_not1_b32 exec_lo, exec_lo, s13
	s_cbranch_execz .LBB243_36
.LBB243_13:                             ; =>This Loop Header: Depth=1
                                        ;     Child Loop BB243_16 Depth 2
                                        ;       Child Loop BB243_18 Depth 3
                                        ;         Child Loop BB243_24 Depth 4
                                        ;         Child Loop BB243_26 Depth 4
	;; [unrolled: 1-line block ×4, first 2 shown]
	v_lshlrev_b64 v[11:12], 2, v[9:10]
	s_mov_b32 s16, exec_lo
	s_delay_alu instid0(VALU_DEP_1) | instskip(NEXT) | instid1(VALU_DEP_2)
	v_add_co_u32 v11, vcc_lo, s18, v11
	v_add_co_ci_u32_e32 v12, vcc_lo, s19, v12, vcc_lo
	global_load_b32 v11, v[11:12], off
	s_waitcnt vmcnt(0)
	v_subrev_nc_u32_e32 v11, s24, v11
	s_delay_alu instid0(VALU_DEP_1) | instskip(NEXT) | instid1(VALU_DEP_1)
	v_ashrrev_i32_e32 v12, 31, v11
	v_lshlrev_b64 v[11:12], 3, v[11:12]
	s_delay_alu instid0(VALU_DEP_1) | instskip(NEXT) | instid1(VALU_DEP_2)
	v_add_co_u32 v11, vcc_lo, s22, v11
	v_add_co_ci_u32_e32 v12, vcc_lo, s23, v12, vcc_lo
	global_load_b128 v[13:16], v[11:12], off
	s_waitcnt vmcnt(0)
	v_sub_co_u32 v11, vcc_lo, v15, s15
	v_subrev_co_ci_u32_e32 v12, vcc_lo, 0, v16, vcc_lo
	v_add_co_u32 v13, vcc_lo, v13, v29
	v_add_co_ci_u32_e32 v14, vcc_lo, v14, v30, vcc_lo
	s_delay_alu instid0(VALU_DEP_1)
	v_cmpx_lt_i64_e64 v[13:14], v[11:12]
	s_cbranch_execz .LBB243_12
; %bb.14:                               ;   in Loop: Header=BB243_13 Depth=1
	v_lshlrev_b64 v[15:16], 4, v[9:10]
	s_mov_b32 s17, 0
	s_delay_alu instid0(VALU_DEP_1) | instskip(NEXT) | instid1(VALU_DEP_2)
	v_add_co_u32 v15, vcc_lo, s20, v15
	v_add_co_ci_u32_e32 v16, vcc_lo, s21, v16, vcc_lo
	global_load_b128 v[17:20], v[15:16], off
	s_waitcnt vmcnt(0)
	v_mul_f64 v[15:16], v[19:20], -v[7:8]
	v_mul_f64 v[19:20], v[5:6], v[19:20]
	s_delay_alu instid0(VALU_DEP_2) | instskip(NEXT) | instid1(VALU_DEP_2)
	v_fma_f64 v[15:16], v[5:6], v[17:18], v[15:16]
	v_fma_f64 v[17:18], v[7:8], v[17:18], v[19:20]
	s_branch .LBB243_16
.LBB243_15:                             ;   in Loop: Header=BB243_16 Depth=2
	s_or_b32 exec_lo, exec_lo, s34
	v_add_co_u32 v13, vcc_lo, v13, 32
	v_add_co_ci_u32_e32 v14, vcc_lo, 0, v14, vcc_lo
	s_delay_alu instid0(VALU_DEP_1) | instskip(SKIP_1) | instid1(SALU_CYCLE_1)
	v_cmp_ge_i64_e32 vcc_lo, v[13:14], v[11:12]
	s_or_b32 s17, vcc_lo, s17
	s_and_not1_b32 exec_lo, exec_lo, s17
	s_cbranch_execz .LBB243_12
.LBB243_16:                             ;   Parent Loop BB243_13 Depth=1
                                        ; =>  This Loop Header: Depth=2
                                        ;       Child Loop BB243_18 Depth 3
                                        ;         Child Loop BB243_24 Depth 4
                                        ;         Child Loop BB243_26 Depth 4
	;; [unrolled: 1-line block ×4, first 2 shown]
	v_lshlrev_b64 v[19:20], 4, v[13:14]
	s_mov_b32 s34, 0
	s_delay_alu instid0(VALU_DEP_1) | instskip(NEXT) | instid1(VALU_DEP_2)
	v_add_co_u32 v19, vcc_lo, s38, v19
	v_add_co_ci_u32_e32 v20, vcc_lo, s39, v20, vcc_lo
	global_load_b128 v[21:24], v[19:20], off
	v_lshlrev_b64 v[19:20], 2, v[13:14]
	s_delay_alu instid0(VALU_DEP_1) | instskip(NEXT) | instid1(VALU_DEP_2)
	v_add_co_u32 v19, vcc_lo, s36, v19
	v_add_co_ci_u32_e32 v20, vcc_lo, s37, v20, vcc_lo
	global_load_b32 v31, v[19:20], off
	s_waitcnt vmcnt(1)
	v_mul_f64 v[19:20], v[23:24], -v[17:18]
	v_mul_f64 v[23:24], v[15:16], v[23:24]
	s_waitcnt vmcnt(0)
	v_subrev_nc_u32_e32 v31, s25, v31
	s_delay_alu instid0(VALU_DEP_3) | instskip(NEXT) | instid1(VALU_DEP_3)
	v_fma_f64 v[19:20], v[15:16], v[21:22], v[19:20]
	v_fma_f64 v[21:22], v[17:18], v[21:22], v[23:24]
	s_delay_alu instid0(VALU_DEP_3) | instskip(NEXT) | instid1(VALU_DEP_1)
	v_mul_lo_u32 v23, 0x89, v31
	v_and_b32_e32 v32, 0x1ff, v23
	s_branch .LBB243_18
.LBB243_17:                             ;   in Loop: Header=BB243_18 Depth=3
	s_or_b32 exec_lo, exec_lo, s35
	s_xor_b32 s35, s40, -1
	s_delay_alu instid0(SALU_CYCLE_1) | instskip(NEXT) | instid1(SALU_CYCLE_1)
	s_and_b32 s35, exec_lo, s35
	s_or_b32 s34, s35, s34
	s_delay_alu instid0(SALU_CYCLE_1)
	s_and_not1_b32 exec_lo, exec_lo, s34
	s_cbranch_execz .LBB243_15
.LBB243_18:                             ;   Parent Loop BB243_13 Depth=1
                                        ;     Parent Loop BB243_16 Depth=2
                                        ; =>    This Loop Header: Depth=3
                                        ;         Child Loop BB243_24 Depth 4
                                        ;         Child Loop BB243_26 Depth 4
	;; [unrolled: 1-line block ×4, first 2 shown]
	s_delay_alu instid0(VALU_DEP_1)
	v_lshl_add_u32 v23, v32, 2, 0
	s_mov_b32 s35, exec_lo
                                        ; implicit-def: $sgpr40
	ds_load_b32 v24, v23
	s_waitcnt lgkmcnt(0)
	v_cmpx_ne_u32_e64 v24, v31
	s_xor_b32 s35, exec_lo, s35
	s_cbranch_execz .LBB243_30
; %bb.19:                               ;   in Loop: Header=BB243_18 Depth=3
	s_mov_b32 s41, exec_lo
                                        ; implicit-def: $sgpr40
	v_cmpx_ne_u32_e64 s14, v24
	s_xor_b32 s41, exec_lo, s41
; %bb.20:                               ;   in Loop: Header=BB243_18 Depth=3
	v_add_nc_u32_e32 v23, 1, v32
	s_mov_b32 s40, -1
	s_delay_alu instid0(VALU_DEP_1)
	v_and_b32_e32 v32, 0x1ff, v23
                                        ; implicit-def: $vgpr23
; %bb.21:                               ;   in Loop: Header=BB243_18 Depth=3
	s_and_not1_saveexec_b32 s41, s41
	s_cbranch_execz .LBB243_29
; %bb.22:                               ;   in Loop: Header=BB243_18 Depth=3
	v_mov_b32_e32 v24, s14
	s_mov_b32 s43, -1
	s_mov_b32 s42, exec_lo
	ds_cmpstore_rtn_b32 v24, v23, v31, v24
	s_waitcnt lgkmcnt(0)
	v_cmpx_eq_u32_e64 s14, v24
	s_cbranch_execz .LBB243_28
; %bb.23:                               ;   in Loop: Header=BB243_18 Depth=3
	v_mul_lo_u32 v24, v32, 12
	s_mov_b32 s43, 0
	s_delay_alu instid0(VALU_DEP_1)
	v_add_nc_u32_e32 v33, v23, v24
	ds_load_b64 v[23:24], v33 offset:2048
.LBB243_24:                             ;   Parent Loop BB243_13 Depth=1
                                        ;     Parent Loop BB243_16 Depth=2
                                        ;       Parent Loop BB243_18 Depth=3
                                        ; =>      This Inner Loop Header: Depth=4
	s_waitcnt lgkmcnt(0)
	v_add_f64 v[34:35], v[23:24], v[19:20]
	ds_cmpstore_rtn_b64 v[34:35], v33, v[34:35], v[23:24] offset:2048
	s_waitcnt lgkmcnt(0)
	v_cmp_eq_u64_e32 vcc_lo, v[34:35], v[23:24]
	v_dual_mov_b32 v23, v34 :: v_dual_mov_b32 v24, v35
	s_or_b32 s43, vcc_lo, s43
	s_delay_alu instid0(SALU_CYCLE_1)
	s_and_not1_b32 exec_lo, exec_lo, s43
	s_cbranch_execnz .LBB243_24
; %bb.25:                               ;   in Loop: Header=BB243_18 Depth=3
	s_or_b32 exec_lo, exec_lo, s43
	ds_load_b64 v[23:24], v33 offset:2056
	s_mov_b32 s43, 0
.LBB243_26:                             ;   Parent Loop BB243_13 Depth=1
                                        ;     Parent Loop BB243_16 Depth=2
                                        ;       Parent Loop BB243_18 Depth=3
                                        ; =>      This Inner Loop Header: Depth=4
	s_waitcnt lgkmcnt(0)
	v_add_f64 v[34:35], v[23:24], v[21:22]
	ds_cmpstore_rtn_b64 v[34:35], v33, v[34:35], v[23:24] offset:2056
	s_waitcnt lgkmcnt(0)
	v_cmp_eq_u64_e32 vcc_lo, v[34:35], v[23:24]
	v_dual_mov_b32 v23, v34 :: v_dual_mov_b32 v24, v35
	s_or_b32 s43, vcc_lo, s43
	s_delay_alu instid0(SALU_CYCLE_1)
	s_and_not1_b32 exec_lo, exec_lo, s43
	s_cbranch_execnz .LBB243_26
; %bb.27:                               ;   in Loop: Header=BB243_18 Depth=3
	s_or_b32 exec_lo, exec_lo, s43
	s_delay_alu instid0(SALU_CYCLE_1)
	s_xor_b32 s43, exec_lo, -1
.LBB243_28:                             ;   in Loop: Header=BB243_18 Depth=3
	s_or_b32 exec_lo, exec_lo, s42
	s_delay_alu instid0(SALU_CYCLE_1) | instskip(SKIP_1) | instid1(SALU_CYCLE_1)
	s_and_not1_b32 s40, s40, exec_lo
	s_and_b32 s42, s43, exec_lo
	s_or_b32 s40, s40, s42
.LBB243_29:                             ;   in Loop: Header=BB243_18 Depth=3
	s_or_b32 exec_lo, exec_lo, s41
	s_delay_alu instid0(SALU_CYCLE_1)
	s_and_b32 s40, s40, exec_lo
                                        ; implicit-def: $vgpr23
.LBB243_30:                             ;   in Loop: Header=BB243_18 Depth=3
	s_and_not1_saveexec_b32 s35, s35
	s_cbranch_execz .LBB243_17
; %bb.31:                               ;   in Loop: Header=BB243_18 Depth=3
	v_mul_lo_u32 v24, v32, 12
	s_mov_b32 s41, 0
	s_delay_alu instid0(VALU_DEP_1)
	v_add_nc_u32_e32 v33, v23, v24
	ds_load_b64 v[23:24], v33 offset:2048
.LBB243_32:                             ;   Parent Loop BB243_13 Depth=1
                                        ;     Parent Loop BB243_16 Depth=2
                                        ;       Parent Loop BB243_18 Depth=3
                                        ; =>      This Inner Loop Header: Depth=4
	s_waitcnt lgkmcnt(0)
	v_add_f64 v[34:35], v[23:24], v[19:20]
	ds_cmpstore_rtn_b64 v[34:35], v33, v[34:35], v[23:24] offset:2048
	s_waitcnt lgkmcnt(0)
	v_cmp_eq_u64_e32 vcc_lo, v[34:35], v[23:24]
	v_dual_mov_b32 v23, v34 :: v_dual_mov_b32 v24, v35
	s_or_b32 s41, vcc_lo, s41
	s_delay_alu instid0(SALU_CYCLE_1)
	s_and_not1_b32 exec_lo, exec_lo, s41
	s_cbranch_execnz .LBB243_32
; %bb.33:                               ;   in Loop: Header=BB243_18 Depth=3
	s_or_b32 exec_lo, exec_lo, s41
	ds_load_b64 v[23:24], v33 offset:2056
	s_mov_b32 s41, 0
.LBB243_34:                             ;   Parent Loop BB243_13 Depth=1
                                        ;     Parent Loop BB243_16 Depth=2
                                        ;       Parent Loop BB243_18 Depth=3
                                        ; =>      This Inner Loop Header: Depth=4
	s_waitcnt lgkmcnt(0)
	v_add_f64 v[34:35], v[23:24], v[21:22]
	ds_cmpstore_rtn_b64 v[34:35], v33, v[34:35], v[23:24] offset:2056
	s_waitcnt lgkmcnt(0)
	v_cmp_eq_u64_e32 vcc_lo, v[34:35], v[23:24]
	v_dual_mov_b32 v23, v34 :: v_dual_mov_b32 v24, v35
	s_or_b32 s41, vcc_lo, s41
	s_delay_alu instid0(SALU_CYCLE_1)
	s_and_not1_b32 exec_lo, exec_lo, s41
	s_cbranch_execnz .LBB243_34
; %bb.35:                               ;   in Loop: Header=BB243_18 Depth=3
	s_or_b32 exec_lo, exec_lo, s41
	s_delay_alu instid0(SALU_CYCLE_1)
	s_and_not1_b32 s40, s40, exec_lo
	s_branch .LBB243_17
.LBB243_36:
	s_or_b32 exec_lo, exec_lo, s1
.LBB243_37:
	s_delay_alu instid0(SALU_CYCLE_1)
	s_and_not1_b32 vcc_lo, exec_lo, s33
	s_cbranch_vccnz .LBB243_40
; %bb.38:
	s_waitcnt lgkmcnt(0)
	s_ashr_i32 s13, s12, 31
	v_sub_co_u32 v5, s1, v0, s27
	s_lshl_b64 s[2:3], s[12:13], 3
	v_sub_co_ci_u32_e64 v6, null, 0, 0, s1
	s_add_u32 s2, s4, s2
	s_addc_u32 s3, s5, s3
	s_mov_b32 s4, 0
	s_load_b128 s[16:19], s[2:3], 0x0
	s_mov_b32 s1, exec_lo
	s_waitcnt lgkmcnt(0)
	v_add_co_u32 v5, vcc_lo, s16, v5
	v_add_co_ci_u32_e32 v6, vcc_lo, s17, v6, vcc_lo
	s_sub_u32 s2, s18, s27
	s_subb_u32 s3, s19, 0
	s_delay_alu instid0(VALU_DEP_1) | instid1(SALU_CYCLE_1)
	v_cmpx_gt_i64_e64 s[2:3], v[5:6]
	s_cbranch_execnz .LBB243_62
.LBB243_39:
	s_or_b32 exec_lo, exec_lo, s1
.LBB243_40:
	s_waitcnt lgkmcnt(0)
	s_barrier
	buffer_gl0_inv
	s_and_saveexec_b32 s8, s0
	s_cbranch_execz .LBB243_82
; %bb.41:
	v_mbcnt_lo_u32_b32 v1, -1, 0
	v_lshl_add_u32 v3, v28, 2, 0
	v_cmp_eq_u32_e32 vcc_lo, 0xff, v0
	v_cmp_lt_u32_e64 s0, 31, v0
	v_cmp_lt_u32_e64 s1, 63, v0
	v_xor_b32_e32 v1, 63, v1
	v_cmp_lt_u32_e64 s2, 0x5f, v0
	v_cmp_lt_u32_e64 s3, 0x7f, v0
	;; [unrolled: 1-line block ×4, first 2 shown]
	v_lshrrev_b64 v[1:2], v1, -1
	v_cmp_lt_u32_e64 s6, 0xdf, v0
	v_add3_u32 v2, v27, 0, 0x800
	v_dual_mov_b32 v4, 0 :: v_dual_mov_b32 v5, 0
	s_mov_b32 s9, 0
	s_branch .LBB243_43
.LBB243_42:                             ;   in Loop: Header=BB243_43 Depth=1
	s_or_b32 exec_lo, exec_lo, s7
	s_waitcnt lgkmcnt(0)
	s_barrier
	buffer_gl0_inv
	ds_load_b32 v6, v4 offset:10268
	v_add_co_u32 v25, s7, 0x100, v25
	s_delay_alu instid0(VALU_DEP_1) | instskip(SKIP_3) | instid1(SALU_CYCLE_1)
	s_xor_b32 s7, s7, -1
	v_add_nc_u32_e32 v2, 0x1000, v2
	v_add_nc_u32_e32 v26, 0x400, v26
	s_and_b32 s7, exec_lo, s7
	s_or_b32 s9, s7, s9
	s_waitcnt lgkmcnt(0)
	v_add_nc_u32_e32 v5, v6, v5
	s_and_not1_b32 exec_lo, exec_lo, s9
	s_cbranch_execz .LBB243_82
.LBB243_43:                             ; =>This Inner Loop Header: Depth=1
	ds_load_b32 v6, v26
	ds_load_2addr_b64 v[7:10], v2 offset1:1
	s_waitcnt lgkmcnt(1)
	v_cmp_gt_i32_e64 s7, s14, v6
	s_waitcnt lgkmcnt(0)
	scratch_store_b128 off, v[7:10], off
	s_waitcnt_vscnt null, 0x0
	s_barrier
	buffer_gl0_inv
	s_bcnt1_i32_b32 s13, s7
	s_delay_alu instid0(SALU_CYCLE_1) | instskip(NEXT) | instid1(VALU_DEP_1)
	v_dual_mov_b32 v8, s13 :: v_dual_and_b32 v7, s7, v1
	v_bcnt_u32_b32 v7, v7, 0
	ds_store_b32 v3, v8 offset:10240
	s_waitcnt lgkmcnt(0)
	s_barrier
	buffer_gl0_inv
	s_and_saveexec_b32 s13, s0
	s_cbranch_execnz .LBB243_52
; %bb.44:                               ;   in Loop: Header=BB243_43 Depth=1
	s_or_b32 exec_lo, exec_lo, s13
	s_and_saveexec_b32 s13, s1
	s_cbranch_execnz .LBB243_53
.LBB243_45:                             ;   in Loop: Header=BB243_43 Depth=1
	s_or_b32 exec_lo, exec_lo, s13
	s_and_saveexec_b32 s13, s2
	s_cbranch_execnz .LBB243_54
.LBB243_46:                             ;   in Loop: Header=BB243_43 Depth=1
	s_or_b32 exec_lo, exec_lo, s13
	s_and_saveexec_b32 s13, s3
	s_cbranch_execnz .LBB243_55
.LBB243_47:                             ;   in Loop: Header=BB243_43 Depth=1
	s_or_b32 exec_lo, exec_lo, s13
	s_and_saveexec_b32 s13, s4
	s_cbranch_execnz .LBB243_56
.LBB243_48:                             ;   in Loop: Header=BB243_43 Depth=1
	s_or_b32 exec_lo, exec_lo, s13
	s_and_saveexec_b32 s13, s5
	s_cbranch_execnz .LBB243_57
.LBB243_49:                             ;   in Loop: Header=BB243_43 Depth=1
	s_or_b32 exec_lo, exec_lo, s13
	s_and_saveexec_b32 s13, s6
	s_cbranch_execnz .LBB243_58
.LBB243_50:                             ;   in Loop: Header=BB243_43 Depth=1
	s_or_b32 exec_lo, exec_lo, s13
	s_and_saveexec_b32 s13, s7
	s_cbranch_execnz .LBB243_59
.LBB243_51:                             ;   in Loop: Header=BB243_43 Depth=1
	s_or_b32 exec_lo, exec_lo, s13
	s_and_saveexec_b32 s7, vcc_lo
	s_cbranch_execz .LBB243_42
	s_branch .LBB243_60
.LBB243_52:                             ;   in Loop: Header=BB243_43 Depth=1
	ds_load_b32 v8, v4 offset:10240
	s_waitcnt lgkmcnt(0)
	v_add_nc_u32_e32 v7, v8, v7
	s_or_b32 exec_lo, exec_lo, s13
	s_and_saveexec_b32 s13, s1
	s_cbranch_execz .LBB243_45
.LBB243_53:                             ;   in Loop: Header=BB243_43 Depth=1
	ds_load_b32 v8, v4 offset:10244
	s_waitcnt lgkmcnt(0)
	v_add_nc_u32_e32 v7, v8, v7
	s_or_b32 exec_lo, exec_lo, s13
	s_and_saveexec_b32 s13, s2
	s_cbranch_execz .LBB243_46
.LBB243_54:                             ;   in Loop: Header=BB243_43 Depth=1
	ds_load_b32 v8, v4 offset:10248
	s_waitcnt lgkmcnt(0)
	v_add_nc_u32_e32 v7, v8, v7
	s_or_b32 exec_lo, exec_lo, s13
	s_and_saveexec_b32 s13, s3
	s_cbranch_execz .LBB243_47
.LBB243_55:                             ;   in Loop: Header=BB243_43 Depth=1
	ds_load_b32 v8, v4 offset:10252
	s_waitcnt lgkmcnt(0)
	v_add_nc_u32_e32 v7, v8, v7
	s_or_b32 exec_lo, exec_lo, s13
	s_and_saveexec_b32 s13, s4
	s_cbranch_execz .LBB243_48
.LBB243_56:                             ;   in Loop: Header=BB243_43 Depth=1
	ds_load_b32 v8, v4 offset:10256
	s_waitcnt lgkmcnt(0)
	v_add_nc_u32_e32 v7, v8, v7
	s_or_b32 exec_lo, exec_lo, s13
	s_and_saveexec_b32 s13, s5
	s_cbranch_execz .LBB243_49
.LBB243_57:                             ;   in Loop: Header=BB243_43 Depth=1
	ds_load_b32 v8, v4 offset:10260
	s_waitcnt lgkmcnt(0)
	v_add_nc_u32_e32 v7, v8, v7
	s_or_b32 exec_lo, exec_lo, s13
	s_and_saveexec_b32 s13, s6
	s_cbranch_execz .LBB243_50
.LBB243_58:                             ;   in Loop: Header=BB243_43 Depth=1
	ds_load_b32 v8, v4 offset:10264
	s_waitcnt lgkmcnt(0)
	v_add_nc_u32_e32 v7, v8, v7
	s_or_b32 exec_lo, exec_lo, s13
	s_and_saveexec_b32 s13, s7
	s_cbranch_execz .LBB243_51
.LBB243_59:                             ;   in Loop: Header=BB243_43 Depth=1
	scratch_load_b128 v[8:11], off, off
	v_add3_u32 v12, v5, -1, v7
	s_delay_alu instid0(VALU_DEP_1) | instskip(SKIP_1) | instid1(VALU_DEP_2)
	v_lshlrev_b32_e32 v13, 4, v12
	v_lshl_add_u32 v12, v12, 2, 0
	v_add3_u32 v13, 0, v13, 0x800
	ds_store_b32 v12, v6
	s_waitcnt vmcnt(0)
	ds_store_2addr_b64 v13, v[8:9], v[10:11] offset1:1
	s_or_b32 exec_lo, exec_lo, s13
	s_and_saveexec_b32 s7, vcc_lo
	s_cbranch_execz .LBB243_42
.LBB243_60:                             ;   in Loop: Header=BB243_43 Depth=1
	ds_store_b32 v4, v7 offset:10268
	s_branch .LBB243_42
.LBB243_61:                             ;   in Loop: Header=BB243_62 Depth=1
	s_or_b32 exec_lo, exec_lo, s5
	v_add_co_u32 v5, vcc_lo, 0x100, v5
	v_add_co_ci_u32_e32 v6, vcc_lo, 0, v6, vcc_lo
	s_delay_alu instid0(VALU_DEP_1) | instskip(SKIP_1) | instid1(SALU_CYCLE_1)
	v_cmp_le_i64_e32 vcc_lo, s[2:3], v[5:6]
	s_or_b32 s4, vcc_lo, s4
	s_and_not1_b32 exec_lo, exec_lo, s4
	s_cbranch_execz .LBB243_39
.LBB243_62:                             ; =>This Loop Header: Depth=1
                                        ;     Child Loop BB243_64 Depth 2
                                        ;       Child Loop BB243_70 Depth 3
                                        ;       Child Loop BB243_72 Depth 3
	;; [unrolled: 1-line block ×4, first 2 shown]
	v_lshlrev_b64 v[7:8], 4, v[5:6]
	s_mov_b32 s5, 0
	s_delay_alu instid0(VALU_DEP_1) | instskip(NEXT) | instid1(VALU_DEP_2)
	v_add_co_u32 v7, vcc_lo, s8, v7
	v_add_co_ci_u32_e32 v8, vcc_lo, s9, v8, vcc_lo
	global_load_b128 v[9:12], v[7:8], off
	v_lshlrev_b64 v[7:8], 2, v[5:6]
	s_delay_alu instid0(VALU_DEP_1) | instskip(NEXT) | instid1(VALU_DEP_2)
	v_add_co_u32 v7, vcc_lo, s6, v7
	v_add_co_ci_u32_e32 v8, vcc_lo, s7, v8, vcc_lo
	global_load_b32 v13, v[7:8], off
	s_waitcnt vmcnt(1)
	v_mul_f64 v[7:8], v[11:12], -v[1:2]
	v_mul_f64 v[11:12], v[3:4], v[11:12]
	s_waitcnt vmcnt(0)
	v_subrev_nc_u32_e32 v13, s27, v13
	s_delay_alu instid0(VALU_DEP_3) | instskip(NEXT) | instid1(VALU_DEP_3)
	v_fma_f64 v[7:8], v[3:4], v[9:10], v[7:8]
	v_fma_f64 v[9:10], v[1:2], v[9:10], v[11:12]
	s_delay_alu instid0(VALU_DEP_3) | instskip(NEXT) | instid1(VALU_DEP_1)
	v_mul_lo_u32 v11, 0x89, v13
	v_and_b32_e32 v14, 0x1ff, v11
	s_branch .LBB243_64
.LBB243_63:                             ;   in Loop: Header=BB243_64 Depth=2
	s_or_b32 exec_lo, exec_lo, s13
	s_xor_b32 s13, s15, -1
	s_delay_alu instid0(SALU_CYCLE_1) | instskip(NEXT) | instid1(SALU_CYCLE_1)
	s_and_b32 s13, exec_lo, s13
	s_or_b32 s5, s13, s5
	s_delay_alu instid0(SALU_CYCLE_1)
	s_and_not1_b32 exec_lo, exec_lo, s5
	s_cbranch_execz .LBB243_61
.LBB243_64:                             ;   Parent Loop BB243_62 Depth=1
                                        ; =>  This Loop Header: Depth=2
                                        ;       Child Loop BB243_70 Depth 3
                                        ;       Child Loop BB243_72 Depth 3
	;; [unrolled: 1-line block ×4, first 2 shown]
	s_delay_alu instid0(VALU_DEP_1)
	v_lshl_add_u32 v11, v14, 2, 0
	s_mov_b32 s13, exec_lo
                                        ; implicit-def: $sgpr15
	ds_load_b32 v12, v11
	s_waitcnt lgkmcnt(0)
	v_cmpx_ne_u32_e64 v12, v13
	s_xor_b32 s13, exec_lo, s13
	s_cbranch_execz .LBB243_76
; %bb.65:                               ;   in Loop: Header=BB243_64 Depth=2
	s_mov_b32 s16, exec_lo
                                        ; implicit-def: $sgpr15
	v_cmpx_ne_u32_e64 s14, v12
	s_xor_b32 s16, exec_lo, s16
; %bb.66:                               ;   in Loop: Header=BB243_64 Depth=2
	v_add_nc_u32_e32 v11, 1, v14
	s_mov_b32 s15, -1
	s_delay_alu instid0(VALU_DEP_1)
	v_and_b32_e32 v14, 0x1ff, v11
                                        ; implicit-def: $vgpr11
; %bb.67:                               ;   in Loop: Header=BB243_64 Depth=2
	s_and_not1_saveexec_b32 s16, s16
	s_cbranch_execz .LBB243_75
; %bb.68:                               ;   in Loop: Header=BB243_64 Depth=2
	v_mov_b32_e32 v12, s14
	s_mov_b32 s18, -1
	s_mov_b32 s17, exec_lo
	ds_cmpstore_rtn_b32 v12, v11, v13, v12
	s_waitcnt lgkmcnt(0)
	v_cmpx_eq_u32_e64 s14, v12
	s_cbranch_execz .LBB243_74
; %bb.69:                               ;   in Loop: Header=BB243_64 Depth=2
	v_mul_lo_u32 v12, v14, 12
	s_mov_b32 s18, 0
	s_delay_alu instid0(VALU_DEP_1)
	v_add_nc_u32_e32 v15, v11, v12
	ds_load_b64 v[11:12], v15 offset:2048
.LBB243_70:                             ;   Parent Loop BB243_62 Depth=1
                                        ;     Parent Loop BB243_64 Depth=2
                                        ; =>    This Inner Loop Header: Depth=3
	s_waitcnt lgkmcnt(0)
	v_add_f64 v[16:17], v[11:12], v[7:8]
	ds_cmpstore_rtn_b64 v[16:17], v15, v[16:17], v[11:12] offset:2048
	s_waitcnt lgkmcnt(0)
	v_cmp_eq_u64_e32 vcc_lo, v[16:17], v[11:12]
	v_dual_mov_b32 v11, v16 :: v_dual_mov_b32 v12, v17
	s_or_b32 s18, vcc_lo, s18
	s_delay_alu instid0(SALU_CYCLE_1)
	s_and_not1_b32 exec_lo, exec_lo, s18
	s_cbranch_execnz .LBB243_70
; %bb.71:                               ;   in Loop: Header=BB243_64 Depth=2
	s_or_b32 exec_lo, exec_lo, s18
	ds_load_b64 v[11:12], v15 offset:2056
	s_mov_b32 s18, 0
.LBB243_72:                             ;   Parent Loop BB243_62 Depth=1
                                        ;     Parent Loop BB243_64 Depth=2
                                        ; =>    This Inner Loop Header: Depth=3
	s_waitcnt lgkmcnt(0)
	v_add_f64 v[16:17], v[11:12], v[9:10]
	ds_cmpstore_rtn_b64 v[16:17], v15, v[16:17], v[11:12] offset:2056
	s_waitcnt lgkmcnt(0)
	v_cmp_eq_u64_e32 vcc_lo, v[16:17], v[11:12]
	v_dual_mov_b32 v11, v16 :: v_dual_mov_b32 v12, v17
	s_or_b32 s18, vcc_lo, s18
	s_delay_alu instid0(SALU_CYCLE_1)
	s_and_not1_b32 exec_lo, exec_lo, s18
	s_cbranch_execnz .LBB243_72
; %bb.73:                               ;   in Loop: Header=BB243_64 Depth=2
	s_or_b32 exec_lo, exec_lo, s18
	s_delay_alu instid0(SALU_CYCLE_1)
	s_xor_b32 s18, exec_lo, -1
.LBB243_74:                             ;   in Loop: Header=BB243_64 Depth=2
	s_or_b32 exec_lo, exec_lo, s17
	s_delay_alu instid0(SALU_CYCLE_1) | instskip(SKIP_1) | instid1(SALU_CYCLE_1)
	s_and_not1_b32 s15, s15, exec_lo
	s_and_b32 s17, s18, exec_lo
	s_or_b32 s15, s15, s17
.LBB243_75:                             ;   in Loop: Header=BB243_64 Depth=2
	s_or_b32 exec_lo, exec_lo, s16
	s_delay_alu instid0(SALU_CYCLE_1)
	s_and_b32 s15, s15, exec_lo
                                        ; implicit-def: $vgpr11
.LBB243_76:                             ;   in Loop: Header=BB243_64 Depth=2
	s_and_not1_saveexec_b32 s13, s13
	s_cbranch_execz .LBB243_63
; %bb.77:                               ;   in Loop: Header=BB243_64 Depth=2
	v_mul_lo_u32 v12, v14, 12
	s_mov_b32 s16, 0
	s_delay_alu instid0(VALU_DEP_1)
	v_add_nc_u32_e32 v15, v11, v12
	ds_load_b64 v[11:12], v15 offset:2048
.LBB243_78:                             ;   Parent Loop BB243_62 Depth=1
                                        ;     Parent Loop BB243_64 Depth=2
                                        ; =>    This Inner Loop Header: Depth=3
	s_waitcnt lgkmcnt(0)
	v_add_f64 v[16:17], v[11:12], v[7:8]
	ds_cmpstore_rtn_b64 v[16:17], v15, v[16:17], v[11:12] offset:2048
	s_waitcnt lgkmcnt(0)
	v_cmp_eq_u64_e32 vcc_lo, v[16:17], v[11:12]
	v_dual_mov_b32 v11, v16 :: v_dual_mov_b32 v12, v17
	s_or_b32 s16, vcc_lo, s16
	s_delay_alu instid0(SALU_CYCLE_1)
	s_and_not1_b32 exec_lo, exec_lo, s16
	s_cbranch_execnz .LBB243_78
; %bb.79:                               ;   in Loop: Header=BB243_64 Depth=2
	s_or_b32 exec_lo, exec_lo, s16
	ds_load_b64 v[11:12], v15 offset:2056
	s_mov_b32 s16, 0
.LBB243_80:                             ;   Parent Loop BB243_62 Depth=1
                                        ;     Parent Loop BB243_64 Depth=2
                                        ; =>    This Inner Loop Header: Depth=3
	s_waitcnt lgkmcnt(0)
	v_add_f64 v[16:17], v[11:12], v[9:10]
	ds_cmpstore_rtn_b64 v[16:17], v15, v[16:17], v[11:12] offset:2056
	s_waitcnt lgkmcnt(0)
	v_cmp_eq_u64_e32 vcc_lo, v[16:17], v[11:12]
	v_dual_mov_b32 v11, v16 :: v_dual_mov_b32 v12, v17
	s_or_b32 s16, vcc_lo, s16
	s_delay_alu instid0(SALU_CYCLE_1)
	s_and_not1_b32 exec_lo, exec_lo, s16
	s_cbranch_execnz .LBB243_80
; %bb.81:                               ;   in Loop: Header=BB243_64 Depth=2
	s_or_b32 exec_lo, exec_lo, s16
	s_delay_alu instid0(SALU_CYCLE_1)
	s_and_not1_b32 s15, s15, exec_lo
	s_branch .LBB243_63
.LBB243_82:
	s_or_b32 exec_lo, exec_lo, s8
	s_ashr_i32 s13, s12, 31
	s_mov_b32 s4, exec_lo
	s_lshl_b64 s[0:1], s[12:13], 3
	s_delay_alu instid0(SALU_CYCLE_1) | instskip(SKIP_4) | instid1(SALU_CYCLE_1)
	s_add_u32 s0, s10, s0
	s_addc_u32 s1, s11, s1
	s_load_b128 s[0:3], s[0:1], 0x0
	s_waitcnt lgkmcnt(0)
	s_sub_i32 s3, s2, s0
	v_cmpx_gt_i32_e64 s3, v0
	s_cbranch_execz .LBB243_92
; %bb.83:
	s_sub_u32 s4, s0, s26
	s_subb_u32 s5, s1, 0
	s_sub_i32 s0, s0, s2
	s_and_b32 s1, s3, 7
	s_cmp_lt_u32 s0, -7
	s_mov_b32 s8, 0
	s_cselect_b32 s2, -1, 0
	s_and_b32 s6, s3, -8
	s_cmp_lg_u32 s1, 0
	s_cselect_b32 s7, -1, 0
	s_branch .LBB243_85
.LBB243_84:                             ;   in Loop: Header=BB243_85 Depth=1
	v_mul_lo_u32 v5, v0, 12
	s_delay_alu instid0(VALU_DEP_2) | instskip(SKIP_4) | instid1(VALU_DEP_4)
	v_lshlrev_b64 v[8:9], 2, v[1:2]
	v_lshlrev_b64 v[1:2], 4, v[1:2]
	v_add_nc_u32_e32 v0, 0x100, v0
	s_waitcnt lgkmcnt(0)
	v_add_nc_u32_e32 v3, s26, v3
	v_add_co_u32 v8, vcc_lo, s28, v8
	v_add3_u32 v4, v4, v5, 0x800
	v_add_co_ci_u32_e32 v9, vcc_lo, s29, v9, vcc_lo
	v_cmp_le_i32_e32 vcc_lo, s3, v0
	v_add_co_u32 v1, s0, s30, v1
	ds_load_2addr_b64 v[4:7], v4 offset1:1
	v_add_co_ci_u32_e64 v2, s0, s31, v2, s0
	s_or_b32 s8, vcc_lo, s8
	global_store_b32 v[8:9], v3, off
	s_waitcnt lgkmcnt(0)
	global_store_b128 v[1:2], v[4:7], off
	s_and_not1_b32 exec_lo, exec_lo, s8
	s_cbranch_execz .LBB243_92
.LBB243_85:                             ; =>This Loop Header: Depth=1
                                        ;     Child Loop BB243_87 Depth 2
                                        ;     Child Loop BB243_91 Depth 2
	v_lshl_add_u32 v4, v0, 2, 0
	v_dual_mov_b32 v1, s4 :: v_dual_mov_b32 v2, s5
	s_and_not1_b32 vcc_lo, exec_lo, s2
	s_mov_b32 s0, 0
	ds_load_b32 v3, v4
	s_cbranch_vccnz .LBB243_89
; %bb.86:                               ;   in Loop: Header=BB243_85 Depth=1
	v_dual_mov_b32 v1, s4 :: v_dual_mov_b32 v2, s5
	s_mov_b32 s9, 0
	s_mov_b32 s10, 0
.LBB243_87:                             ;   Parent Loop BB243_85 Depth=1
                                        ; =>  This Inner Loop Header: Depth=2
	s_delay_alu instid0(SALU_CYCLE_1)
	v_mov_b32_e32 v11, s10
	s_add_i32 s9, s9, 8
	s_add_i32 s10, s10, 32
	s_cmp_eq_u32 s6, s9
	ds_load_2addr_b32 v[5:6], v11 offset1:1
	ds_load_2addr_b32 v[7:8], v11 offset0:2 offset1:3
	ds_load_2addr_b32 v[9:10], v11 offset0:4 offset1:5
	;; [unrolled: 1-line block ×3, first 2 shown]
	s_waitcnt lgkmcnt(3)
	v_cmp_gt_i32_e32 vcc_lo, v3, v5
	v_cndmask_b32_e64 v5, 0, 1, vcc_lo
	v_cmp_gt_i32_e32 vcc_lo, v3, v6
	v_cndmask_b32_e64 v6, 0, 1, vcc_lo
	s_waitcnt lgkmcnt(2)
	v_cmp_gt_i32_e32 vcc_lo, v3, v7
	v_cndmask_b32_e64 v7, 0, 1, vcc_lo
	v_cmp_gt_i32_e32 vcc_lo, v3, v8
	v_cndmask_b32_e64 v8, 0, 1, vcc_lo
	s_waitcnt lgkmcnt(1)
	v_cmp_gt_i32_e32 vcc_lo, v3, v9
	v_cndmask_b32_e64 v9, 0, 1, vcc_lo
	v_add_co_u32 v1, vcc_lo, v1, v5
	v_add_co_ci_u32_e32 v2, vcc_lo, 0, v2, vcc_lo
	v_cmp_gt_i32_e32 vcc_lo, v3, v10
	s_delay_alu instid0(VALU_DEP_3) | instskip(NEXT) | instid1(VALU_DEP_1)
	v_add_co_u32 v1, s0, v1, v6
	v_add_co_ci_u32_e64 v2, s0, 0, v2, s0
	v_cndmask_b32_e64 v5, 0, 1, vcc_lo
	s_delay_alu instid0(VALU_DEP_3) | instskip(NEXT) | instid1(VALU_DEP_3)
	v_add_co_u32 v1, vcc_lo, v1, v7
	v_add_co_ci_u32_e32 v2, vcc_lo, 0, v2, vcc_lo
	s_waitcnt lgkmcnt(0)
	v_cmp_gt_i32_e32 vcc_lo, v3, v11
	s_delay_alu instid0(VALU_DEP_3) | instskip(NEXT) | instid1(VALU_DEP_1)
	v_add_co_u32 v1, s0, v1, v8
	v_add_co_ci_u32_e64 v2, s0, 0, v2, s0
	v_cndmask_b32_e64 v6, 0, 1, vcc_lo
	s_delay_alu instid0(VALU_DEP_3) | instskip(NEXT) | instid1(VALU_DEP_3)
	v_add_co_u32 v1, vcc_lo, v1, v9
	v_add_co_ci_u32_e32 v2, vcc_lo, 0, v2, vcc_lo
	v_cmp_gt_i32_e32 vcc_lo, v3, v12
	s_delay_alu instid0(VALU_DEP_3) | instskip(NEXT) | instid1(VALU_DEP_1)
	v_add_co_u32 v1, s0, v1, v5
	v_add_co_ci_u32_e64 v2, s0, 0, v2, s0
	v_cndmask_b32_e64 v5, 0, 1, vcc_lo
	s_delay_alu instid0(VALU_DEP_3) | instskip(NEXT) | instid1(VALU_DEP_3)
	v_add_co_u32 v1, vcc_lo, v1, v6
	v_add_co_ci_u32_e32 v2, vcc_lo, 0, v2, vcc_lo
	s_delay_alu instid0(VALU_DEP_2) | instskip(NEXT) | instid1(VALU_DEP_2)
	v_add_co_u32 v1, vcc_lo, v1, v5
	v_add_co_ci_u32_e32 v2, vcc_lo, 0, v2, vcc_lo
	s_cbranch_scc0 .LBB243_87
; %bb.88:                               ;   in Loop: Header=BB243_85 Depth=1
	s_mov_b32 s0, s6
.LBB243_89:                             ;   in Loop: Header=BB243_85 Depth=1
	s_and_not1_b32 vcc_lo, exec_lo, s7
	s_cbranch_vccnz .LBB243_84
; %bb.90:                               ;   in Loop: Header=BB243_85 Depth=1
	s_lshl_b32 s0, s0, 2
	s_mov_b32 s9, s1
	s_add_i32 s0, s0, 0
.LBB243_91:                             ;   Parent Loop BB243_85 Depth=1
                                        ; =>  This Inner Loop Header: Depth=2
	s_delay_alu instid0(SALU_CYCLE_1)
	v_mov_b32_e32 v5, s0
	s_add_i32 s9, s9, -1
	s_add_i32 s0, s0, 4
	s_cmp_lg_u32 s9, 0
	ds_load_b32 v5, v5
	s_waitcnt lgkmcnt(0)
	v_cmp_gt_i32_e32 vcc_lo, v3, v5
	v_cndmask_b32_e64 v5, 0, 1, vcc_lo
	s_delay_alu instid0(VALU_DEP_1)
	v_add_co_u32 v1, vcc_lo, v1, v5
	v_add_co_ci_u32_e32 v2, vcc_lo, 0, v2, vcc_lo
	s_cbranch_scc1 .LBB243_91
	s_branch .LBB243_84
.LBB243_92:
	s_nop 0
	s_sendmsg sendmsg(MSG_DEALLOC_VGPRS)
	s_endpgm
	.section	.rodata,"a",@progbits
	.p2align	6, 0x0
	.amdhsa_kernel _ZN9rocsparseL26csrgemm_fill_block_per_rowILj256ELj32ELj512ELj137ELj32Eli21rocsparse_complex_numIdEEEvT5_PKS3_S5_NS_24const_host_device_scalarIT6_EEPKT4_S5_PKS7_SB_S5_SD_S8_SB_S5_SD_SB_PS3_PS7_21rocsparse_index_base_SG_SG_SG_bbb
		.amdhsa_group_segment_fixed_size 0
		.amdhsa_private_segment_fixed_size 40
		.amdhsa_kernarg_size 172
		.amdhsa_user_sgpr_count 15
		.amdhsa_user_sgpr_dispatch_ptr 0
		.amdhsa_user_sgpr_queue_ptr 0
		.amdhsa_user_sgpr_kernarg_segment_ptr 1
		.amdhsa_user_sgpr_dispatch_id 0
		.amdhsa_user_sgpr_private_segment_size 0
		.amdhsa_wavefront_size32 1
		.amdhsa_uses_dynamic_stack 0
		.amdhsa_enable_private_segment 1
		.amdhsa_system_sgpr_workgroup_id_x 1
		.amdhsa_system_sgpr_workgroup_id_y 0
		.amdhsa_system_sgpr_workgroup_id_z 0
		.amdhsa_system_sgpr_workgroup_info 0
		.amdhsa_system_vgpr_workitem_id 0
		.amdhsa_next_free_vgpr 36
		.amdhsa_next_free_sgpr 44
		.amdhsa_reserve_vcc 1
		.amdhsa_float_round_mode_32 0
		.amdhsa_float_round_mode_16_64 0
		.amdhsa_float_denorm_mode_32 3
		.amdhsa_float_denorm_mode_16_64 3
		.amdhsa_dx10_clamp 1
		.amdhsa_ieee_mode 1
		.amdhsa_fp16_overflow 0
		.amdhsa_workgroup_processor_mode 1
		.amdhsa_memory_ordered 1
		.amdhsa_forward_progress 0
		.amdhsa_shared_vgpr_count 0
		.amdhsa_exception_fp_ieee_invalid_op 0
		.amdhsa_exception_fp_denorm_src 0
		.amdhsa_exception_fp_ieee_div_zero 0
		.amdhsa_exception_fp_ieee_overflow 0
		.amdhsa_exception_fp_ieee_underflow 0
		.amdhsa_exception_fp_ieee_inexact 0
		.amdhsa_exception_int_div_zero 0
	.end_amdhsa_kernel
	.section	.text._ZN9rocsparseL26csrgemm_fill_block_per_rowILj256ELj32ELj512ELj137ELj32Eli21rocsparse_complex_numIdEEEvT5_PKS3_S5_NS_24const_host_device_scalarIT6_EEPKT4_S5_PKS7_SB_S5_SD_S8_SB_S5_SD_SB_PS3_PS7_21rocsparse_index_base_SG_SG_SG_bbb,"axG",@progbits,_ZN9rocsparseL26csrgemm_fill_block_per_rowILj256ELj32ELj512ELj137ELj32Eli21rocsparse_complex_numIdEEEvT5_PKS3_S5_NS_24const_host_device_scalarIT6_EEPKT4_S5_PKS7_SB_S5_SD_S8_SB_S5_SD_SB_PS3_PS7_21rocsparse_index_base_SG_SG_SG_bbb,comdat
.Lfunc_end243:
	.size	_ZN9rocsparseL26csrgemm_fill_block_per_rowILj256ELj32ELj512ELj137ELj32Eli21rocsparse_complex_numIdEEEvT5_PKS3_S5_NS_24const_host_device_scalarIT6_EEPKT4_S5_PKS7_SB_S5_SD_S8_SB_S5_SD_SB_PS3_PS7_21rocsparse_index_base_SG_SG_SG_bbb, .Lfunc_end243-_ZN9rocsparseL26csrgemm_fill_block_per_rowILj256ELj32ELj512ELj137ELj32Eli21rocsparse_complex_numIdEEEvT5_PKS3_S5_NS_24const_host_device_scalarIT6_EEPKT4_S5_PKS7_SB_S5_SD_S8_SB_S5_SD_SB_PS3_PS7_21rocsparse_index_base_SG_SG_SG_bbb
                                        ; -- End function
	.section	.AMDGPU.csdata,"",@progbits
; Kernel info:
; codeLenInByte = 3956
; NumSgprs: 46
; NumVgprs: 36
; ScratchSize: 40
; MemoryBound: 0
; FloatMode: 240
; IeeeMode: 1
; LDSByteSize: 0 bytes/workgroup (compile time only)
; SGPRBlocks: 5
; VGPRBlocks: 4
; NumSGPRsForWavesPerEU: 46
; NumVGPRsForWavesPerEU: 36
; Occupancy: 16
; WaveLimiterHint : 1
; COMPUTE_PGM_RSRC2:SCRATCH_EN: 1
; COMPUTE_PGM_RSRC2:USER_SGPR: 15
; COMPUTE_PGM_RSRC2:TRAP_HANDLER: 0
; COMPUTE_PGM_RSRC2:TGID_X_EN: 1
; COMPUTE_PGM_RSRC2:TGID_Y_EN: 0
; COMPUTE_PGM_RSRC2:TGID_Z_EN: 0
; COMPUTE_PGM_RSRC2:TIDIG_COMP_CNT: 0
	.section	.text._ZN9rocsparseL26csrgemm_fill_block_per_rowILj256ELj32ELj512ELj137ELj64Eli21rocsparse_complex_numIdEEEvT5_PKS3_S5_NS_24const_host_device_scalarIT6_EEPKT4_S5_PKS7_SB_S5_SD_S8_SB_S5_SD_SB_PS3_PS7_21rocsparse_index_base_SG_SG_SG_bbb,"axG",@progbits,_ZN9rocsparseL26csrgemm_fill_block_per_rowILj256ELj32ELj512ELj137ELj64Eli21rocsparse_complex_numIdEEEvT5_PKS3_S5_NS_24const_host_device_scalarIT6_EEPKT4_S5_PKS7_SB_S5_SD_S8_SB_S5_SD_SB_PS3_PS7_21rocsparse_index_base_SG_SG_SG_bbb,comdat
	.globl	_ZN9rocsparseL26csrgemm_fill_block_per_rowILj256ELj32ELj512ELj137ELj64Eli21rocsparse_complex_numIdEEEvT5_PKS3_S5_NS_24const_host_device_scalarIT6_EEPKT4_S5_PKS7_SB_S5_SD_S8_SB_S5_SD_SB_PS3_PS7_21rocsparse_index_base_SG_SG_SG_bbb ; -- Begin function _ZN9rocsparseL26csrgemm_fill_block_per_rowILj256ELj32ELj512ELj137ELj64Eli21rocsparse_complex_numIdEEEvT5_PKS3_S5_NS_24const_host_device_scalarIT6_EEPKT4_S5_PKS7_SB_S5_SD_S8_SB_S5_SD_SB_PS3_PS7_21rocsparse_index_base_SG_SG_SG_bbb
	.p2align	8
	.type	_ZN9rocsparseL26csrgemm_fill_block_per_rowILj256ELj32ELj512ELj137ELj64Eli21rocsparse_complex_numIdEEEvT5_PKS3_S5_NS_24const_host_device_scalarIT6_EEPKT4_S5_PKS7_SB_S5_SD_S8_SB_S5_SD_SB_PS3_PS7_21rocsparse_index_base_SG_SG_SG_bbb,@function
_ZN9rocsparseL26csrgemm_fill_block_per_rowILj256ELj32ELj512ELj137ELj64Eli21rocsparse_complex_numIdEEEvT5_PKS3_S5_NS_24const_host_device_scalarIT6_EEPKT4_S5_PKS7_SB_S5_SD_S8_SB_S5_SD_SB_PS3_PS7_21rocsparse_index_base_SG_SG_SG_bbb: ; @_ZN9rocsparseL26csrgemm_fill_block_per_rowILj256ELj32ELj512ELj137ELj64Eli21rocsparse_complex_numIdEEEvT5_PKS3_S5_NS_24const_host_device_scalarIT6_EEPKT4_S5_PKS7_SB_S5_SD_S8_SB_S5_SD_SB_PS3_PS7_21rocsparse_index_base_SG_SG_SG_bbb
; %bb.0:
	s_clause 0x2
	s_load_b32 s12, s[0:1], 0xa8
	s_load_b128 s[8:11], s[0:1], 0x18
	s_load_b128 s[4:7], s[0:1], 0x58
	v_mov_b32_e32 v1, 0
	v_mov_b32_e32 v2, 0
	s_waitcnt lgkmcnt(0)
	s_bitcmp1_b32 s12, 0
	v_mov_b32_e32 v3, s8
	s_cselect_b32 s13, -1, 0
	s_bitcmp1_b32 s12, 16
	v_dual_mov_b32 v6, v2 :: v_dual_mov_b32 v5, v1
	s_cselect_b32 s2, -1, 0
	v_mov_b32_e32 v4, s9
	s_xor_b32 s3, s2, -1
	v_dual_mov_b32 v10, s5 :: v_dual_mov_b32 v9, s4
	v_cndmask_b32_e64 v7, 0, 1, s3
	s_bitcmp0_b32 s12, 0
	s_clause 0x1
	scratch_store_b64 off, v[3:4], off offset:16
	scratch_store_b64 off, v[9:10], off offset:24
	v_cmp_ne_u32_e32 vcc_lo, 1, v7
	v_dual_mov_b32 v8, v2 :: v_dual_mov_b32 v7, v1
	s_cbranch_scc1 .LBB244_3
; %bb.1:
	s_mov_b64 s[16:17], src_private_base
	s_and_b32 s14, s2, exec_lo
	s_cselect_b32 s14, s17, s9
	s_delay_alu instid0(SALU_CYCLE_1) | instskip(SKIP_2) | instid1(VALU_DEP_2)
	v_dual_mov_b32 v3, 16 :: v_dual_mov_b32 v4, s14
	v_dual_mov_b32 v7, s10 :: v_dual_mov_b32 v8, s11
	s_and_b32 vcc_lo, exec_lo, vcc_lo
	v_cndmask_b32_e64 v3, s8, v3, s2
	flat_load_b64 v[5:6], v[3:4]
	s_cbranch_vccnz .LBB244_3
; %bb.2:
	v_dual_mov_b32 v3, s8 :: v_dual_mov_b32 v4, s9
	flat_load_b64 v[7:8], v[3:4] offset:8
.LBB244_3:
	s_load_b128 s[24:27], s[0:1], 0x98
	s_bitcmp1_b32 s12, 8
	v_dual_mov_b32 v4, v2 :: v_dual_mov_b32 v3, v1
	s_cselect_b32 s33, -1, 0
	s_bfe_u32 s8, s12, 0x10008
	s_delay_alu instid0(SALU_CYCLE_1)
	s_cmp_eq_u32 s8, 0
	s_cbranch_scc1 .LBB244_6
; %bb.4:
	s_mov_b64 s[8:9], src_private_base
	s_and_b32 s8, s2, exec_lo
	s_cselect_b32 s8, s9, s5
	s_delay_alu instid0(SALU_CYCLE_1) | instskip(SKIP_1) | instid1(VALU_DEP_1)
	v_dual_mov_b32 v1, 24 :: v_dual_mov_b32 v2, s8
	s_and_not1_b32 vcc_lo, exec_lo, s3
	v_cndmask_b32_e64 v1, s4, v1, s2
	flat_load_b64 v[3:4], v[1:2]
	v_dual_mov_b32 v1, s6 :: v_dual_mov_b32 v2, s7
	s_cbranch_vccnz .LBB244_6
; %bb.5:
	v_dual_mov_b32 v1, s4 :: v_dual_mov_b32 v2, s5
	flat_load_b64 v[1:2], v[1:2] offset:8
.LBB244_6:
	s_clause 0x5
	s_load_b128 s[28:31], s[0:1], 0x88
	s_load_b256 s[4:11], s[0:1], 0x68
	s_load_b128 s[36:39], s[0:1], 0x48
	s_load_b256 s[16:23], s[0:1], 0x28
	s_load_b128 s[40:43], s[0:1], 0x8
	s_load_b32 s14, s[0:1], 0x0
	v_cmp_gt_u32_e64 s0, 0x200, v0
	v_lshlrev_b32_e32 v27, 4, v0
	v_or_b32_e32 v25, 0xffffff00, v0
	v_lshl_add_u32 v26, v0, 2, 0
	s_delay_alu instid0(VALU_DEP_4)
	s_and_saveexec_b32 s1, s0
	s_cbranch_execz .LBB244_9
; %bb.7:
	s_mov_b32 s2, 0
	v_add3_u32 v13, v27, 0, 0x800
	s_mov_b32 s3, s2
	s_mov_b32 s34, s2
	;; [unrolled: 1-line block ×3, first 2 shown]
	v_dual_mov_b32 v10, s3 :: v_dual_mov_b32 v11, s34
	v_or_b32_e32 v14, 0xffffff00, v0
	v_lshl_add_u32 v15, v0, 2, 0
	s_waitcnt lgkmcnt(0)
	v_dual_mov_b32 v16, s14 :: v_dual_mov_b32 v9, s2
	v_mov_b32_e32 v12, s35
.LBB244_8:                              ; =>This Inner Loop Header: Depth=1
	v_add_co_u32 v14, s3, 0x100, v14
	s_delay_alu instid0(VALU_DEP_1)
	s_xor_b32 s3, s3, -1
	ds_store_b32 v15, v16
	ds_store_2addr_b64 v13, v[9:10], v[11:12] offset1:1
	v_add_nc_u32_e32 v13, 0x1000, v13
	v_add_nc_u32_e32 v15, 0x400, v15
	s_and_b32 s3, exec_lo, s3
	s_delay_alu instid0(SALU_CYCLE_1) | instskip(NEXT) | instid1(SALU_CYCLE_1)
	s_or_b32 s2, s3, s2
	s_and_not1_b32 exec_lo, exec_lo, s2
	s_cbranch_execnz .LBB244_8
.LBB244_9:
	s_or_b32 exec_lo, exec_lo, s1
	s_waitcnt vmcnt(0) lgkmcnt(0)
	s_waitcnt_vscnt null, 0x0
	s_barrier
	buffer_gl0_inv
	s_load_b32 s1, s[40:41], 0x0
	s_mov_b32 s3, 0
	s_waitcnt lgkmcnt(0)
	s_add_i32 s2, s1, s15
	s_delay_alu instid0(SALU_CYCLE_1) | instskip(NEXT) | instid1(SALU_CYCLE_1)
	s_lshl_b64 s[2:3], s[2:3], 2
	s_add_u32 s2, s42, s2
	s_addc_u32 s3, s43, s3
	s_and_b32 vcc_lo, exec_lo, s13
	s_load_b32 s12, s[2:3], 0x0
	s_cbranch_vccz .LBB244_37
; %bb.10:
	s_waitcnt lgkmcnt(0)
	s_ashr_i32 s13, s12, 31
	v_lshrrev_b32_e32 v9, 5, v0
	s_lshl_b64 s[2:3], s[12:13], 3
	s_delay_alu instid0(SALU_CYCLE_1) | instskip(SKIP_1) | instid1(VALU_DEP_1)
	s_add_u32 s2, s16, s2
	s_addc_u32 s3, s17, s3
	v_sub_co_u32 v9, s1, v9, s24
	s_load_b128 s[40:43], s[2:3], 0x0
	v_sub_co_ci_u32_e64 v10, null, 0, 0, s1
	s_mov_b32 s1, exec_lo
	s_waitcnt lgkmcnt(0)
	v_add_co_u32 v9, vcc_lo, s40, v9
	s_delay_alu instid0(VALU_DEP_2)
	v_add_co_ci_u32_e32 v10, vcc_lo, s41, v10, vcc_lo
	s_sub_u32 s2, s42, s24
	s_subb_u32 s3, s43, 0
	s_delay_alu instid0(VALU_DEP_1) | instid1(SALU_CYCLE_1)
	v_cmpx_gt_i64_e64 s[2:3], v[9:10]
	s_cbranch_execz .LBB244_36
; %bb.11:
	v_and_b32_e32 v11, 31, v0
	s_mov_b32 s15, s25
	s_delay_alu instid0(VALU_DEP_1) | instskip(NEXT) | instid1(VALU_DEP_1)
	v_sub_co_u32 v28, s13, v11, s25
	v_sub_co_ci_u32_e64 v29, null, 0, 0, s13
	s_mov_b32 s13, 0
	s_branch .LBB244_13
.LBB244_12:                             ;   in Loop: Header=BB244_13 Depth=1
	s_or_b32 exec_lo, exec_lo, s16
	v_add_co_u32 v9, vcc_lo, v9, 8
	v_add_co_ci_u32_e32 v10, vcc_lo, 0, v10, vcc_lo
	s_delay_alu instid0(VALU_DEP_1) | instskip(SKIP_1) | instid1(SALU_CYCLE_1)
	v_cmp_le_i64_e32 vcc_lo, s[2:3], v[9:10]
	s_or_b32 s13, vcc_lo, s13
	s_and_not1_b32 exec_lo, exec_lo, s13
	s_cbranch_execz .LBB244_36
.LBB244_13:                             ; =>This Loop Header: Depth=1
                                        ;     Child Loop BB244_16 Depth 2
                                        ;       Child Loop BB244_18 Depth 3
                                        ;         Child Loop BB244_24 Depth 4
                                        ;         Child Loop BB244_26 Depth 4
                                        ;         Child Loop BB244_32 Depth 4
                                        ;         Child Loop BB244_34 Depth 4
	v_lshlrev_b64 v[11:12], 2, v[9:10]
	s_mov_b32 s16, exec_lo
	s_delay_alu instid0(VALU_DEP_1) | instskip(NEXT) | instid1(VALU_DEP_2)
	v_add_co_u32 v11, vcc_lo, s18, v11
	v_add_co_ci_u32_e32 v12, vcc_lo, s19, v12, vcc_lo
	global_load_b32 v11, v[11:12], off
	s_waitcnt vmcnt(0)
	v_subrev_nc_u32_e32 v11, s24, v11
	s_delay_alu instid0(VALU_DEP_1) | instskip(NEXT) | instid1(VALU_DEP_1)
	v_ashrrev_i32_e32 v12, 31, v11
	v_lshlrev_b64 v[11:12], 3, v[11:12]
	s_delay_alu instid0(VALU_DEP_1) | instskip(NEXT) | instid1(VALU_DEP_2)
	v_add_co_u32 v11, vcc_lo, s22, v11
	v_add_co_ci_u32_e32 v12, vcc_lo, s23, v12, vcc_lo
	global_load_b128 v[13:16], v[11:12], off
	s_waitcnt vmcnt(0)
	v_sub_co_u32 v11, vcc_lo, v15, s15
	v_subrev_co_ci_u32_e32 v12, vcc_lo, 0, v16, vcc_lo
	v_add_co_u32 v13, vcc_lo, v13, v28
	v_add_co_ci_u32_e32 v14, vcc_lo, v14, v29, vcc_lo
	s_delay_alu instid0(VALU_DEP_1)
	v_cmpx_lt_i64_e64 v[13:14], v[11:12]
	s_cbranch_execz .LBB244_12
; %bb.14:                               ;   in Loop: Header=BB244_13 Depth=1
	v_lshlrev_b64 v[15:16], 4, v[9:10]
	s_mov_b32 s17, 0
	s_delay_alu instid0(VALU_DEP_1) | instskip(NEXT) | instid1(VALU_DEP_2)
	v_add_co_u32 v15, vcc_lo, s20, v15
	v_add_co_ci_u32_e32 v16, vcc_lo, s21, v16, vcc_lo
	global_load_b128 v[17:20], v[15:16], off
	s_waitcnt vmcnt(0)
	v_mul_f64 v[15:16], v[19:20], -v[7:8]
	v_mul_f64 v[19:20], v[5:6], v[19:20]
	s_delay_alu instid0(VALU_DEP_2) | instskip(NEXT) | instid1(VALU_DEP_2)
	v_fma_f64 v[15:16], v[5:6], v[17:18], v[15:16]
	v_fma_f64 v[17:18], v[7:8], v[17:18], v[19:20]
	s_branch .LBB244_16
.LBB244_15:                             ;   in Loop: Header=BB244_16 Depth=2
	s_or_b32 exec_lo, exec_lo, s34
	v_add_co_u32 v13, vcc_lo, v13, 32
	v_add_co_ci_u32_e32 v14, vcc_lo, 0, v14, vcc_lo
	s_delay_alu instid0(VALU_DEP_1) | instskip(SKIP_1) | instid1(SALU_CYCLE_1)
	v_cmp_ge_i64_e32 vcc_lo, v[13:14], v[11:12]
	s_or_b32 s17, vcc_lo, s17
	s_and_not1_b32 exec_lo, exec_lo, s17
	s_cbranch_execz .LBB244_12
.LBB244_16:                             ;   Parent Loop BB244_13 Depth=1
                                        ; =>  This Loop Header: Depth=2
                                        ;       Child Loop BB244_18 Depth 3
                                        ;         Child Loop BB244_24 Depth 4
                                        ;         Child Loop BB244_26 Depth 4
	;; [unrolled: 1-line block ×4, first 2 shown]
	v_lshlrev_b64 v[19:20], 4, v[13:14]
	s_mov_b32 s34, 0
	s_delay_alu instid0(VALU_DEP_1) | instskip(NEXT) | instid1(VALU_DEP_2)
	v_add_co_u32 v19, vcc_lo, s38, v19
	v_add_co_ci_u32_e32 v20, vcc_lo, s39, v20, vcc_lo
	global_load_b128 v[21:24], v[19:20], off
	v_lshlrev_b64 v[19:20], 2, v[13:14]
	s_delay_alu instid0(VALU_DEP_1) | instskip(NEXT) | instid1(VALU_DEP_2)
	v_add_co_u32 v19, vcc_lo, s36, v19
	v_add_co_ci_u32_e32 v20, vcc_lo, s37, v20, vcc_lo
	global_load_b32 v30, v[19:20], off
	s_waitcnt vmcnt(1)
	v_mul_f64 v[19:20], v[23:24], -v[17:18]
	v_mul_f64 v[23:24], v[15:16], v[23:24]
	s_waitcnt vmcnt(0)
	v_subrev_nc_u32_e32 v30, s25, v30
	s_delay_alu instid0(VALU_DEP_3) | instskip(NEXT) | instid1(VALU_DEP_3)
	v_fma_f64 v[19:20], v[15:16], v[21:22], v[19:20]
	v_fma_f64 v[21:22], v[17:18], v[21:22], v[23:24]
	s_delay_alu instid0(VALU_DEP_3) | instskip(NEXT) | instid1(VALU_DEP_1)
	v_mul_lo_u32 v23, 0x89, v30
	v_and_b32_e32 v31, 0x1ff, v23
	s_branch .LBB244_18
.LBB244_17:                             ;   in Loop: Header=BB244_18 Depth=3
	s_or_b32 exec_lo, exec_lo, s35
	s_xor_b32 s35, s40, -1
	s_delay_alu instid0(SALU_CYCLE_1) | instskip(NEXT) | instid1(SALU_CYCLE_1)
	s_and_b32 s35, exec_lo, s35
	s_or_b32 s34, s35, s34
	s_delay_alu instid0(SALU_CYCLE_1)
	s_and_not1_b32 exec_lo, exec_lo, s34
	s_cbranch_execz .LBB244_15
.LBB244_18:                             ;   Parent Loop BB244_13 Depth=1
                                        ;     Parent Loop BB244_16 Depth=2
                                        ; =>    This Loop Header: Depth=3
                                        ;         Child Loop BB244_24 Depth 4
                                        ;         Child Loop BB244_26 Depth 4
	;; [unrolled: 1-line block ×4, first 2 shown]
	s_delay_alu instid0(VALU_DEP_1)
	v_lshl_add_u32 v23, v31, 2, 0
	s_mov_b32 s35, exec_lo
                                        ; implicit-def: $sgpr40
	ds_load_b32 v24, v23
	s_waitcnt lgkmcnt(0)
	v_cmpx_ne_u32_e64 v24, v30
	s_xor_b32 s35, exec_lo, s35
	s_cbranch_execz .LBB244_30
; %bb.19:                               ;   in Loop: Header=BB244_18 Depth=3
	s_mov_b32 s41, exec_lo
                                        ; implicit-def: $sgpr40
	v_cmpx_ne_u32_e64 s14, v24
	s_xor_b32 s41, exec_lo, s41
; %bb.20:                               ;   in Loop: Header=BB244_18 Depth=3
	v_add_nc_u32_e32 v23, 1, v31
	s_mov_b32 s40, -1
	s_delay_alu instid0(VALU_DEP_1)
	v_and_b32_e32 v31, 0x1ff, v23
                                        ; implicit-def: $vgpr23
; %bb.21:                               ;   in Loop: Header=BB244_18 Depth=3
	s_and_not1_saveexec_b32 s41, s41
	s_cbranch_execz .LBB244_29
; %bb.22:                               ;   in Loop: Header=BB244_18 Depth=3
	v_mov_b32_e32 v24, s14
	s_mov_b32 s43, -1
	s_mov_b32 s42, exec_lo
	ds_cmpstore_rtn_b32 v24, v23, v30, v24
	s_waitcnt lgkmcnt(0)
	v_cmpx_eq_u32_e64 s14, v24
	s_cbranch_execz .LBB244_28
; %bb.23:                               ;   in Loop: Header=BB244_18 Depth=3
	v_mul_lo_u32 v24, v31, 12
	s_mov_b32 s43, 0
	s_delay_alu instid0(VALU_DEP_1)
	v_add_nc_u32_e32 v32, v23, v24
	ds_load_b64 v[23:24], v32 offset:2048
.LBB244_24:                             ;   Parent Loop BB244_13 Depth=1
                                        ;     Parent Loop BB244_16 Depth=2
                                        ;       Parent Loop BB244_18 Depth=3
                                        ; =>      This Inner Loop Header: Depth=4
	s_waitcnt lgkmcnt(0)
	v_add_f64 v[33:34], v[23:24], v[19:20]
	ds_cmpstore_rtn_b64 v[33:34], v32, v[33:34], v[23:24] offset:2048
	s_waitcnt lgkmcnt(0)
	v_cmp_eq_u64_e32 vcc_lo, v[33:34], v[23:24]
	v_dual_mov_b32 v23, v33 :: v_dual_mov_b32 v24, v34
	s_or_b32 s43, vcc_lo, s43
	s_delay_alu instid0(SALU_CYCLE_1)
	s_and_not1_b32 exec_lo, exec_lo, s43
	s_cbranch_execnz .LBB244_24
; %bb.25:                               ;   in Loop: Header=BB244_18 Depth=3
	s_or_b32 exec_lo, exec_lo, s43
	ds_load_b64 v[23:24], v32 offset:2056
	s_mov_b32 s43, 0
.LBB244_26:                             ;   Parent Loop BB244_13 Depth=1
                                        ;     Parent Loop BB244_16 Depth=2
                                        ;       Parent Loop BB244_18 Depth=3
                                        ; =>      This Inner Loop Header: Depth=4
	s_waitcnt lgkmcnt(0)
	v_add_f64 v[33:34], v[23:24], v[21:22]
	ds_cmpstore_rtn_b64 v[33:34], v32, v[33:34], v[23:24] offset:2056
	s_waitcnt lgkmcnt(0)
	v_cmp_eq_u64_e32 vcc_lo, v[33:34], v[23:24]
	v_dual_mov_b32 v23, v33 :: v_dual_mov_b32 v24, v34
	s_or_b32 s43, vcc_lo, s43
	s_delay_alu instid0(SALU_CYCLE_1)
	s_and_not1_b32 exec_lo, exec_lo, s43
	s_cbranch_execnz .LBB244_26
; %bb.27:                               ;   in Loop: Header=BB244_18 Depth=3
	s_or_b32 exec_lo, exec_lo, s43
	s_delay_alu instid0(SALU_CYCLE_1)
	s_xor_b32 s43, exec_lo, -1
.LBB244_28:                             ;   in Loop: Header=BB244_18 Depth=3
	s_or_b32 exec_lo, exec_lo, s42
	s_delay_alu instid0(SALU_CYCLE_1) | instskip(SKIP_1) | instid1(SALU_CYCLE_1)
	s_and_not1_b32 s40, s40, exec_lo
	s_and_b32 s42, s43, exec_lo
	s_or_b32 s40, s40, s42
.LBB244_29:                             ;   in Loop: Header=BB244_18 Depth=3
	s_or_b32 exec_lo, exec_lo, s41
	s_delay_alu instid0(SALU_CYCLE_1)
	s_and_b32 s40, s40, exec_lo
                                        ; implicit-def: $vgpr23
.LBB244_30:                             ;   in Loop: Header=BB244_18 Depth=3
	s_and_not1_saveexec_b32 s35, s35
	s_cbranch_execz .LBB244_17
; %bb.31:                               ;   in Loop: Header=BB244_18 Depth=3
	v_mul_lo_u32 v24, v31, 12
	s_mov_b32 s41, 0
	s_delay_alu instid0(VALU_DEP_1)
	v_add_nc_u32_e32 v32, v23, v24
	ds_load_b64 v[23:24], v32 offset:2048
.LBB244_32:                             ;   Parent Loop BB244_13 Depth=1
                                        ;     Parent Loop BB244_16 Depth=2
                                        ;       Parent Loop BB244_18 Depth=3
                                        ; =>      This Inner Loop Header: Depth=4
	s_waitcnt lgkmcnt(0)
	v_add_f64 v[33:34], v[23:24], v[19:20]
	ds_cmpstore_rtn_b64 v[33:34], v32, v[33:34], v[23:24] offset:2048
	s_waitcnt lgkmcnt(0)
	v_cmp_eq_u64_e32 vcc_lo, v[33:34], v[23:24]
	v_dual_mov_b32 v23, v33 :: v_dual_mov_b32 v24, v34
	s_or_b32 s41, vcc_lo, s41
	s_delay_alu instid0(SALU_CYCLE_1)
	s_and_not1_b32 exec_lo, exec_lo, s41
	s_cbranch_execnz .LBB244_32
; %bb.33:                               ;   in Loop: Header=BB244_18 Depth=3
	s_or_b32 exec_lo, exec_lo, s41
	ds_load_b64 v[23:24], v32 offset:2056
	s_mov_b32 s41, 0
.LBB244_34:                             ;   Parent Loop BB244_13 Depth=1
                                        ;     Parent Loop BB244_16 Depth=2
                                        ;       Parent Loop BB244_18 Depth=3
                                        ; =>      This Inner Loop Header: Depth=4
	s_waitcnt lgkmcnt(0)
	v_add_f64 v[33:34], v[23:24], v[21:22]
	ds_cmpstore_rtn_b64 v[33:34], v32, v[33:34], v[23:24] offset:2056
	s_waitcnt lgkmcnt(0)
	v_cmp_eq_u64_e32 vcc_lo, v[33:34], v[23:24]
	v_dual_mov_b32 v23, v33 :: v_dual_mov_b32 v24, v34
	s_or_b32 s41, vcc_lo, s41
	s_delay_alu instid0(SALU_CYCLE_1)
	s_and_not1_b32 exec_lo, exec_lo, s41
	s_cbranch_execnz .LBB244_34
; %bb.35:                               ;   in Loop: Header=BB244_18 Depth=3
	s_or_b32 exec_lo, exec_lo, s41
	s_delay_alu instid0(SALU_CYCLE_1)
	s_and_not1_b32 s40, s40, exec_lo
	s_branch .LBB244_17
.LBB244_36:
	s_or_b32 exec_lo, exec_lo, s1
.LBB244_37:
	s_delay_alu instid0(SALU_CYCLE_1)
	s_and_not1_b32 vcc_lo, exec_lo, s33
	s_cbranch_vccnz .LBB244_40
; %bb.38:
	s_waitcnt lgkmcnt(0)
	s_ashr_i32 s13, s12, 31
	v_sub_co_u32 v5, s1, v0, s27
	s_lshl_b64 s[2:3], s[12:13], 3
	v_sub_co_ci_u32_e64 v6, null, 0, 0, s1
	s_add_u32 s2, s4, s2
	s_addc_u32 s3, s5, s3
	s_mov_b32 s4, 0
	s_load_b128 s[16:19], s[2:3], 0x0
	s_mov_b32 s1, exec_lo
	s_waitcnt lgkmcnt(0)
	v_add_co_u32 v5, vcc_lo, s16, v5
	v_add_co_ci_u32_e32 v6, vcc_lo, s17, v6, vcc_lo
	s_sub_u32 s2, s18, s27
	s_subb_u32 s3, s19, 0
	s_delay_alu instid0(VALU_DEP_1) | instid1(SALU_CYCLE_1)
	v_cmpx_gt_i64_e64 s[2:3], v[5:6]
	s_cbranch_execnz .LBB244_54
.LBB244_39:
	s_or_b32 exec_lo, exec_lo, s1
.LBB244_40:
	s_waitcnt lgkmcnt(0)
	s_barrier
	buffer_gl0_inv
	s_and_saveexec_b32 s4, s0
	s_cbranch_execz .LBB244_74
; %bb.41:
	v_mbcnt_lo_u32_b32 v1, -1, 0
	v_lshrrev_b32_e32 v2, 4, v0
	v_cmp_eq_u32_e32 vcc_lo, 0xff, v0
	v_cmp_lt_u32_e64 s0, 63, v0
	v_cmp_lt_u32_e64 s1, 0x7f, v0
	v_xor_b32_e32 v1, 63, v1
	v_dual_mov_b32 v5, 0 :: v_dual_and_b32 v4, 12, v2
	v_cmp_lt_u32_e64 s2, 0xbf, v0
	v_add3_u32 v3, v27, 0, 0x800
	s_delay_alu instid0(VALU_DEP_4) | instskip(NEXT) | instid1(VALU_DEP_4)
	v_lshrrev_b64 v[1:2], v1, -1
	v_add_nc_u32_e32 v2, 0, v4
	v_mov_b32_e32 v4, 0
	s_mov_b32 s5, 0
	s_branch .LBB244_43
.LBB244_42:                             ;   in Loop: Header=BB244_43 Depth=1
	s_or_b32 exec_lo, exec_lo, s3
	s_waitcnt lgkmcnt(0)
	s_barrier
	buffer_gl0_inv
	ds_load_b32 v6, v4 offset:10252
	v_add_co_u32 v25, s3, 0x100, v25
	s_delay_alu instid0(VALU_DEP_1) | instskip(SKIP_3) | instid1(SALU_CYCLE_1)
	s_xor_b32 s3, s3, -1
	v_add_nc_u32_e32 v3, 0x1000, v3
	v_add_nc_u32_e32 v26, 0x400, v26
	s_and_b32 s3, exec_lo, s3
	s_or_b32 s5, s3, s5
	s_waitcnt lgkmcnt(0)
	v_add_nc_u32_e32 v5, v6, v5
	s_and_not1_b32 exec_lo, exec_lo, s5
	s_cbranch_execz .LBB244_74
.LBB244_43:                             ; =>This Inner Loop Header: Depth=1
	ds_load_b32 v6, v26
	ds_load_2addr_b64 v[7:10], v3 offset1:1
	s_waitcnt lgkmcnt(1)
	v_cmp_gt_i32_e64 s3, s14, v6
	s_waitcnt lgkmcnt(0)
	scratch_store_b128 off, v[7:10], off
	s_waitcnt_vscnt null, 0x0
	s_barrier
	buffer_gl0_inv
	s_bcnt1_i32_b32 s6, s3
	s_delay_alu instid0(SALU_CYCLE_1) | instskip(NEXT) | instid1(VALU_DEP_1)
	v_dual_mov_b32 v8, s6 :: v_dual_and_b32 v7, s3, v1
	v_bcnt_u32_b32 v7, v7, 0
	ds_store_b32 v2, v8 offset:10240
	s_waitcnt lgkmcnt(0)
	s_barrier
	buffer_gl0_inv
	s_and_saveexec_b32 s6, s0
	s_cbranch_execnz .LBB244_48
; %bb.44:                               ;   in Loop: Header=BB244_43 Depth=1
	s_or_b32 exec_lo, exec_lo, s6
	s_and_saveexec_b32 s6, s1
	s_cbranch_execnz .LBB244_49
.LBB244_45:                             ;   in Loop: Header=BB244_43 Depth=1
	s_or_b32 exec_lo, exec_lo, s6
	s_and_saveexec_b32 s6, s2
	s_cbranch_execnz .LBB244_50
.LBB244_46:                             ;   in Loop: Header=BB244_43 Depth=1
	s_or_b32 exec_lo, exec_lo, s6
	s_and_saveexec_b32 s6, s3
	s_cbranch_execnz .LBB244_51
.LBB244_47:                             ;   in Loop: Header=BB244_43 Depth=1
	s_or_b32 exec_lo, exec_lo, s6
	s_and_saveexec_b32 s3, vcc_lo
	s_cbranch_execz .LBB244_42
	s_branch .LBB244_52
.LBB244_48:                             ;   in Loop: Header=BB244_43 Depth=1
	ds_load_b32 v8, v4 offset:10240
	s_waitcnt lgkmcnt(0)
	v_add_nc_u32_e32 v7, v8, v7
	s_or_b32 exec_lo, exec_lo, s6
	s_and_saveexec_b32 s6, s1
	s_cbranch_execz .LBB244_45
.LBB244_49:                             ;   in Loop: Header=BB244_43 Depth=1
	ds_load_b32 v8, v4 offset:10244
	s_waitcnt lgkmcnt(0)
	v_add_nc_u32_e32 v7, v8, v7
	s_or_b32 exec_lo, exec_lo, s6
	s_and_saveexec_b32 s6, s2
	s_cbranch_execz .LBB244_46
.LBB244_50:                             ;   in Loop: Header=BB244_43 Depth=1
	ds_load_b32 v8, v4 offset:10248
	s_waitcnt lgkmcnt(0)
	v_add_nc_u32_e32 v7, v8, v7
	s_or_b32 exec_lo, exec_lo, s6
	s_and_saveexec_b32 s6, s3
	s_cbranch_execz .LBB244_47
.LBB244_51:                             ;   in Loop: Header=BB244_43 Depth=1
	scratch_load_b128 v[8:11], off, off
	v_add3_u32 v12, v5, -1, v7
	s_delay_alu instid0(VALU_DEP_1) | instskip(SKIP_1) | instid1(VALU_DEP_2)
	v_lshlrev_b32_e32 v13, 4, v12
	v_lshl_add_u32 v12, v12, 2, 0
	v_add3_u32 v13, 0, v13, 0x800
	ds_store_b32 v12, v6
	s_waitcnt vmcnt(0)
	ds_store_2addr_b64 v13, v[8:9], v[10:11] offset1:1
	s_or_b32 exec_lo, exec_lo, s6
	s_and_saveexec_b32 s3, vcc_lo
	s_cbranch_execz .LBB244_42
.LBB244_52:                             ;   in Loop: Header=BB244_43 Depth=1
	ds_store_b32 v4, v7 offset:10252
	s_branch .LBB244_42
.LBB244_53:                             ;   in Loop: Header=BB244_54 Depth=1
	s_or_b32 exec_lo, exec_lo, s5
	v_add_co_u32 v5, vcc_lo, 0x100, v5
	v_add_co_ci_u32_e32 v6, vcc_lo, 0, v6, vcc_lo
	s_delay_alu instid0(VALU_DEP_1) | instskip(SKIP_1) | instid1(SALU_CYCLE_1)
	v_cmp_le_i64_e32 vcc_lo, s[2:3], v[5:6]
	s_or_b32 s4, vcc_lo, s4
	s_and_not1_b32 exec_lo, exec_lo, s4
	s_cbranch_execz .LBB244_39
.LBB244_54:                             ; =>This Loop Header: Depth=1
                                        ;     Child Loop BB244_56 Depth 2
                                        ;       Child Loop BB244_62 Depth 3
                                        ;       Child Loop BB244_64 Depth 3
	;; [unrolled: 1-line block ×4, first 2 shown]
	v_lshlrev_b64 v[7:8], 4, v[5:6]
	s_mov_b32 s5, 0
	s_delay_alu instid0(VALU_DEP_1) | instskip(NEXT) | instid1(VALU_DEP_2)
	v_add_co_u32 v7, vcc_lo, s8, v7
	v_add_co_ci_u32_e32 v8, vcc_lo, s9, v8, vcc_lo
	global_load_b128 v[9:12], v[7:8], off
	v_lshlrev_b64 v[7:8], 2, v[5:6]
	s_delay_alu instid0(VALU_DEP_1) | instskip(NEXT) | instid1(VALU_DEP_2)
	v_add_co_u32 v7, vcc_lo, s6, v7
	v_add_co_ci_u32_e32 v8, vcc_lo, s7, v8, vcc_lo
	global_load_b32 v13, v[7:8], off
	s_waitcnt vmcnt(1)
	v_mul_f64 v[7:8], v[11:12], -v[1:2]
	v_mul_f64 v[11:12], v[3:4], v[11:12]
	s_waitcnt vmcnt(0)
	v_subrev_nc_u32_e32 v13, s27, v13
	s_delay_alu instid0(VALU_DEP_3) | instskip(NEXT) | instid1(VALU_DEP_3)
	v_fma_f64 v[7:8], v[3:4], v[9:10], v[7:8]
	v_fma_f64 v[9:10], v[1:2], v[9:10], v[11:12]
	s_delay_alu instid0(VALU_DEP_3) | instskip(NEXT) | instid1(VALU_DEP_1)
	v_mul_lo_u32 v11, 0x89, v13
	v_and_b32_e32 v14, 0x1ff, v11
	s_branch .LBB244_56
.LBB244_55:                             ;   in Loop: Header=BB244_56 Depth=2
	s_or_b32 exec_lo, exec_lo, s13
	s_xor_b32 s13, s15, -1
	s_delay_alu instid0(SALU_CYCLE_1) | instskip(NEXT) | instid1(SALU_CYCLE_1)
	s_and_b32 s13, exec_lo, s13
	s_or_b32 s5, s13, s5
	s_delay_alu instid0(SALU_CYCLE_1)
	s_and_not1_b32 exec_lo, exec_lo, s5
	s_cbranch_execz .LBB244_53
.LBB244_56:                             ;   Parent Loop BB244_54 Depth=1
                                        ; =>  This Loop Header: Depth=2
                                        ;       Child Loop BB244_62 Depth 3
                                        ;       Child Loop BB244_64 Depth 3
	;; [unrolled: 1-line block ×4, first 2 shown]
	s_delay_alu instid0(VALU_DEP_1)
	v_lshl_add_u32 v11, v14, 2, 0
	s_mov_b32 s13, exec_lo
                                        ; implicit-def: $sgpr15
	ds_load_b32 v12, v11
	s_waitcnt lgkmcnt(0)
	v_cmpx_ne_u32_e64 v12, v13
	s_xor_b32 s13, exec_lo, s13
	s_cbranch_execz .LBB244_68
; %bb.57:                               ;   in Loop: Header=BB244_56 Depth=2
	s_mov_b32 s16, exec_lo
                                        ; implicit-def: $sgpr15
	v_cmpx_ne_u32_e64 s14, v12
	s_xor_b32 s16, exec_lo, s16
; %bb.58:                               ;   in Loop: Header=BB244_56 Depth=2
	v_add_nc_u32_e32 v11, 1, v14
	s_mov_b32 s15, -1
	s_delay_alu instid0(VALU_DEP_1)
	v_and_b32_e32 v14, 0x1ff, v11
                                        ; implicit-def: $vgpr11
; %bb.59:                               ;   in Loop: Header=BB244_56 Depth=2
	s_and_not1_saveexec_b32 s16, s16
	s_cbranch_execz .LBB244_67
; %bb.60:                               ;   in Loop: Header=BB244_56 Depth=2
	v_mov_b32_e32 v12, s14
	s_mov_b32 s18, -1
	s_mov_b32 s17, exec_lo
	ds_cmpstore_rtn_b32 v12, v11, v13, v12
	s_waitcnt lgkmcnt(0)
	v_cmpx_eq_u32_e64 s14, v12
	s_cbranch_execz .LBB244_66
; %bb.61:                               ;   in Loop: Header=BB244_56 Depth=2
	v_mul_lo_u32 v12, v14, 12
	s_mov_b32 s18, 0
	s_delay_alu instid0(VALU_DEP_1)
	v_add_nc_u32_e32 v15, v11, v12
	ds_load_b64 v[11:12], v15 offset:2048
.LBB244_62:                             ;   Parent Loop BB244_54 Depth=1
                                        ;     Parent Loop BB244_56 Depth=2
                                        ; =>    This Inner Loop Header: Depth=3
	s_waitcnt lgkmcnt(0)
	v_add_f64 v[16:17], v[11:12], v[7:8]
	ds_cmpstore_rtn_b64 v[16:17], v15, v[16:17], v[11:12] offset:2048
	s_waitcnt lgkmcnt(0)
	v_cmp_eq_u64_e32 vcc_lo, v[16:17], v[11:12]
	v_dual_mov_b32 v11, v16 :: v_dual_mov_b32 v12, v17
	s_or_b32 s18, vcc_lo, s18
	s_delay_alu instid0(SALU_CYCLE_1)
	s_and_not1_b32 exec_lo, exec_lo, s18
	s_cbranch_execnz .LBB244_62
; %bb.63:                               ;   in Loop: Header=BB244_56 Depth=2
	s_or_b32 exec_lo, exec_lo, s18
	ds_load_b64 v[11:12], v15 offset:2056
	s_mov_b32 s18, 0
.LBB244_64:                             ;   Parent Loop BB244_54 Depth=1
                                        ;     Parent Loop BB244_56 Depth=2
                                        ; =>    This Inner Loop Header: Depth=3
	s_waitcnt lgkmcnt(0)
	v_add_f64 v[16:17], v[11:12], v[9:10]
	ds_cmpstore_rtn_b64 v[16:17], v15, v[16:17], v[11:12] offset:2056
	s_waitcnt lgkmcnt(0)
	v_cmp_eq_u64_e32 vcc_lo, v[16:17], v[11:12]
	v_dual_mov_b32 v11, v16 :: v_dual_mov_b32 v12, v17
	s_or_b32 s18, vcc_lo, s18
	s_delay_alu instid0(SALU_CYCLE_1)
	s_and_not1_b32 exec_lo, exec_lo, s18
	s_cbranch_execnz .LBB244_64
; %bb.65:                               ;   in Loop: Header=BB244_56 Depth=2
	s_or_b32 exec_lo, exec_lo, s18
	s_delay_alu instid0(SALU_CYCLE_1)
	s_xor_b32 s18, exec_lo, -1
.LBB244_66:                             ;   in Loop: Header=BB244_56 Depth=2
	s_or_b32 exec_lo, exec_lo, s17
	s_delay_alu instid0(SALU_CYCLE_1) | instskip(SKIP_1) | instid1(SALU_CYCLE_1)
	s_and_not1_b32 s15, s15, exec_lo
	s_and_b32 s17, s18, exec_lo
	s_or_b32 s15, s15, s17
.LBB244_67:                             ;   in Loop: Header=BB244_56 Depth=2
	s_or_b32 exec_lo, exec_lo, s16
	s_delay_alu instid0(SALU_CYCLE_1)
	s_and_b32 s15, s15, exec_lo
                                        ; implicit-def: $vgpr11
.LBB244_68:                             ;   in Loop: Header=BB244_56 Depth=2
	s_and_not1_saveexec_b32 s13, s13
	s_cbranch_execz .LBB244_55
; %bb.69:                               ;   in Loop: Header=BB244_56 Depth=2
	v_mul_lo_u32 v12, v14, 12
	s_mov_b32 s16, 0
	s_delay_alu instid0(VALU_DEP_1)
	v_add_nc_u32_e32 v15, v11, v12
	ds_load_b64 v[11:12], v15 offset:2048
.LBB244_70:                             ;   Parent Loop BB244_54 Depth=1
                                        ;     Parent Loop BB244_56 Depth=2
                                        ; =>    This Inner Loop Header: Depth=3
	s_waitcnt lgkmcnt(0)
	v_add_f64 v[16:17], v[11:12], v[7:8]
	ds_cmpstore_rtn_b64 v[16:17], v15, v[16:17], v[11:12] offset:2048
	s_waitcnt lgkmcnt(0)
	v_cmp_eq_u64_e32 vcc_lo, v[16:17], v[11:12]
	v_dual_mov_b32 v11, v16 :: v_dual_mov_b32 v12, v17
	s_or_b32 s16, vcc_lo, s16
	s_delay_alu instid0(SALU_CYCLE_1)
	s_and_not1_b32 exec_lo, exec_lo, s16
	s_cbranch_execnz .LBB244_70
; %bb.71:                               ;   in Loop: Header=BB244_56 Depth=2
	s_or_b32 exec_lo, exec_lo, s16
	ds_load_b64 v[11:12], v15 offset:2056
	s_mov_b32 s16, 0
.LBB244_72:                             ;   Parent Loop BB244_54 Depth=1
                                        ;     Parent Loop BB244_56 Depth=2
                                        ; =>    This Inner Loop Header: Depth=3
	s_waitcnt lgkmcnt(0)
	v_add_f64 v[16:17], v[11:12], v[9:10]
	ds_cmpstore_rtn_b64 v[16:17], v15, v[16:17], v[11:12] offset:2056
	s_waitcnt lgkmcnt(0)
	v_cmp_eq_u64_e32 vcc_lo, v[16:17], v[11:12]
	v_dual_mov_b32 v11, v16 :: v_dual_mov_b32 v12, v17
	s_or_b32 s16, vcc_lo, s16
	s_delay_alu instid0(SALU_CYCLE_1)
	s_and_not1_b32 exec_lo, exec_lo, s16
	s_cbranch_execnz .LBB244_72
; %bb.73:                               ;   in Loop: Header=BB244_56 Depth=2
	s_or_b32 exec_lo, exec_lo, s16
	s_delay_alu instid0(SALU_CYCLE_1)
	s_and_not1_b32 s15, s15, exec_lo
	s_branch .LBB244_55
.LBB244_74:
	s_or_b32 exec_lo, exec_lo, s4
	s_ashr_i32 s13, s12, 31
	s_mov_b32 s4, exec_lo
	s_lshl_b64 s[0:1], s[12:13], 3
	s_delay_alu instid0(SALU_CYCLE_1) | instskip(SKIP_4) | instid1(SALU_CYCLE_1)
	s_add_u32 s0, s10, s0
	s_addc_u32 s1, s11, s1
	s_load_b128 s[0:3], s[0:1], 0x0
	s_waitcnt lgkmcnt(0)
	s_sub_i32 s3, s2, s0
	v_cmpx_gt_i32_e64 s3, v0
	s_cbranch_execz .LBB244_84
; %bb.75:
	s_sub_u32 s4, s0, s26
	s_subb_u32 s5, s1, 0
	s_sub_i32 s0, s0, s2
	s_and_b32 s1, s3, 7
	s_cmp_lt_u32 s0, -7
	s_mov_b32 s8, 0
	s_cselect_b32 s2, -1, 0
	s_and_b32 s6, s3, -8
	s_cmp_lg_u32 s1, 0
	s_cselect_b32 s7, -1, 0
	s_branch .LBB244_77
.LBB244_76:                             ;   in Loop: Header=BB244_77 Depth=1
	v_mul_lo_u32 v5, v0, 12
	s_delay_alu instid0(VALU_DEP_2) | instskip(SKIP_4) | instid1(VALU_DEP_4)
	v_lshlrev_b64 v[8:9], 2, v[1:2]
	v_lshlrev_b64 v[1:2], 4, v[1:2]
	v_add_nc_u32_e32 v0, 0x100, v0
	s_waitcnt lgkmcnt(0)
	v_add_nc_u32_e32 v3, s26, v3
	v_add_co_u32 v8, vcc_lo, s28, v8
	v_add3_u32 v4, v4, v5, 0x800
	v_add_co_ci_u32_e32 v9, vcc_lo, s29, v9, vcc_lo
	v_cmp_le_i32_e32 vcc_lo, s3, v0
	v_add_co_u32 v1, s0, s30, v1
	ds_load_2addr_b64 v[4:7], v4 offset1:1
	v_add_co_ci_u32_e64 v2, s0, s31, v2, s0
	s_or_b32 s8, vcc_lo, s8
	global_store_b32 v[8:9], v3, off
	s_waitcnt lgkmcnt(0)
	global_store_b128 v[1:2], v[4:7], off
	s_and_not1_b32 exec_lo, exec_lo, s8
	s_cbranch_execz .LBB244_84
.LBB244_77:                             ; =>This Loop Header: Depth=1
                                        ;     Child Loop BB244_79 Depth 2
                                        ;     Child Loop BB244_83 Depth 2
	v_lshl_add_u32 v4, v0, 2, 0
	v_dual_mov_b32 v1, s4 :: v_dual_mov_b32 v2, s5
	s_and_not1_b32 vcc_lo, exec_lo, s2
	s_mov_b32 s0, 0
	ds_load_b32 v3, v4
	s_cbranch_vccnz .LBB244_81
; %bb.78:                               ;   in Loop: Header=BB244_77 Depth=1
	v_dual_mov_b32 v1, s4 :: v_dual_mov_b32 v2, s5
	s_mov_b32 s9, 0
	s_mov_b32 s10, 0
.LBB244_79:                             ;   Parent Loop BB244_77 Depth=1
                                        ; =>  This Inner Loop Header: Depth=2
	s_delay_alu instid0(SALU_CYCLE_1)
	v_mov_b32_e32 v11, s10
	s_add_i32 s9, s9, 8
	s_add_i32 s10, s10, 32
	s_cmp_eq_u32 s6, s9
	ds_load_2addr_b32 v[5:6], v11 offset1:1
	ds_load_2addr_b32 v[7:8], v11 offset0:2 offset1:3
	ds_load_2addr_b32 v[9:10], v11 offset0:4 offset1:5
	;; [unrolled: 1-line block ×3, first 2 shown]
	s_waitcnt lgkmcnt(3)
	v_cmp_gt_i32_e32 vcc_lo, v3, v5
	v_cndmask_b32_e64 v5, 0, 1, vcc_lo
	v_cmp_gt_i32_e32 vcc_lo, v3, v6
	v_cndmask_b32_e64 v6, 0, 1, vcc_lo
	s_waitcnt lgkmcnt(2)
	v_cmp_gt_i32_e32 vcc_lo, v3, v7
	v_cndmask_b32_e64 v7, 0, 1, vcc_lo
	v_cmp_gt_i32_e32 vcc_lo, v3, v8
	v_cndmask_b32_e64 v8, 0, 1, vcc_lo
	s_waitcnt lgkmcnt(1)
	v_cmp_gt_i32_e32 vcc_lo, v3, v9
	v_cndmask_b32_e64 v9, 0, 1, vcc_lo
	v_add_co_u32 v1, vcc_lo, v1, v5
	v_add_co_ci_u32_e32 v2, vcc_lo, 0, v2, vcc_lo
	v_cmp_gt_i32_e32 vcc_lo, v3, v10
	s_delay_alu instid0(VALU_DEP_3) | instskip(NEXT) | instid1(VALU_DEP_1)
	v_add_co_u32 v1, s0, v1, v6
	v_add_co_ci_u32_e64 v2, s0, 0, v2, s0
	v_cndmask_b32_e64 v5, 0, 1, vcc_lo
	s_delay_alu instid0(VALU_DEP_3) | instskip(NEXT) | instid1(VALU_DEP_3)
	v_add_co_u32 v1, vcc_lo, v1, v7
	v_add_co_ci_u32_e32 v2, vcc_lo, 0, v2, vcc_lo
	s_waitcnt lgkmcnt(0)
	v_cmp_gt_i32_e32 vcc_lo, v3, v11
	s_delay_alu instid0(VALU_DEP_3) | instskip(NEXT) | instid1(VALU_DEP_1)
	v_add_co_u32 v1, s0, v1, v8
	v_add_co_ci_u32_e64 v2, s0, 0, v2, s0
	v_cndmask_b32_e64 v6, 0, 1, vcc_lo
	s_delay_alu instid0(VALU_DEP_3) | instskip(NEXT) | instid1(VALU_DEP_3)
	v_add_co_u32 v1, vcc_lo, v1, v9
	v_add_co_ci_u32_e32 v2, vcc_lo, 0, v2, vcc_lo
	v_cmp_gt_i32_e32 vcc_lo, v3, v12
	s_delay_alu instid0(VALU_DEP_3) | instskip(NEXT) | instid1(VALU_DEP_1)
	v_add_co_u32 v1, s0, v1, v5
	v_add_co_ci_u32_e64 v2, s0, 0, v2, s0
	v_cndmask_b32_e64 v5, 0, 1, vcc_lo
	s_delay_alu instid0(VALU_DEP_3) | instskip(NEXT) | instid1(VALU_DEP_3)
	v_add_co_u32 v1, vcc_lo, v1, v6
	v_add_co_ci_u32_e32 v2, vcc_lo, 0, v2, vcc_lo
	s_delay_alu instid0(VALU_DEP_2) | instskip(NEXT) | instid1(VALU_DEP_2)
	v_add_co_u32 v1, vcc_lo, v1, v5
	v_add_co_ci_u32_e32 v2, vcc_lo, 0, v2, vcc_lo
	s_cbranch_scc0 .LBB244_79
; %bb.80:                               ;   in Loop: Header=BB244_77 Depth=1
	s_mov_b32 s0, s6
.LBB244_81:                             ;   in Loop: Header=BB244_77 Depth=1
	s_and_not1_b32 vcc_lo, exec_lo, s7
	s_cbranch_vccnz .LBB244_76
; %bb.82:                               ;   in Loop: Header=BB244_77 Depth=1
	s_lshl_b32 s0, s0, 2
	s_mov_b32 s9, s1
	s_add_i32 s0, s0, 0
.LBB244_83:                             ;   Parent Loop BB244_77 Depth=1
                                        ; =>  This Inner Loop Header: Depth=2
	s_delay_alu instid0(SALU_CYCLE_1)
	v_mov_b32_e32 v5, s0
	s_add_i32 s9, s9, -1
	s_add_i32 s0, s0, 4
	s_cmp_lg_u32 s9, 0
	ds_load_b32 v5, v5
	s_waitcnt lgkmcnt(0)
	v_cmp_gt_i32_e32 vcc_lo, v3, v5
	v_cndmask_b32_e64 v5, 0, 1, vcc_lo
	s_delay_alu instid0(VALU_DEP_1)
	v_add_co_u32 v1, vcc_lo, v1, v5
	v_add_co_ci_u32_e32 v2, vcc_lo, 0, v2, vcc_lo
	s_cbranch_scc1 .LBB244_83
	s_branch .LBB244_76
.LBB244_84:
	s_nop 0
	s_sendmsg sendmsg(MSG_DEALLOC_VGPRS)
	s_endpgm
	.section	.rodata,"a",@progbits
	.p2align	6, 0x0
	.amdhsa_kernel _ZN9rocsparseL26csrgemm_fill_block_per_rowILj256ELj32ELj512ELj137ELj64Eli21rocsparse_complex_numIdEEEvT5_PKS3_S5_NS_24const_host_device_scalarIT6_EEPKT4_S5_PKS7_SB_S5_SD_S8_SB_S5_SD_SB_PS3_PS7_21rocsparse_index_base_SG_SG_SG_bbb
		.amdhsa_group_segment_fixed_size 0
		.amdhsa_private_segment_fixed_size 40
		.amdhsa_kernarg_size 172
		.amdhsa_user_sgpr_count 15
		.amdhsa_user_sgpr_dispatch_ptr 0
		.amdhsa_user_sgpr_queue_ptr 0
		.amdhsa_user_sgpr_kernarg_segment_ptr 1
		.amdhsa_user_sgpr_dispatch_id 0
		.amdhsa_user_sgpr_private_segment_size 0
		.amdhsa_wavefront_size32 1
		.amdhsa_uses_dynamic_stack 0
		.amdhsa_enable_private_segment 1
		.amdhsa_system_sgpr_workgroup_id_x 1
		.amdhsa_system_sgpr_workgroup_id_y 0
		.amdhsa_system_sgpr_workgroup_id_z 0
		.amdhsa_system_sgpr_workgroup_info 0
		.amdhsa_system_vgpr_workitem_id 0
		.amdhsa_next_free_vgpr 35
		.amdhsa_next_free_sgpr 44
		.amdhsa_reserve_vcc 1
		.amdhsa_float_round_mode_32 0
		.amdhsa_float_round_mode_16_64 0
		.amdhsa_float_denorm_mode_32 3
		.amdhsa_float_denorm_mode_16_64 3
		.amdhsa_dx10_clamp 1
		.amdhsa_ieee_mode 1
		.amdhsa_fp16_overflow 0
		.amdhsa_workgroup_processor_mode 1
		.amdhsa_memory_ordered 1
		.amdhsa_forward_progress 0
		.amdhsa_shared_vgpr_count 0
		.amdhsa_exception_fp_ieee_invalid_op 0
		.amdhsa_exception_fp_denorm_src 0
		.amdhsa_exception_fp_ieee_div_zero 0
		.amdhsa_exception_fp_ieee_overflow 0
		.amdhsa_exception_fp_ieee_underflow 0
		.amdhsa_exception_fp_ieee_inexact 0
		.amdhsa_exception_int_div_zero 0
	.end_amdhsa_kernel
	.section	.text._ZN9rocsparseL26csrgemm_fill_block_per_rowILj256ELj32ELj512ELj137ELj64Eli21rocsparse_complex_numIdEEEvT5_PKS3_S5_NS_24const_host_device_scalarIT6_EEPKT4_S5_PKS7_SB_S5_SD_S8_SB_S5_SD_SB_PS3_PS7_21rocsparse_index_base_SG_SG_SG_bbb,"axG",@progbits,_ZN9rocsparseL26csrgemm_fill_block_per_rowILj256ELj32ELj512ELj137ELj64Eli21rocsparse_complex_numIdEEEvT5_PKS3_S5_NS_24const_host_device_scalarIT6_EEPKT4_S5_PKS7_SB_S5_SD_S8_SB_S5_SD_SB_PS3_PS7_21rocsparse_index_base_SG_SG_SG_bbb,comdat
.Lfunc_end244:
	.size	_ZN9rocsparseL26csrgemm_fill_block_per_rowILj256ELj32ELj512ELj137ELj64Eli21rocsparse_complex_numIdEEEvT5_PKS3_S5_NS_24const_host_device_scalarIT6_EEPKT4_S5_PKS7_SB_S5_SD_S8_SB_S5_SD_SB_PS3_PS7_21rocsparse_index_base_SG_SG_SG_bbb, .Lfunc_end244-_ZN9rocsparseL26csrgemm_fill_block_per_rowILj256ELj32ELj512ELj137ELj64Eli21rocsparse_complex_numIdEEEvT5_PKS3_S5_NS_24const_host_device_scalarIT6_EEPKT4_S5_PKS7_SB_S5_SD_S8_SB_S5_SD_SB_PS3_PS7_21rocsparse_index_base_SG_SG_SG_bbb
                                        ; -- End function
	.section	.AMDGPU.csdata,"",@progbits
; Kernel info:
; codeLenInByte = 3768
; NumSgprs: 46
; NumVgprs: 35
; ScratchSize: 40
; MemoryBound: 0
; FloatMode: 240
; IeeeMode: 1
; LDSByteSize: 0 bytes/workgroup (compile time only)
; SGPRBlocks: 5
; VGPRBlocks: 4
; NumSGPRsForWavesPerEU: 46
; NumVGPRsForWavesPerEU: 35
; Occupancy: 16
; WaveLimiterHint : 1
; COMPUTE_PGM_RSRC2:SCRATCH_EN: 1
; COMPUTE_PGM_RSRC2:USER_SGPR: 15
; COMPUTE_PGM_RSRC2:TRAP_HANDLER: 0
; COMPUTE_PGM_RSRC2:TGID_X_EN: 1
; COMPUTE_PGM_RSRC2:TGID_Y_EN: 0
; COMPUTE_PGM_RSRC2:TGID_Z_EN: 0
; COMPUTE_PGM_RSRC2:TIDIG_COMP_CNT: 0
	.section	.text._ZN9rocsparseL26csrgemm_fill_block_per_rowILj512ELj32ELj1024ELj137ELj32Eli21rocsparse_complex_numIdEEEvT5_PKS3_S5_NS_24const_host_device_scalarIT6_EEPKT4_S5_PKS7_SB_S5_SD_S8_SB_S5_SD_SB_PS3_PS7_21rocsparse_index_base_SG_SG_SG_bbb,"axG",@progbits,_ZN9rocsparseL26csrgemm_fill_block_per_rowILj512ELj32ELj1024ELj137ELj32Eli21rocsparse_complex_numIdEEEvT5_PKS3_S5_NS_24const_host_device_scalarIT6_EEPKT4_S5_PKS7_SB_S5_SD_S8_SB_S5_SD_SB_PS3_PS7_21rocsparse_index_base_SG_SG_SG_bbb,comdat
	.globl	_ZN9rocsparseL26csrgemm_fill_block_per_rowILj512ELj32ELj1024ELj137ELj32Eli21rocsparse_complex_numIdEEEvT5_PKS3_S5_NS_24const_host_device_scalarIT6_EEPKT4_S5_PKS7_SB_S5_SD_S8_SB_S5_SD_SB_PS3_PS7_21rocsparse_index_base_SG_SG_SG_bbb ; -- Begin function _ZN9rocsparseL26csrgemm_fill_block_per_rowILj512ELj32ELj1024ELj137ELj32Eli21rocsparse_complex_numIdEEEvT5_PKS3_S5_NS_24const_host_device_scalarIT6_EEPKT4_S5_PKS7_SB_S5_SD_S8_SB_S5_SD_SB_PS3_PS7_21rocsparse_index_base_SG_SG_SG_bbb
	.p2align	8
	.type	_ZN9rocsparseL26csrgemm_fill_block_per_rowILj512ELj32ELj1024ELj137ELj32Eli21rocsparse_complex_numIdEEEvT5_PKS3_S5_NS_24const_host_device_scalarIT6_EEPKT4_S5_PKS7_SB_S5_SD_S8_SB_S5_SD_SB_PS3_PS7_21rocsparse_index_base_SG_SG_SG_bbb,@function
_ZN9rocsparseL26csrgemm_fill_block_per_rowILj512ELj32ELj1024ELj137ELj32Eli21rocsparse_complex_numIdEEEvT5_PKS3_S5_NS_24const_host_device_scalarIT6_EEPKT4_S5_PKS7_SB_S5_SD_S8_SB_S5_SD_SB_PS3_PS7_21rocsparse_index_base_SG_SG_SG_bbb: ; @_ZN9rocsparseL26csrgemm_fill_block_per_rowILj512ELj32ELj1024ELj137ELj32Eli21rocsparse_complex_numIdEEEvT5_PKS3_S5_NS_24const_host_device_scalarIT6_EEPKT4_S5_PKS7_SB_S5_SD_S8_SB_S5_SD_SB_PS3_PS7_21rocsparse_index_base_SG_SG_SG_bbb
; %bb.0:
	s_clause 0x3
	s_load_b32 s14, s[0:1], 0xa8
	s_load_b128 s[4:7], s[0:1], 0x18
	s_load_b128 s[40:43], s[0:1], 0x58
	;; [unrolled: 1-line block ×3, first 2 shown]
	v_mov_b32_e32 v1, 0
	v_mov_b32_e32 v2, 0
	s_waitcnt lgkmcnt(0)
	s_bitcmp1_b32 s14, 0
	v_mov_b32_e32 v3, s4
	s_cselect_b32 s12, -1, 0
	s_bitcmp1_b32 s14, 16
	v_dual_mov_b32 v6, v2 :: v_dual_mov_b32 v5, v1
	s_cselect_b32 s2, -1, 0
	v_mov_b32_e32 v4, s5
	s_xor_b32 s13, s2, -1
	v_dual_mov_b32 v9, s40 :: v_dual_mov_b32 v10, s41
	v_cndmask_b32_e64 v7, 0, 1, s13
	s_bitcmp0_b32 s14, 0
	s_clause 0x1
	scratch_store_b64 off, v[3:4], off offset:16
	scratch_store_b64 off, v[9:10], off offset:24
	v_cmp_ne_u32_e32 vcc_lo, 1, v7
	v_dual_mov_b32 v8, v2 :: v_dual_mov_b32 v7, v1
	s_cbranch_scc1 .LBB245_3
; %bb.1:
	s_mov_b64 s[8:9], src_private_base
	s_and_b32 s3, s2, exec_lo
	s_cselect_b32 s3, s9, s5
	s_delay_alu instid0(SALU_CYCLE_1) | instskip(SKIP_2) | instid1(VALU_DEP_2)
	v_dual_mov_b32 v3, 16 :: v_dual_mov_b32 v4, s3
	v_dual_mov_b32 v8, s7 :: v_dual_mov_b32 v7, s6
	s_and_b32 vcc_lo, exec_lo, vcc_lo
	v_cndmask_b32_e64 v3, s4, v3, s2
	flat_load_b64 v[5:6], v[3:4]
	s_cbranch_vccnz .LBB245_3
; %bb.2:
	v_dual_mov_b32 v3, s4 :: v_dual_mov_b32 v4, s5
	flat_load_b64 v[7:8], v[3:4] offset:8
.LBB245_3:
	s_clause 0x4
	s_load_b128 s[28:31], s[0:1], 0x88
	s_load_b256 s[16:23], s[0:1], 0x68
	s_load_b128 s[36:39], s[0:1], 0x48
	s_load_b128 s[44:47], s[0:1], 0x8
	s_load_b256 s[4:11], s[0:1], 0x28
	s_bitcmp1_b32 s14, 8
	v_dual_mov_b32 v4, v2 :: v_dual_mov_b32 v3, v1
	s_cselect_b32 s3, -1, 0
	s_bfe_u32 s14, s14, 0x10008
	s_delay_alu instid0(SALU_CYCLE_1)
	s_cmp_eq_u32 s14, 0
	s_cbranch_scc1 .LBB245_6
; %bb.4:
	s_mov_b64 s[34:35], src_private_base
	s_and_b32 s14, s2, exec_lo
	s_cselect_b32 s14, s35, s41
	s_delay_alu instid0(SALU_CYCLE_1) | instskip(SKIP_1) | instid1(VALU_DEP_1)
	v_dual_mov_b32 v1, 24 :: v_dual_mov_b32 v2, s14
	s_and_not1_b32 vcc_lo, exec_lo, s13
	v_cndmask_b32_e64 v1, s40, v1, s2
	flat_load_b64 v[3:4], v[1:2]
	v_dual_mov_b32 v1, s42 :: v_dual_mov_b32 v2, s43
	s_cbranch_vccnz .LBB245_6
; %bb.5:
	v_dual_mov_b32 v1, s40 :: v_dual_mov_b32 v2, s41
	flat_load_b64 v[1:2], v[1:2] offset:8
.LBB245_6:
	s_load_b32 s33, s[0:1], 0x0
	s_mov_b32 s0, 0
	v_or_b32_e32 v25, 0xfffffe00, v0
	s_mov_b32 s1, s0
	s_delay_alu instid0(SALU_CYCLE_1) | instskip(SKIP_3) | instid1(VALU_DEP_2)
	v_dual_mov_b32 v10, s1 :: v_dual_lshlrev_b32 v11, 4, v0
	v_lshl_add_u32 v26, v0, 2, 0
	s_mov_b32 s34, s0
	s_mov_b32 s35, s0
	v_add3_u32 v27, v11, 0, 0x1000
	v_dual_mov_b32 v11, s34 :: v_dual_mov_b32 v14, v25
	v_dual_mov_b32 v9, s0 :: v_dual_mov_b32 v12, s35
	s_delay_alu instid0(VALU_DEP_3)
	v_dual_mov_b32 v13, v26 :: v_dual_mov_b32 v16, v27
	s_waitcnt lgkmcnt(0)
	v_mov_b32_e32 v15, s33
.LBB245_7:                              ; =>This Inner Loop Header: Depth=1
	v_add_co_u32 v14, s1, 0x200, v14
	s_delay_alu instid0(VALU_DEP_1)
	s_xor_b32 s1, s1, -1
	ds_store_b32 v13, v15
	ds_store_2addr_b64 v16, v[9:10], v[11:12] offset1:1
	v_add_nc_u32_e32 v16, 0x2000, v16
	v_add_nc_u32_e32 v13, 0x800, v13
	s_and_b32 s1, exec_lo, s1
	s_delay_alu instid0(SALU_CYCLE_1) | instskip(NEXT) | instid1(SALU_CYCLE_1)
	s_or_b32 s0, s1, s0
	s_and_not1_b32 exec_lo, exec_lo, s0
	s_cbranch_execnz .LBB245_7
; %bb.8:
	s_or_b32 exec_lo, exec_lo, s0
	s_waitcnt vmcnt(0) lgkmcnt(0)
	s_waitcnt_vscnt null, 0x0
	s_barrier
	buffer_gl0_inv
	s_load_b32 s0, s[44:45], 0x0
	s_mov_b32 s1, 0
	v_lshrrev_b32_e32 v28, 5, v0
	s_waitcnt lgkmcnt(0)
	s_add_i32 s0, s0, s15
	s_delay_alu instid0(SALU_CYCLE_1) | instskip(NEXT) | instid1(SALU_CYCLE_1)
	s_lshl_b64 s[0:1], s[0:1], 2
	s_add_u32 s0, s46, s0
	s_addc_u32 s1, s47, s1
	s_and_b32 vcc_lo, exec_lo, s12
	s_load_b32 s34, s[0:1], 0x0
	s_cbranch_vccz .LBB245_36
; %bb.9:
	s_waitcnt lgkmcnt(0)
	s_ashr_i32 s35, s34, 31
	s_mov_b32 s2, exec_lo
	s_lshl_b64 s[0:1], s[34:35], 3
	s_delay_alu instid0(SALU_CYCLE_1) | instskip(SKIP_3) | instid1(VALU_DEP_1)
	s_add_u32 s0, s4, s0
	s_addc_u32 s1, s5, s1
	s_load_b128 s[12:15], s[0:1], 0x0
	v_sub_co_u32 v9, s0, v28, s24
	v_sub_co_ci_u32_e64 v10, null, 0, 0, s0
	s_waitcnt lgkmcnt(0)
	s_delay_alu instid0(VALU_DEP_2) | instskip(NEXT) | instid1(VALU_DEP_2)
	v_add_co_u32 v9, vcc_lo, s12, v9
	v_add_co_ci_u32_e32 v10, vcc_lo, s13, v10, vcc_lo
	s_sub_u32 s0, s14, s24
	s_subb_u32 s1, s15, 0
	s_delay_alu instid0(VALU_DEP_1) | instid1(SALU_CYCLE_1)
	v_cmpx_gt_i64_e64 s[0:1], v[9:10]
	s_cbranch_execz .LBB245_35
; %bb.10:
	v_and_b32_e32 v11, 31, v0
	s_mov_b32 s5, s25
	s_delay_alu instid0(VALU_DEP_1) | instskip(NEXT) | instid1(VALU_DEP_1)
	v_sub_co_u32 v29, s4, v11, s25
	v_sub_co_ci_u32_e64 v30, null, 0, 0, s4
	s_mov_b32 s4, 0
	s_branch .LBB245_12
.LBB245_11:                             ;   in Loop: Header=BB245_12 Depth=1
	s_or_b32 exec_lo, exec_lo, s12
	v_add_co_u32 v9, vcc_lo, v9, 16
	v_add_co_ci_u32_e32 v10, vcc_lo, 0, v10, vcc_lo
	s_delay_alu instid0(VALU_DEP_1) | instskip(SKIP_1) | instid1(SALU_CYCLE_1)
	v_cmp_le_i64_e32 vcc_lo, s[0:1], v[9:10]
	s_or_b32 s4, vcc_lo, s4
	s_and_not1_b32 exec_lo, exec_lo, s4
	s_cbranch_execz .LBB245_35
.LBB245_12:                             ; =>This Loop Header: Depth=1
                                        ;     Child Loop BB245_15 Depth 2
                                        ;       Child Loop BB245_17 Depth 3
                                        ;         Child Loop BB245_23 Depth 4
                                        ;         Child Loop BB245_25 Depth 4
	;; [unrolled: 1-line block ×4, first 2 shown]
	v_lshlrev_b64 v[11:12], 2, v[9:10]
	s_mov_b32 s12, exec_lo
	s_delay_alu instid0(VALU_DEP_1) | instskip(NEXT) | instid1(VALU_DEP_2)
	v_add_co_u32 v11, vcc_lo, s6, v11
	v_add_co_ci_u32_e32 v12, vcc_lo, s7, v12, vcc_lo
	global_load_b32 v11, v[11:12], off
	s_waitcnt vmcnt(0)
	v_subrev_nc_u32_e32 v11, s24, v11
	s_delay_alu instid0(VALU_DEP_1) | instskip(NEXT) | instid1(VALU_DEP_1)
	v_ashrrev_i32_e32 v12, 31, v11
	v_lshlrev_b64 v[11:12], 3, v[11:12]
	s_delay_alu instid0(VALU_DEP_1) | instskip(NEXT) | instid1(VALU_DEP_2)
	v_add_co_u32 v11, vcc_lo, s10, v11
	v_add_co_ci_u32_e32 v12, vcc_lo, s11, v12, vcc_lo
	global_load_b128 v[13:16], v[11:12], off
	s_waitcnt vmcnt(0)
	v_sub_co_u32 v11, vcc_lo, v15, s5
	v_subrev_co_ci_u32_e32 v12, vcc_lo, 0, v16, vcc_lo
	v_add_co_u32 v13, vcc_lo, v13, v29
	v_add_co_ci_u32_e32 v14, vcc_lo, v14, v30, vcc_lo
	s_delay_alu instid0(VALU_DEP_1)
	v_cmpx_lt_i64_e64 v[13:14], v[11:12]
	s_cbranch_execz .LBB245_11
; %bb.13:                               ;   in Loop: Header=BB245_12 Depth=1
	v_lshlrev_b64 v[15:16], 4, v[9:10]
	s_mov_b32 s13, 0
	s_delay_alu instid0(VALU_DEP_1) | instskip(NEXT) | instid1(VALU_DEP_2)
	v_add_co_u32 v15, vcc_lo, s8, v15
	v_add_co_ci_u32_e32 v16, vcc_lo, s9, v16, vcc_lo
	global_load_b128 v[17:20], v[15:16], off
	s_waitcnt vmcnt(0)
	v_mul_f64 v[15:16], v[19:20], -v[7:8]
	v_mul_f64 v[19:20], v[5:6], v[19:20]
	s_delay_alu instid0(VALU_DEP_2) | instskip(NEXT) | instid1(VALU_DEP_2)
	v_fma_f64 v[15:16], v[5:6], v[17:18], v[15:16]
	v_fma_f64 v[17:18], v[7:8], v[17:18], v[19:20]
	s_branch .LBB245_15
.LBB245_14:                             ;   in Loop: Header=BB245_15 Depth=2
	s_or_b32 exec_lo, exec_lo, s14
	v_add_co_u32 v13, vcc_lo, v13, 32
	v_add_co_ci_u32_e32 v14, vcc_lo, 0, v14, vcc_lo
	s_delay_alu instid0(VALU_DEP_1) | instskip(SKIP_1) | instid1(SALU_CYCLE_1)
	v_cmp_ge_i64_e32 vcc_lo, v[13:14], v[11:12]
	s_or_b32 s13, vcc_lo, s13
	s_and_not1_b32 exec_lo, exec_lo, s13
	s_cbranch_execz .LBB245_11
.LBB245_15:                             ;   Parent Loop BB245_12 Depth=1
                                        ; =>  This Loop Header: Depth=2
                                        ;       Child Loop BB245_17 Depth 3
                                        ;         Child Loop BB245_23 Depth 4
                                        ;         Child Loop BB245_25 Depth 4
                                        ;         Child Loop BB245_31 Depth 4
                                        ;         Child Loop BB245_33 Depth 4
	v_lshlrev_b64 v[19:20], 4, v[13:14]
	s_mov_b32 s14, 0
	s_delay_alu instid0(VALU_DEP_1) | instskip(NEXT) | instid1(VALU_DEP_2)
	v_add_co_u32 v19, vcc_lo, s38, v19
	v_add_co_ci_u32_e32 v20, vcc_lo, s39, v20, vcc_lo
	global_load_b128 v[21:24], v[19:20], off
	v_lshlrev_b64 v[19:20], 2, v[13:14]
	s_delay_alu instid0(VALU_DEP_1) | instskip(NEXT) | instid1(VALU_DEP_2)
	v_add_co_u32 v19, vcc_lo, s36, v19
	v_add_co_ci_u32_e32 v20, vcc_lo, s37, v20, vcc_lo
	global_load_b32 v31, v[19:20], off
	s_waitcnt vmcnt(1)
	v_mul_f64 v[19:20], v[23:24], -v[17:18]
	v_mul_f64 v[23:24], v[15:16], v[23:24]
	s_waitcnt vmcnt(0)
	v_subrev_nc_u32_e32 v31, s25, v31
	s_delay_alu instid0(VALU_DEP_3) | instskip(NEXT) | instid1(VALU_DEP_3)
	v_fma_f64 v[19:20], v[15:16], v[21:22], v[19:20]
	v_fma_f64 v[21:22], v[17:18], v[21:22], v[23:24]
	s_delay_alu instid0(VALU_DEP_3) | instskip(NEXT) | instid1(VALU_DEP_1)
	v_mul_lo_u32 v23, 0x89, v31
	v_and_b32_e32 v32, 0x3ff, v23
	s_branch .LBB245_17
.LBB245_16:                             ;   in Loop: Header=BB245_17 Depth=3
	s_or_b32 exec_lo, exec_lo, s15
	s_xor_b32 s15, s35, -1
	s_delay_alu instid0(SALU_CYCLE_1) | instskip(NEXT) | instid1(SALU_CYCLE_1)
	s_and_b32 s15, exec_lo, s15
	s_or_b32 s14, s15, s14
	s_delay_alu instid0(SALU_CYCLE_1)
	s_and_not1_b32 exec_lo, exec_lo, s14
	s_cbranch_execz .LBB245_14
.LBB245_17:                             ;   Parent Loop BB245_12 Depth=1
                                        ;     Parent Loop BB245_15 Depth=2
                                        ; =>    This Loop Header: Depth=3
                                        ;         Child Loop BB245_23 Depth 4
                                        ;         Child Loop BB245_25 Depth 4
	;; [unrolled: 1-line block ×4, first 2 shown]
	s_delay_alu instid0(VALU_DEP_1)
	v_lshl_add_u32 v23, v32, 2, 0
	s_mov_b32 s15, exec_lo
                                        ; implicit-def: $sgpr35
	ds_load_b32 v24, v23
	s_waitcnt lgkmcnt(0)
	v_cmpx_ne_u32_e64 v24, v31
	s_xor_b32 s15, exec_lo, s15
	s_cbranch_execz .LBB245_29
; %bb.18:                               ;   in Loop: Header=BB245_17 Depth=3
	s_mov_b32 s40, exec_lo
                                        ; implicit-def: $sgpr35
	v_cmpx_ne_u32_e64 s33, v24
	s_xor_b32 s40, exec_lo, s40
; %bb.19:                               ;   in Loop: Header=BB245_17 Depth=3
	v_add_nc_u32_e32 v23, 1, v32
	s_mov_b32 s35, -1
	s_delay_alu instid0(VALU_DEP_1)
	v_and_b32_e32 v32, 0x3ff, v23
                                        ; implicit-def: $vgpr23
; %bb.20:                               ;   in Loop: Header=BB245_17 Depth=3
	s_and_not1_saveexec_b32 s40, s40
	s_cbranch_execz .LBB245_28
; %bb.21:                               ;   in Loop: Header=BB245_17 Depth=3
	v_mov_b32_e32 v24, s33
	s_mov_b32 s42, -1
	s_mov_b32 s41, exec_lo
	ds_cmpstore_rtn_b32 v24, v23, v31, v24
	s_waitcnt lgkmcnt(0)
	v_cmpx_eq_u32_e64 s33, v24
	s_cbranch_execz .LBB245_27
; %bb.22:                               ;   in Loop: Header=BB245_17 Depth=3
	v_mul_lo_u32 v24, v32, 12
	s_mov_b32 s42, 0
	s_delay_alu instid0(VALU_DEP_1)
	v_add_nc_u32_e32 v33, v23, v24
	ds_load_b64 v[23:24], v33 offset:4096
.LBB245_23:                             ;   Parent Loop BB245_12 Depth=1
                                        ;     Parent Loop BB245_15 Depth=2
                                        ;       Parent Loop BB245_17 Depth=3
                                        ; =>      This Inner Loop Header: Depth=4
	s_waitcnt lgkmcnt(0)
	v_add_f64 v[34:35], v[23:24], v[19:20]
	ds_cmpstore_rtn_b64 v[34:35], v33, v[34:35], v[23:24] offset:4096
	s_waitcnt lgkmcnt(0)
	v_cmp_eq_u64_e32 vcc_lo, v[34:35], v[23:24]
	v_dual_mov_b32 v23, v34 :: v_dual_mov_b32 v24, v35
	s_or_b32 s42, vcc_lo, s42
	s_delay_alu instid0(SALU_CYCLE_1)
	s_and_not1_b32 exec_lo, exec_lo, s42
	s_cbranch_execnz .LBB245_23
; %bb.24:                               ;   in Loop: Header=BB245_17 Depth=3
	s_or_b32 exec_lo, exec_lo, s42
	ds_load_b64 v[23:24], v33 offset:4104
	s_mov_b32 s42, 0
.LBB245_25:                             ;   Parent Loop BB245_12 Depth=1
                                        ;     Parent Loop BB245_15 Depth=2
                                        ;       Parent Loop BB245_17 Depth=3
                                        ; =>      This Inner Loop Header: Depth=4
	s_waitcnt lgkmcnt(0)
	v_add_f64 v[34:35], v[23:24], v[21:22]
	ds_cmpstore_rtn_b64 v[34:35], v33, v[34:35], v[23:24] offset:4104
	s_waitcnt lgkmcnt(0)
	v_cmp_eq_u64_e32 vcc_lo, v[34:35], v[23:24]
	v_dual_mov_b32 v23, v34 :: v_dual_mov_b32 v24, v35
	s_or_b32 s42, vcc_lo, s42
	s_delay_alu instid0(SALU_CYCLE_1)
	s_and_not1_b32 exec_lo, exec_lo, s42
	s_cbranch_execnz .LBB245_25
; %bb.26:                               ;   in Loop: Header=BB245_17 Depth=3
	s_or_b32 exec_lo, exec_lo, s42
	s_delay_alu instid0(SALU_CYCLE_1)
	s_xor_b32 s42, exec_lo, -1
.LBB245_27:                             ;   in Loop: Header=BB245_17 Depth=3
	s_or_b32 exec_lo, exec_lo, s41
	s_delay_alu instid0(SALU_CYCLE_1) | instskip(SKIP_1) | instid1(SALU_CYCLE_1)
	s_and_not1_b32 s35, s35, exec_lo
	s_and_b32 s41, s42, exec_lo
	s_or_b32 s35, s35, s41
.LBB245_28:                             ;   in Loop: Header=BB245_17 Depth=3
	s_or_b32 exec_lo, exec_lo, s40
	s_delay_alu instid0(SALU_CYCLE_1)
	s_and_b32 s35, s35, exec_lo
                                        ; implicit-def: $vgpr23
.LBB245_29:                             ;   in Loop: Header=BB245_17 Depth=3
	s_and_not1_saveexec_b32 s15, s15
	s_cbranch_execz .LBB245_16
; %bb.30:                               ;   in Loop: Header=BB245_17 Depth=3
	v_mul_lo_u32 v24, v32, 12
	s_mov_b32 s40, 0
	s_delay_alu instid0(VALU_DEP_1)
	v_add_nc_u32_e32 v33, v23, v24
	ds_load_b64 v[23:24], v33 offset:4096
.LBB245_31:                             ;   Parent Loop BB245_12 Depth=1
                                        ;     Parent Loop BB245_15 Depth=2
                                        ;       Parent Loop BB245_17 Depth=3
                                        ; =>      This Inner Loop Header: Depth=4
	s_waitcnt lgkmcnt(0)
	v_add_f64 v[34:35], v[23:24], v[19:20]
	ds_cmpstore_rtn_b64 v[34:35], v33, v[34:35], v[23:24] offset:4096
	s_waitcnt lgkmcnt(0)
	v_cmp_eq_u64_e32 vcc_lo, v[34:35], v[23:24]
	v_dual_mov_b32 v23, v34 :: v_dual_mov_b32 v24, v35
	s_or_b32 s40, vcc_lo, s40
	s_delay_alu instid0(SALU_CYCLE_1)
	s_and_not1_b32 exec_lo, exec_lo, s40
	s_cbranch_execnz .LBB245_31
; %bb.32:                               ;   in Loop: Header=BB245_17 Depth=3
	s_or_b32 exec_lo, exec_lo, s40
	ds_load_b64 v[23:24], v33 offset:4104
	s_mov_b32 s40, 0
.LBB245_33:                             ;   Parent Loop BB245_12 Depth=1
                                        ;     Parent Loop BB245_15 Depth=2
                                        ;       Parent Loop BB245_17 Depth=3
                                        ; =>      This Inner Loop Header: Depth=4
	s_waitcnt lgkmcnt(0)
	v_add_f64 v[34:35], v[23:24], v[21:22]
	ds_cmpstore_rtn_b64 v[34:35], v33, v[34:35], v[23:24] offset:4104
	s_waitcnt lgkmcnt(0)
	v_cmp_eq_u64_e32 vcc_lo, v[34:35], v[23:24]
	v_dual_mov_b32 v23, v34 :: v_dual_mov_b32 v24, v35
	s_or_b32 s40, vcc_lo, s40
	s_delay_alu instid0(SALU_CYCLE_1)
	s_and_not1_b32 exec_lo, exec_lo, s40
	s_cbranch_execnz .LBB245_33
; %bb.34:                               ;   in Loop: Header=BB245_17 Depth=3
	s_or_b32 exec_lo, exec_lo, s40
	s_delay_alu instid0(SALU_CYCLE_1)
	s_and_not1_b32 s35, s35, exec_lo
	s_branch .LBB245_16
.LBB245_35:
	s_or_b32 exec_lo, exec_lo, s2
.LBB245_36:
	s_delay_alu instid0(SALU_CYCLE_1)
	s_and_not1_b32 vcc_lo, exec_lo, s3
	s_cbranch_vccnz .LBB245_39
; %bb.37:
	s_waitcnt lgkmcnt(0)
	s_ashr_i32 s35, s34, 31
	v_sub_co_u32 v5, s4, v0, s27
	s_lshl_b64 s[0:1], s[34:35], 3
	v_sub_co_ci_u32_e64 v6, null, 0, 0, s4
	s_add_u32 s0, s16, s0
	s_addc_u32 s1, s17, s1
	s_load_b128 s[0:3], s[0:1], 0x0
	s_waitcnt lgkmcnt(0)
	v_add_co_u32 v5, vcc_lo, s0, v5
	v_add_co_ci_u32_e32 v6, vcc_lo, s1, v6, vcc_lo
	s_sub_u32 s0, s2, s27
	s_subb_u32 s1, s3, 0
	s_mov_b32 s3, 0
	s_mov_b32 s2, exec_lo
	v_cmpx_gt_i64_e64 s[0:1], v[5:6]
	s_cbranch_execnz .LBB245_76
.LBB245_38:
	s_or_b32 exec_lo, exec_lo, s2
.LBB245_39:
	v_mbcnt_lo_u32_b32 v1, -1, 0
	v_lshl_add_u32 v3, v28, 2, 0
	v_cmp_eq_u32_e32 vcc_lo, 0x1ff, v0
	v_cmp_lt_u32_e64 s0, 31, v0
	v_cmp_lt_u32_e64 s1, 63, v0
	v_xor_b32_e32 v1, 63, v1
	v_cmp_lt_u32_e64 s2, 0x5f, v0
	v_cmp_lt_u32_e64 s3, 0x7f, v0
	;; [unrolled: 1-line block ×4, first 2 shown]
	v_lshrrev_b64 v[1:2], v1, -1
	v_cmp_lt_u32_e64 s6, 0xdf, v0
	v_cmp_lt_u32_e64 s7, 0xff, v0
	;; [unrolled: 1-line block ×9, first 2 shown]
	v_mov_b32_e32 v2, 0
	v_mov_b32_e32 v4, 0
	s_mov_b32 s16, 0
	s_waitcnt lgkmcnt(0)
	s_barrier
	buffer_gl0_inv
	s_branch .LBB245_41
.LBB245_40:                             ;   in Loop: Header=BB245_41 Depth=1
	s_or_b32 exec_lo, exec_lo, s15
	s_waitcnt lgkmcnt(0)
	s_barrier
	buffer_gl0_inv
	ds_load_b32 v5, v2 offset:20540
	v_add_co_u32 v25, s15, 0x200, v25
	s_delay_alu instid0(VALU_DEP_1) | instskip(SKIP_3) | instid1(SALU_CYCLE_1)
	s_xor_b32 s15, s15, -1
	v_add_nc_u32_e32 v27, 0x2000, v27
	v_add_nc_u32_e32 v26, 0x800, v26
	s_and_b32 s15, exec_lo, s15
	s_or_b32 s16, s15, s16
	s_waitcnt lgkmcnt(0)
	v_add_nc_u32_e32 v4, v5, v4
	s_and_not1_b32 exec_lo, exec_lo, s16
	s_cbranch_execz .LBB245_96
.LBB245_41:                             ; =>This Inner Loop Header: Depth=1
	ds_load_b32 v5, v26
	ds_load_2addr_b64 v[6:9], v27 offset1:1
	s_waitcnt lgkmcnt(1)
	v_cmp_gt_i32_e64 s15, s33, v5
	s_waitcnt lgkmcnt(0)
	scratch_store_b128 off, v[6:9], off
	s_waitcnt_vscnt null, 0x0
	s_barrier
	buffer_gl0_inv
	s_bcnt1_i32_b32 s17, s15
	s_delay_alu instid0(SALU_CYCLE_1) | instskip(NEXT) | instid1(VALU_DEP_1)
	v_dual_mov_b32 v7, s17 :: v_dual_and_b32 v6, s15, v1
	v_bcnt_u32_b32 v6, v6, 0
	ds_store_b32 v3, v7 offset:20480
	s_waitcnt lgkmcnt(0)
	s_barrier
	buffer_gl0_inv
	s_and_saveexec_b32 s17, s0
	s_cbranch_execnz .LBB245_58
; %bb.42:                               ;   in Loop: Header=BB245_41 Depth=1
	s_or_b32 exec_lo, exec_lo, s17
	s_and_saveexec_b32 s17, s1
	s_cbranch_execnz .LBB245_59
.LBB245_43:                             ;   in Loop: Header=BB245_41 Depth=1
	s_or_b32 exec_lo, exec_lo, s17
	s_and_saveexec_b32 s17, s2
	s_cbranch_execnz .LBB245_60
.LBB245_44:                             ;   in Loop: Header=BB245_41 Depth=1
	s_or_b32 exec_lo, exec_lo, s17
	s_and_saveexec_b32 s17, s3
	s_cbranch_execnz .LBB245_61
.LBB245_45:                             ;   in Loop: Header=BB245_41 Depth=1
	s_or_b32 exec_lo, exec_lo, s17
	s_and_saveexec_b32 s17, s4
	s_cbranch_execnz .LBB245_62
.LBB245_46:                             ;   in Loop: Header=BB245_41 Depth=1
	s_or_b32 exec_lo, exec_lo, s17
	s_and_saveexec_b32 s17, s5
	s_cbranch_execnz .LBB245_63
.LBB245_47:                             ;   in Loop: Header=BB245_41 Depth=1
	s_or_b32 exec_lo, exec_lo, s17
	s_and_saveexec_b32 s17, s6
	s_cbranch_execnz .LBB245_64
.LBB245_48:                             ;   in Loop: Header=BB245_41 Depth=1
	s_or_b32 exec_lo, exec_lo, s17
	s_and_saveexec_b32 s17, s7
	s_cbranch_execnz .LBB245_65
.LBB245_49:                             ;   in Loop: Header=BB245_41 Depth=1
	s_or_b32 exec_lo, exec_lo, s17
	s_and_saveexec_b32 s17, s8
	s_cbranch_execnz .LBB245_66
.LBB245_50:                             ;   in Loop: Header=BB245_41 Depth=1
	s_or_b32 exec_lo, exec_lo, s17
	s_and_saveexec_b32 s17, s9
	s_cbranch_execnz .LBB245_67
.LBB245_51:                             ;   in Loop: Header=BB245_41 Depth=1
	s_or_b32 exec_lo, exec_lo, s17
	s_and_saveexec_b32 s17, s10
	s_cbranch_execnz .LBB245_68
.LBB245_52:                             ;   in Loop: Header=BB245_41 Depth=1
	s_or_b32 exec_lo, exec_lo, s17
	s_and_saveexec_b32 s17, s11
	s_cbranch_execnz .LBB245_69
.LBB245_53:                             ;   in Loop: Header=BB245_41 Depth=1
	s_or_b32 exec_lo, exec_lo, s17
	s_and_saveexec_b32 s17, s12
	s_cbranch_execnz .LBB245_70
.LBB245_54:                             ;   in Loop: Header=BB245_41 Depth=1
	s_or_b32 exec_lo, exec_lo, s17
	s_and_saveexec_b32 s17, s13
	s_cbranch_execnz .LBB245_71
.LBB245_55:                             ;   in Loop: Header=BB245_41 Depth=1
	s_or_b32 exec_lo, exec_lo, s17
	s_and_saveexec_b32 s17, s14
	s_cbranch_execnz .LBB245_72
.LBB245_56:                             ;   in Loop: Header=BB245_41 Depth=1
	s_or_b32 exec_lo, exec_lo, s17
	s_and_saveexec_b32 s17, s15
	s_cbranch_execnz .LBB245_73
.LBB245_57:                             ;   in Loop: Header=BB245_41 Depth=1
	s_or_b32 exec_lo, exec_lo, s17
	s_and_saveexec_b32 s15, vcc_lo
	s_cbranch_execz .LBB245_40
	s_branch .LBB245_74
.LBB245_58:                             ;   in Loop: Header=BB245_41 Depth=1
	ds_load_b32 v7, v2 offset:20480
	s_waitcnt lgkmcnt(0)
	v_add_nc_u32_e32 v6, v7, v6
	s_or_b32 exec_lo, exec_lo, s17
	s_and_saveexec_b32 s17, s1
	s_cbranch_execz .LBB245_43
.LBB245_59:                             ;   in Loop: Header=BB245_41 Depth=1
	ds_load_b32 v7, v2 offset:20484
	s_waitcnt lgkmcnt(0)
	v_add_nc_u32_e32 v6, v7, v6
	s_or_b32 exec_lo, exec_lo, s17
	s_and_saveexec_b32 s17, s2
	s_cbranch_execz .LBB245_44
.LBB245_60:                             ;   in Loop: Header=BB245_41 Depth=1
	ds_load_b32 v7, v2 offset:20488
	s_waitcnt lgkmcnt(0)
	v_add_nc_u32_e32 v6, v7, v6
	s_or_b32 exec_lo, exec_lo, s17
	s_and_saveexec_b32 s17, s3
	s_cbranch_execz .LBB245_45
.LBB245_61:                             ;   in Loop: Header=BB245_41 Depth=1
	ds_load_b32 v7, v2 offset:20492
	s_waitcnt lgkmcnt(0)
	v_add_nc_u32_e32 v6, v7, v6
	s_or_b32 exec_lo, exec_lo, s17
	s_and_saveexec_b32 s17, s4
	s_cbranch_execz .LBB245_46
.LBB245_62:                             ;   in Loop: Header=BB245_41 Depth=1
	ds_load_b32 v7, v2 offset:20496
	s_waitcnt lgkmcnt(0)
	v_add_nc_u32_e32 v6, v7, v6
	s_or_b32 exec_lo, exec_lo, s17
	s_and_saveexec_b32 s17, s5
	s_cbranch_execz .LBB245_47
.LBB245_63:                             ;   in Loop: Header=BB245_41 Depth=1
	ds_load_b32 v7, v2 offset:20500
	s_waitcnt lgkmcnt(0)
	v_add_nc_u32_e32 v6, v7, v6
	s_or_b32 exec_lo, exec_lo, s17
	s_and_saveexec_b32 s17, s6
	s_cbranch_execz .LBB245_48
.LBB245_64:                             ;   in Loop: Header=BB245_41 Depth=1
	ds_load_b32 v7, v2 offset:20504
	s_waitcnt lgkmcnt(0)
	v_add_nc_u32_e32 v6, v7, v6
	s_or_b32 exec_lo, exec_lo, s17
	s_and_saveexec_b32 s17, s7
	s_cbranch_execz .LBB245_49
.LBB245_65:                             ;   in Loop: Header=BB245_41 Depth=1
	ds_load_b32 v7, v2 offset:20508
	s_waitcnt lgkmcnt(0)
	v_add_nc_u32_e32 v6, v7, v6
	s_or_b32 exec_lo, exec_lo, s17
	s_and_saveexec_b32 s17, s8
	s_cbranch_execz .LBB245_50
.LBB245_66:                             ;   in Loop: Header=BB245_41 Depth=1
	ds_load_b32 v7, v2 offset:20512
	s_waitcnt lgkmcnt(0)
	v_add_nc_u32_e32 v6, v7, v6
	s_or_b32 exec_lo, exec_lo, s17
	s_and_saveexec_b32 s17, s9
	s_cbranch_execz .LBB245_51
.LBB245_67:                             ;   in Loop: Header=BB245_41 Depth=1
	ds_load_b32 v7, v2 offset:20516
	s_waitcnt lgkmcnt(0)
	v_add_nc_u32_e32 v6, v7, v6
	s_or_b32 exec_lo, exec_lo, s17
	s_and_saveexec_b32 s17, s10
	s_cbranch_execz .LBB245_52
.LBB245_68:                             ;   in Loop: Header=BB245_41 Depth=1
	ds_load_b32 v7, v2 offset:20520
	s_waitcnt lgkmcnt(0)
	v_add_nc_u32_e32 v6, v7, v6
	s_or_b32 exec_lo, exec_lo, s17
	s_and_saveexec_b32 s17, s11
	s_cbranch_execz .LBB245_53
.LBB245_69:                             ;   in Loop: Header=BB245_41 Depth=1
	ds_load_b32 v7, v2 offset:20524
	s_waitcnt lgkmcnt(0)
	v_add_nc_u32_e32 v6, v7, v6
	s_or_b32 exec_lo, exec_lo, s17
	s_and_saveexec_b32 s17, s12
	s_cbranch_execz .LBB245_54
.LBB245_70:                             ;   in Loop: Header=BB245_41 Depth=1
	ds_load_b32 v7, v2 offset:20528
	s_waitcnt lgkmcnt(0)
	v_add_nc_u32_e32 v6, v7, v6
	s_or_b32 exec_lo, exec_lo, s17
	s_and_saveexec_b32 s17, s13
	s_cbranch_execz .LBB245_55
.LBB245_71:                             ;   in Loop: Header=BB245_41 Depth=1
	ds_load_b32 v7, v2 offset:20532
	s_waitcnt lgkmcnt(0)
	v_add_nc_u32_e32 v6, v7, v6
	s_or_b32 exec_lo, exec_lo, s17
	s_and_saveexec_b32 s17, s14
	s_cbranch_execz .LBB245_56
.LBB245_72:                             ;   in Loop: Header=BB245_41 Depth=1
	ds_load_b32 v7, v2 offset:20536
	s_waitcnt lgkmcnt(0)
	v_add_nc_u32_e32 v6, v7, v6
	s_or_b32 exec_lo, exec_lo, s17
	s_and_saveexec_b32 s17, s15
	s_cbranch_execz .LBB245_57
.LBB245_73:                             ;   in Loop: Header=BB245_41 Depth=1
	scratch_load_b128 v[7:10], off, off
	v_add3_u32 v11, v4, -1, v6
	s_delay_alu instid0(VALU_DEP_1) | instskip(SKIP_1) | instid1(VALU_DEP_2)
	v_lshlrev_b32_e32 v12, 4, v11
	v_lshl_add_u32 v11, v11, 2, 0
	v_add3_u32 v12, 0, v12, 0x1000
	ds_store_b32 v11, v5
	s_waitcnt vmcnt(0)
	ds_store_2addr_b64 v12, v[7:8], v[9:10] offset1:1
	s_or_b32 exec_lo, exec_lo, s17
	s_and_saveexec_b32 s15, vcc_lo
	s_cbranch_execz .LBB245_40
.LBB245_74:                             ;   in Loop: Header=BB245_41 Depth=1
	ds_store_b32 v2, v6 offset:20540
	s_branch .LBB245_40
.LBB245_75:                             ;   in Loop: Header=BB245_76 Depth=1
	s_or_b32 exec_lo, exec_lo, s4
	v_add_co_u32 v5, vcc_lo, 0x200, v5
	v_add_co_ci_u32_e32 v6, vcc_lo, 0, v6, vcc_lo
	s_delay_alu instid0(VALU_DEP_1) | instskip(SKIP_1) | instid1(SALU_CYCLE_1)
	v_cmp_le_i64_e32 vcc_lo, s[0:1], v[5:6]
	s_or_b32 s3, vcc_lo, s3
	s_and_not1_b32 exec_lo, exec_lo, s3
	s_cbranch_execz .LBB245_38
.LBB245_76:                             ; =>This Loop Header: Depth=1
                                        ;     Child Loop BB245_78 Depth 2
                                        ;       Child Loop BB245_84 Depth 3
                                        ;       Child Loop BB245_86 Depth 3
	;; [unrolled: 1-line block ×4, first 2 shown]
	v_lshlrev_b64 v[7:8], 4, v[5:6]
	s_mov_b32 s4, 0
	s_delay_alu instid0(VALU_DEP_1) | instskip(NEXT) | instid1(VALU_DEP_2)
	v_add_co_u32 v7, vcc_lo, s20, v7
	v_add_co_ci_u32_e32 v8, vcc_lo, s21, v8, vcc_lo
	global_load_b128 v[9:12], v[7:8], off
	v_lshlrev_b64 v[7:8], 2, v[5:6]
	s_delay_alu instid0(VALU_DEP_1) | instskip(NEXT) | instid1(VALU_DEP_2)
	v_add_co_u32 v7, vcc_lo, s18, v7
	v_add_co_ci_u32_e32 v8, vcc_lo, s19, v8, vcc_lo
	global_load_b32 v13, v[7:8], off
	s_waitcnt vmcnt(1)
	v_mul_f64 v[7:8], v[11:12], -v[1:2]
	v_mul_f64 v[11:12], v[3:4], v[11:12]
	s_waitcnt vmcnt(0)
	v_subrev_nc_u32_e32 v13, s27, v13
	s_delay_alu instid0(VALU_DEP_3) | instskip(NEXT) | instid1(VALU_DEP_3)
	v_fma_f64 v[7:8], v[3:4], v[9:10], v[7:8]
	v_fma_f64 v[9:10], v[1:2], v[9:10], v[11:12]
	s_delay_alu instid0(VALU_DEP_3) | instskip(NEXT) | instid1(VALU_DEP_1)
	v_mul_lo_u32 v11, 0x89, v13
	v_and_b32_e32 v14, 0x3ff, v11
	s_branch .LBB245_78
.LBB245_77:                             ;   in Loop: Header=BB245_78 Depth=2
	s_or_b32 exec_lo, exec_lo, s5
	s_xor_b32 s5, s6, -1
	s_delay_alu instid0(SALU_CYCLE_1) | instskip(NEXT) | instid1(SALU_CYCLE_1)
	s_and_b32 s5, exec_lo, s5
	s_or_b32 s4, s5, s4
	s_delay_alu instid0(SALU_CYCLE_1)
	s_and_not1_b32 exec_lo, exec_lo, s4
	s_cbranch_execz .LBB245_75
.LBB245_78:                             ;   Parent Loop BB245_76 Depth=1
                                        ; =>  This Loop Header: Depth=2
                                        ;       Child Loop BB245_84 Depth 3
                                        ;       Child Loop BB245_86 Depth 3
	;; [unrolled: 1-line block ×4, first 2 shown]
	s_delay_alu instid0(VALU_DEP_1)
	v_lshl_add_u32 v11, v14, 2, 0
	s_mov_b32 s5, exec_lo
                                        ; implicit-def: $sgpr6
	ds_load_b32 v12, v11
	s_waitcnt lgkmcnt(0)
	v_cmpx_ne_u32_e64 v12, v13
	s_xor_b32 s5, exec_lo, s5
	s_cbranch_execz .LBB245_90
; %bb.79:                               ;   in Loop: Header=BB245_78 Depth=2
	s_mov_b32 s7, exec_lo
                                        ; implicit-def: $sgpr6
	v_cmpx_ne_u32_e64 s33, v12
	s_xor_b32 s7, exec_lo, s7
; %bb.80:                               ;   in Loop: Header=BB245_78 Depth=2
	v_add_nc_u32_e32 v11, 1, v14
	s_mov_b32 s6, -1
	s_delay_alu instid0(VALU_DEP_1)
	v_and_b32_e32 v14, 0x3ff, v11
                                        ; implicit-def: $vgpr11
; %bb.81:                               ;   in Loop: Header=BB245_78 Depth=2
	s_and_not1_saveexec_b32 s7, s7
	s_cbranch_execz .LBB245_89
; %bb.82:                               ;   in Loop: Header=BB245_78 Depth=2
	v_mov_b32_e32 v12, s33
	s_mov_b32 s9, -1
	s_mov_b32 s8, exec_lo
	ds_cmpstore_rtn_b32 v12, v11, v13, v12
	s_waitcnt lgkmcnt(0)
	v_cmpx_eq_u32_e64 s33, v12
	s_cbranch_execz .LBB245_88
; %bb.83:                               ;   in Loop: Header=BB245_78 Depth=2
	v_mul_lo_u32 v12, v14, 12
	s_mov_b32 s9, 0
	s_delay_alu instid0(VALU_DEP_1)
	v_add_nc_u32_e32 v15, v11, v12
	ds_load_b64 v[11:12], v15 offset:4096
.LBB245_84:                             ;   Parent Loop BB245_76 Depth=1
                                        ;     Parent Loop BB245_78 Depth=2
                                        ; =>    This Inner Loop Header: Depth=3
	s_waitcnt lgkmcnt(0)
	v_add_f64 v[16:17], v[11:12], v[7:8]
	ds_cmpstore_rtn_b64 v[16:17], v15, v[16:17], v[11:12] offset:4096
	s_waitcnt lgkmcnt(0)
	v_cmp_eq_u64_e32 vcc_lo, v[16:17], v[11:12]
	v_dual_mov_b32 v11, v16 :: v_dual_mov_b32 v12, v17
	s_or_b32 s9, vcc_lo, s9
	s_delay_alu instid0(SALU_CYCLE_1)
	s_and_not1_b32 exec_lo, exec_lo, s9
	s_cbranch_execnz .LBB245_84
; %bb.85:                               ;   in Loop: Header=BB245_78 Depth=2
	s_or_b32 exec_lo, exec_lo, s9
	ds_load_b64 v[11:12], v15 offset:4104
	s_mov_b32 s9, 0
.LBB245_86:                             ;   Parent Loop BB245_76 Depth=1
                                        ;     Parent Loop BB245_78 Depth=2
                                        ; =>    This Inner Loop Header: Depth=3
	s_waitcnt lgkmcnt(0)
	v_add_f64 v[16:17], v[11:12], v[9:10]
	ds_cmpstore_rtn_b64 v[16:17], v15, v[16:17], v[11:12] offset:4104
	s_waitcnt lgkmcnt(0)
	v_cmp_eq_u64_e32 vcc_lo, v[16:17], v[11:12]
	v_dual_mov_b32 v11, v16 :: v_dual_mov_b32 v12, v17
	s_or_b32 s9, vcc_lo, s9
	s_delay_alu instid0(SALU_CYCLE_1)
	s_and_not1_b32 exec_lo, exec_lo, s9
	s_cbranch_execnz .LBB245_86
; %bb.87:                               ;   in Loop: Header=BB245_78 Depth=2
	s_or_b32 exec_lo, exec_lo, s9
	s_delay_alu instid0(SALU_CYCLE_1)
	s_xor_b32 s9, exec_lo, -1
.LBB245_88:                             ;   in Loop: Header=BB245_78 Depth=2
	s_or_b32 exec_lo, exec_lo, s8
	s_delay_alu instid0(SALU_CYCLE_1) | instskip(SKIP_1) | instid1(SALU_CYCLE_1)
	s_and_not1_b32 s6, s6, exec_lo
	s_and_b32 s8, s9, exec_lo
	s_or_b32 s6, s6, s8
.LBB245_89:                             ;   in Loop: Header=BB245_78 Depth=2
	s_or_b32 exec_lo, exec_lo, s7
	s_delay_alu instid0(SALU_CYCLE_1)
	s_and_b32 s6, s6, exec_lo
                                        ; implicit-def: $vgpr11
.LBB245_90:                             ;   in Loop: Header=BB245_78 Depth=2
	s_and_not1_saveexec_b32 s5, s5
	s_cbranch_execz .LBB245_77
; %bb.91:                               ;   in Loop: Header=BB245_78 Depth=2
	v_mul_lo_u32 v12, v14, 12
	s_mov_b32 s7, 0
	s_delay_alu instid0(VALU_DEP_1)
	v_add_nc_u32_e32 v15, v11, v12
	ds_load_b64 v[11:12], v15 offset:4096
.LBB245_92:                             ;   Parent Loop BB245_76 Depth=1
                                        ;     Parent Loop BB245_78 Depth=2
                                        ; =>    This Inner Loop Header: Depth=3
	s_waitcnt lgkmcnt(0)
	v_add_f64 v[16:17], v[11:12], v[7:8]
	ds_cmpstore_rtn_b64 v[16:17], v15, v[16:17], v[11:12] offset:4096
	s_waitcnt lgkmcnt(0)
	v_cmp_eq_u64_e32 vcc_lo, v[16:17], v[11:12]
	v_dual_mov_b32 v11, v16 :: v_dual_mov_b32 v12, v17
	s_or_b32 s7, vcc_lo, s7
	s_delay_alu instid0(SALU_CYCLE_1)
	s_and_not1_b32 exec_lo, exec_lo, s7
	s_cbranch_execnz .LBB245_92
; %bb.93:                               ;   in Loop: Header=BB245_78 Depth=2
	s_or_b32 exec_lo, exec_lo, s7
	ds_load_b64 v[11:12], v15 offset:4104
	s_mov_b32 s7, 0
.LBB245_94:                             ;   Parent Loop BB245_76 Depth=1
                                        ;     Parent Loop BB245_78 Depth=2
                                        ; =>    This Inner Loop Header: Depth=3
	s_waitcnt lgkmcnt(0)
	v_add_f64 v[16:17], v[11:12], v[9:10]
	ds_cmpstore_rtn_b64 v[16:17], v15, v[16:17], v[11:12] offset:4104
	s_waitcnt lgkmcnt(0)
	v_cmp_eq_u64_e32 vcc_lo, v[16:17], v[11:12]
	v_dual_mov_b32 v11, v16 :: v_dual_mov_b32 v12, v17
	s_or_b32 s7, vcc_lo, s7
	s_delay_alu instid0(SALU_CYCLE_1)
	s_and_not1_b32 exec_lo, exec_lo, s7
	s_cbranch_execnz .LBB245_94
; %bb.95:                               ;   in Loop: Header=BB245_78 Depth=2
	s_or_b32 exec_lo, exec_lo, s7
	s_delay_alu instid0(SALU_CYCLE_1)
	s_and_not1_b32 s6, s6, exec_lo
	s_branch .LBB245_77
.LBB245_96:
	s_or_b32 exec_lo, exec_lo, s16
	s_ashr_i32 s35, s34, 31
	s_mov_b32 s4, exec_lo
	s_lshl_b64 s[0:1], s[34:35], 3
	s_delay_alu instid0(SALU_CYCLE_1) | instskip(SKIP_4) | instid1(SALU_CYCLE_1)
	s_add_u32 s0, s22, s0
	s_addc_u32 s1, s23, s1
	s_load_b128 s[0:3], s[0:1], 0x0
	s_waitcnt lgkmcnt(0)
	s_sub_i32 s3, s2, s0
	v_cmpx_gt_i32_e64 s3, v0
	s_cbranch_execz .LBB245_106
; %bb.97:
	s_sub_u32 s4, s0, s26
	s_subb_u32 s5, s1, 0
	s_sub_i32 s0, s0, s2
	s_and_b32 s1, s3, 7
	s_cmp_lt_u32 s0, -7
	s_mov_b32 s8, 0
	s_cselect_b32 s2, -1, 0
	s_and_b32 s6, s3, -8
	s_cmp_lg_u32 s1, 0
	s_cselect_b32 s7, -1, 0
	s_branch .LBB245_99
.LBB245_98:                             ;   in Loop: Header=BB245_99 Depth=1
	v_mul_lo_u32 v5, v0, 12
	s_delay_alu instid0(VALU_DEP_2) | instskip(SKIP_4) | instid1(VALU_DEP_4)
	v_lshlrev_b64 v[8:9], 2, v[1:2]
	v_lshlrev_b64 v[1:2], 4, v[1:2]
	v_add_nc_u32_e32 v0, 0x200, v0
	s_waitcnt lgkmcnt(0)
	v_add_nc_u32_e32 v3, s26, v3
	v_add_co_u32 v8, vcc_lo, s28, v8
	v_add3_u32 v4, v4, v5, 0x1000
	v_add_co_ci_u32_e32 v9, vcc_lo, s29, v9, vcc_lo
	v_cmp_le_i32_e32 vcc_lo, s3, v0
	v_add_co_u32 v1, s0, s30, v1
	ds_load_2addr_b64 v[4:7], v4 offset1:1
	v_add_co_ci_u32_e64 v2, s0, s31, v2, s0
	s_or_b32 s8, vcc_lo, s8
	global_store_b32 v[8:9], v3, off
	s_waitcnt lgkmcnt(0)
	global_store_b128 v[1:2], v[4:7], off
	s_and_not1_b32 exec_lo, exec_lo, s8
	s_cbranch_execz .LBB245_106
.LBB245_99:                             ; =>This Loop Header: Depth=1
                                        ;     Child Loop BB245_101 Depth 2
                                        ;     Child Loop BB245_105 Depth 2
	v_lshl_add_u32 v4, v0, 2, 0
	v_dual_mov_b32 v1, s4 :: v_dual_mov_b32 v2, s5
	s_and_not1_b32 vcc_lo, exec_lo, s2
	s_mov_b32 s0, 0
	ds_load_b32 v3, v4
	s_cbranch_vccnz .LBB245_103
; %bb.100:                              ;   in Loop: Header=BB245_99 Depth=1
	v_dual_mov_b32 v1, s4 :: v_dual_mov_b32 v2, s5
	s_mov_b32 s9, 0
	s_mov_b32 s10, 0
.LBB245_101:                            ;   Parent Loop BB245_99 Depth=1
                                        ; =>  This Inner Loop Header: Depth=2
	s_delay_alu instid0(SALU_CYCLE_1)
	v_mov_b32_e32 v11, s10
	s_add_i32 s9, s9, 8
	s_add_i32 s10, s10, 32
	s_cmp_eq_u32 s6, s9
	ds_load_2addr_b32 v[5:6], v11 offset1:1
	ds_load_2addr_b32 v[7:8], v11 offset0:2 offset1:3
	ds_load_2addr_b32 v[9:10], v11 offset0:4 offset1:5
	;; [unrolled: 1-line block ×3, first 2 shown]
	s_waitcnt lgkmcnt(3)
	v_cmp_gt_i32_e32 vcc_lo, v3, v5
	v_cndmask_b32_e64 v5, 0, 1, vcc_lo
	v_cmp_gt_i32_e32 vcc_lo, v3, v6
	v_cndmask_b32_e64 v6, 0, 1, vcc_lo
	s_waitcnt lgkmcnt(2)
	v_cmp_gt_i32_e32 vcc_lo, v3, v7
	v_cndmask_b32_e64 v7, 0, 1, vcc_lo
	v_cmp_gt_i32_e32 vcc_lo, v3, v8
	v_cndmask_b32_e64 v8, 0, 1, vcc_lo
	s_waitcnt lgkmcnt(1)
	v_cmp_gt_i32_e32 vcc_lo, v3, v9
	v_cndmask_b32_e64 v9, 0, 1, vcc_lo
	v_add_co_u32 v1, vcc_lo, v1, v5
	v_add_co_ci_u32_e32 v2, vcc_lo, 0, v2, vcc_lo
	v_cmp_gt_i32_e32 vcc_lo, v3, v10
	s_delay_alu instid0(VALU_DEP_3) | instskip(NEXT) | instid1(VALU_DEP_1)
	v_add_co_u32 v1, s0, v1, v6
	v_add_co_ci_u32_e64 v2, s0, 0, v2, s0
	v_cndmask_b32_e64 v5, 0, 1, vcc_lo
	s_delay_alu instid0(VALU_DEP_3) | instskip(NEXT) | instid1(VALU_DEP_3)
	v_add_co_u32 v1, vcc_lo, v1, v7
	v_add_co_ci_u32_e32 v2, vcc_lo, 0, v2, vcc_lo
	s_waitcnt lgkmcnt(0)
	v_cmp_gt_i32_e32 vcc_lo, v3, v11
	s_delay_alu instid0(VALU_DEP_3) | instskip(NEXT) | instid1(VALU_DEP_1)
	v_add_co_u32 v1, s0, v1, v8
	v_add_co_ci_u32_e64 v2, s0, 0, v2, s0
	v_cndmask_b32_e64 v6, 0, 1, vcc_lo
	s_delay_alu instid0(VALU_DEP_3) | instskip(NEXT) | instid1(VALU_DEP_3)
	v_add_co_u32 v1, vcc_lo, v1, v9
	v_add_co_ci_u32_e32 v2, vcc_lo, 0, v2, vcc_lo
	v_cmp_gt_i32_e32 vcc_lo, v3, v12
	s_delay_alu instid0(VALU_DEP_3) | instskip(NEXT) | instid1(VALU_DEP_1)
	v_add_co_u32 v1, s0, v1, v5
	v_add_co_ci_u32_e64 v2, s0, 0, v2, s0
	v_cndmask_b32_e64 v5, 0, 1, vcc_lo
	s_delay_alu instid0(VALU_DEP_3) | instskip(NEXT) | instid1(VALU_DEP_3)
	v_add_co_u32 v1, vcc_lo, v1, v6
	v_add_co_ci_u32_e32 v2, vcc_lo, 0, v2, vcc_lo
	s_delay_alu instid0(VALU_DEP_2) | instskip(NEXT) | instid1(VALU_DEP_2)
	v_add_co_u32 v1, vcc_lo, v1, v5
	v_add_co_ci_u32_e32 v2, vcc_lo, 0, v2, vcc_lo
	s_cbranch_scc0 .LBB245_101
; %bb.102:                              ;   in Loop: Header=BB245_99 Depth=1
	s_mov_b32 s0, s6
.LBB245_103:                            ;   in Loop: Header=BB245_99 Depth=1
	s_and_not1_b32 vcc_lo, exec_lo, s7
	s_cbranch_vccnz .LBB245_98
; %bb.104:                              ;   in Loop: Header=BB245_99 Depth=1
	s_lshl_b32 s0, s0, 2
	s_mov_b32 s9, s1
	s_add_i32 s0, s0, 0
.LBB245_105:                            ;   Parent Loop BB245_99 Depth=1
                                        ; =>  This Inner Loop Header: Depth=2
	s_delay_alu instid0(SALU_CYCLE_1)
	v_mov_b32_e32 v5, s0
	s_add_i32 s9, s9, -1
	s_add_i32 s0, s0, 4
	s_cmp_lg_u32 s9, 0
	ds_load_b32 v5, v5
	s_waitcnt lgkmcnt(0)
	v_cmp_gt_i32_e32 vcc_lo, v3, v5
	v_cndmask_b32_e64 v5, 0, 1, vcc_lo
	s_delay_alu instid0(VALU_DEP_1)
	v_add_co_u32 v1, vcc_lo, v1, v5
	v_add_co_ci_u32_e32 v2, vcc_lo, 0, v2, vcc_lo
	s_cbranch_scc1 .LBB245_105
	s_branch .LBB245_98
.LBB245_106:
	s_nop 0
	s_sendmsg sendmsg(MSG_DEALLOC_VGPRS)
	s_endpgm
	.section	.rodata,"a",@progbits
	.p2align	6, 0x0
	.amdhsa_kernel _ZN9rocsparseL26csrgemm_fill_block_per_rowILj512ELj32ELj1024ELj137ELj32Eli21rocsparse_complex_numIdEEEvT5_PKS3_S5_NS_24const_host_device_scalarIT6_EEPKT4_S5_PKS7_SB_S5_SD_S8_SB_S5_SD_SB_PS3_PS7_21rocsparse_index_base_SG_SG_SG_bbb
		.amdhsa_group_segment_fixed_size 0
		.amdhsa_private_segment_fixed_size 40
		.amdhsa_kernarg_size 172
		.amdhsa_user_sgpr_count 15
		.amdhsa_user_sgpr_dispatch_ptr 0
		.amdhsa_user_sgpr_queue_ptr 0
		.amdhsa_user_sgpr_kernarg_segment_ptr 1
		.amdhsa_user_sgpr_dispatch_id 0
		.amdhsa_user_sgpr_private_segment_size 0
		.amdhsa_wavefront_size32 1
		.amdhsa_uses_dynamic_stack 0
		.amdhsa_enable_private_segment 1
		.amdhsa_system_sgpr_workgroup_id_x 1
		.amdhsa_system_sgpr_workgroup_id_y 0
		.amdhsa_system_sgpr_workgroup_id_z 0
		.amdhsa_system_sgpr_workgroup_info 0
		.amdhsa_system_vgpr_workitem_id 0
		.amdhsa_next_free_vgpr 36
		.amdhsa_next_free_sgpr 48
		.amdhsa_reserve_vcc 1
		.amdhsa_float_round_mode_32 0
		.amdhsa_float_round_mode_16_64 0
		.amdhsa_float_denorm_mode_32 3
		.amdhsa_float_denorm_mode_16_64 3
		.amdhsa_dx10_clamp 1
		.amdhsa_ieee_mode 1
		.amdhsa_fp16_overflow 0
		.amdhsa_workgroup_processor_mode 1
		.amdhsa_memory_ordered 1
		.amdhsa_forward_progress 0
		.amdhsa_shared_vgpr_count 0
		.amdhsa_exception_fp_ieee_invalid_op 0
		.amdhsa_exception_fp_denorm_src 0
		.amdhsa_exception_fp_ieee_div_zero 0
		.amdhsa_exception_fp_ieee_overflow 0
		.amdhsa_exception_fp_ieee_underflow 0
		.amdhsa_exception_fp_ieee_inexact 0
		.amdhsa_exception_int_div_zero 0
	.end_amdhsa_kernel
	.section	.text._ZN9rocsparseL26csrgemm_fill_block_per_rowILj512ELj32ELj1024ELj137ELj32Eli21rocsparse_complex_numIdEEEvT5_PKS3_S5_NS_24const_host_device_scalarIT6_EEPKT4_S5_PKS7_SB_S5_SD_S8_SB_S5_SD_SB_PS3_PS7_21rocsparse_index_base_SG_SG_SG_bbb,"axG",@progbits,_ZN9rocsparseL26csrgemm_fill_block_per_rowILj512ELj32ELj1024ELj137ELj32Eli21rocsparse_complex_numIdEEEvT5_PKS3_S5_NS_24const_host_device_scalarIT6_EEPKT4_S5_PKS7_SB_S5_SD_S8_SB_S5_SD_SB_PS3_PS7_21rocsparse_index_base_SG_SG_SG_bbb,comdat
.Lfunc_end245:
	.size	_ZN9rocsparseL26csrgemm_fill_block_per_rowILj512ELj32ELj1024ELj137ELj32Eli21rocsparse_complex_numIdEEEvT5_PKS3_S5_NS_24const_host_device_scalarIT6_EEPKT4_S5_PKS7_SB_S5_SD_S8_SB_S5_SD_SB_PS3_PS7_21rocsparse_index_base_SG_SG_SG_bbb, .Lfunc_end245-_ZN9rocsparseL26csrgemm_fill_block_per_rowILj512ELj32ELj1024ELj137ELj32Eli21rocsparse_complex_numIdEEEvT5_PKS3_S5_NS_24const_host_device_scalarIT6_EEPKT4_S5_PKS7_SB_S5_SD_S8_SB_S5_SD_SB_PS3_PS7_21rocsparse_index_base_SG_SG_SG_bbb
                                        ; -- End function
	.section	.AMDGPU.csdata,"",@progbits
; Kernel info:
; codeLenInByte = 4336
; NumSgprs: 50
; NumVgprs: 36
; ScratchSize: 40
; MemoryBound: 0
; FloatMode: 240
; IeeeMode: 1
; LDSByteSize: 0 bytes/workgroup (compile time only)
; SGPRBlocks: 6
; VGPRBlocks: 4
; NumSGPRsForWavesPerEU: 50
; NumVGPRsForWavesPerEU: 36
; Occupancy: 16
; WaveLimiterHint : 1
; COMPUTE_PGM_RSRC2:SCRATCH_EN: 1
; COMPUTE_PGM_RSRC2:USER_SGPR: 15
; COMPUTE_PGM_RSRC2:TRAP_HANDLER: 0
; COMPUTE_PGM_RSRC2:TGID_X_EN: 1
; COMPUTE_PGM_RSRC2:TGID_Y_EN: 0
; COMPUTE_PGM_RSRC2:TGID_Z_EN: 0
; COMPUTE_PGM_RSRC2:TIDIG_COMP_CNT: 0
	.section	.text._ZN9rocsparseL26csrgemm_fill_block_per_rowILj512ELj32ELj1024ELj137ELj64Eli21rocsparse_complex_numIdEEEvT5_PKS3_S5_NS_24const_host_device_scalarIT6_EEPKT4_S5_PKS7_SB_S5_SD_S8_SB_S5_SD_SB_PS3_PS7_21rocsparse_index_base_SG_SG_SG_bbb,"axG",@progbits,_ZN9rocsparseL26csrgemm_fill_block_per_rowILj512ELj32ELj1024ELj137ELj64Eli21rocsparse_complex_numIdEEEvT5_PKS3_S5_NS_24const_host_device_scalarIT6_EEPKT4_S5_PKS7_SB_S5_SD_S8_SB_S5_SD_SB_PS3_PS7_21rocsparse_index_base_SG_SG_SG_bbb,comdat
	.globl	_ZN9rocsparseL26csrgemm_fill_block_per_rowILj512ELj32ELj1024ELj137ELj64Eli21rocsparse_complex_numIdEEEvT5_PKS3_S5_NS_24const_host_device_scalarIT6_EEPKT4_S5_PKS7_SB_S5_SD_S8_SB_S5_SD_SB_PS3_PS7_21rocsparse_index_base_SG_SG_SG_bbb ; -- Begin function _ZN9rocsparseL26csrgemm_fill_block_per_rowILj512ELj32ELj1024ELj137ELj64Eli21rocsparse_complex_numIdEEEvT5_PKS3_S5_NS_24const_host_device_scalarIT6_EEPKT4_S5_PKS7_SB_S5_SD_S8_SB_S5_SD_SB_PS3_PS7_21rocsparse_index_base_SG_SG_SG_bbb
	.p2align	8
	.type	_ZN9rocsparseL26csrgemm_fill_block_per_rowILj512ELj32ELj1024ELj137ELj64Eli21rocsparse_complex_numIdEEEvT5_PKS3_S5_NS_24const_host_device_scalarIT6_EEPKT4_S5_PKS7_SB_S5_SD_S8_SB_S5_SD_SB_PS3_PS7_21rocsparse_index_base_SG_SG_SG_bbb,@function
_ZN9rocsparseL26csrgemm_fill_block_per_rowILj512ELj32ELj1024ELj137ELj64Eli21rocsparse_complex_numIdEEEvT5_PKS3_S5_NS_24const_host_device_scalarIT6_EEPKT4_S5_PKS7_SB_S5_SD_S8_SB_S5_SD_SB_PS3_PS7_21rocsparse_index_base_SG_SG_SG_bbb: ; @_ZN9rocsparseL26csrgemm_fill_block_per_rowILj512ELj32ELj1024ELj137ELj64Eli21rocsparse_complex_numIdEEEvT5_PKS3_S5_NS_24const_host_device_scalarIT6_EEPKT4_S5_PKS7_SB_S5_SD_S8_SB_S5_SD_SB_PS3_PS7_21rocsparse_index_base_SG_SG_SG_bbb
; %bb.0:
	s_clause 0x3
	s_load_b32 s14, s[0:1], 0xa8
	s_load_b128 s[4:7], s[0:1], 0x18
	s_load_b128 s[40:43], s[0:1], 0x58
	;; [unrolled: 1-line block ×3, first 2 shown]
	v_mov_b32_e32 v1, 0
	v_mov_b32_e32 v2, 0
	s_waitcnt lgkmcnt(0)
	s_bitcmp1_b32 s14, 0
	v_mov_b32_e32 v3, s4
	s_cselect_b32 s13, -1, 0
	s_bitcmp1_b32 s14, 16
	v_dual_mov_b32 v6, v2 :: v_dual_mov_b32 v5, v1
	s_cselect_b32 s2, -1, 0
	v_mov_b32_e32 v4, s5
	s_xor_b32 s12, s2, -1
	v_dual_mov_b32 v9, s40 :: v_dual_mov_b32 v10, s41
	v_cndmask_b32_e64 v7, 0, 1, s12
	s_bitcmp0_b32 s14, 0
	s_clause 0x1
	scratch_store_b64 off, v[3:4], off offset:16
	scratch_store_b64 off, v[9:10], off offset:24
	v_cmp_ne_u32_e32 vcc_lo, 1, v7
	v_dual_mov_b32 v8, v2 :: v_dual_mov_b32 v7, v1
	s_cbranch_scc1 .LBB246_3
; %bb.1:
	s_mov_b64 s[8:9], src_private_base
	s_and_b32 s3, s2, exec_lo
	s_cselect_b32 s3, s9, s5
	s_delay_alu instid0(SALU_CYCLE_1) | instskip(SKIP_2) | instid1(VALU_DEP_2)
	v_dual_mov_b32 v3, 16 :: v_dual_mov_b32 v4, s3
	v_dual_mov_b32 v8, s7 :: v_dual_mov_b32 v7, s6
	s_and_b32 vcc_lo, exec_lo, vcc_lo
	v_cndmask_b32_e64 v3, s4, v3, s2
	flat_load_b64 v[5:6], v[3:4]
	s_cbranch_vccnz .LBB246_3
; %bb.2:
	v_dual_mov_b32 v3, s4 :: v_dual_mov_b32 v4, s5
	flat_load_b64 v[7:8], v[3:4] offset:8
.LBB246_3:
	s_clause 0x4
	s_load_b128 s[28:31], s[0:1], 0x88
	s_load_b256 s[4:11], s[0:1], 0x68
	s_load_b128 s[36:39], s[0:1], 0x48
	s_load_b128 s[44:47], s[0:1], 0x8
	s_load_b256 s[16:23], s[0:1], 0x28
	s_bitcmp1_b32 s14, 8
	v_dual_mov_b32 v4, v2 :: v_dual_mov_b32 v3, v1
	s_cselect_b32 s3, -1, 0
	s_bfe_u32 s14, s14, 0x10008
	s_delay_alu instid0(SALU_CYCLE_1)
	s_cmp_eq_u32 s14, 0
	s_cbranch_scc1 .LBB246_6
; %bb.4:
	s_mov_b64 s[34:35], src_private_base
	s_and_b32 s14, s2, exec_lo
	s_cselect_b32 s14, s35, s41
	s_delay_alu instid0(SALU_CYCLE_1) | instskip(SKIP_1) | instid1(VALU_DEP_1)
	v_dual_mov_b32 v1, 24 :: v_dual_mov_b32 v2, s14
	s_and_not1_b32 vcc_lo, exec_lo, s12
	v_cndmask_b32_e64 v1, s40, v1, s2
	flat_load_b64 v[3:4], v[1:2]
	v_dual_mov_b32 v1, s42 :: v_dual_mov_b32 v2, s43
	s_cbranch_vccnz .LBB246_6
; %bb.5:
	v_dual_mov_b32 v1, s40 :: v_dual_mov_b32 v2, s41
	flat_load_b64 v[1:2], v[1:2] offset:8
.LBB246_6:
	s_load_b32 s14, s[0:1], 0x0
	s_mov_b32 s0, 0
	v_or_b32_e32 v25, 0xfffffe00, v0
	s_mov_b32 s1, s0
	s_delay_alu instid0(SALU_CYCLE_1) | instskip(SKIP_3) | instid1(VALU_DEP_2)
	v_dual_mov_b32 v10, s1 :: v_dual_lshlrev_b32 v11, 4, v0
	v_lshl_add_u32 v26, v0, 2, 0
	s_mov_b32 s34, s0
	s_mov_b32 s35, s0
	v_add3_u32 v27, v11, 0, 0x1000
	v_dual_mov_b32 v11, s34 :: v_dual_mov_b32 v14, v25
	v_dual_mov_b32 v9, s0 :: v_dual_mov_b32 v12, s35
	s_delay_alu instid0(VALU_DEP_3)
	v_dual_mov_b32 v13, v26 :: v_dual_mov_b32 v16, v27
	s_waitcnt lgkmcnt(0)
	v_mov_b32_e32 v15, s14
.LBB246_7:                              ; =>This Inner Loop Header: Depth=1
	v_add_co_u32 v14, s1, 0x200, v14
	s_delay_alu instid0(VALU_DEP_1)
	s_xor_b32 s1, s1, -1
	ds_store_b32 v13, v15
	ds_store_2addr_b64 v16, v[9:10], v[11:12] offset1:1
	v_add_nc_u32_e32 v16, 0x2000, v16
	v_add_nc_u32_e32 v13, 0x800, v13
	s_and_b32 s1, exec_lo, s1
	s_delay_alu instid0(SALU_CYCLE_1) | instskip(NEXT) | instid1(SALU_CYCLE_1)
	s_or_b32 s0, s1, s0
	s_and_not1_b32 exec_lo, exec_lo, s0
	s_cbranch_execnz .LBB246_7
; %bb.8:
	s_or_b32 exec_lo, exec_lo, s0
	s_waitcnt vmcnt(0) lgkmcnt(0)
	s_waitcnt_vscnt null, 0x0
	s_barrier
	buffer_gl0_inv
	s_load_b32 s0, s[44:45], 0x0
	s_mov_b32 s1, 0
	s_waitcnt lgkmcnt(0)
	s_add_i32 s0, s0, s15
	s_delay_alu instid0(SALU_CYCLE_1) | instskip(NEXT) | instid1(SALU_CYCLE_1)
	s_lshl_b64 s[0:1], s[0:1], 2
	s_add_u32 s0, s46, s0
	s_addc_u32 s1, s47, s1
	s_and_b32 vcc_lo, exec_lo, s13
	s_load_b32 s12, s[0:1], 0x0
	s_cbranch_vccz .LBB246_36
; %bb.9:
	s_waitcnt lgkmcnt(0)
	s_ashr_i32 s13, s12, 31
	v_lshrrev_b32_e32 v9, 5, v0
	s_lshl_b64 s[0:1], s[12:13], 3
	s_mov_b32 s2, exec_lo
	s_add_u32 s0, s16, s0
	s_addc_u32 s1, s17, s1
	s_load_b128 s[40:43], s[0:1], 0x0
	v_sub_co_u32 v9, s0, v9, s24
	s_delay_alu instid0(VALU_DEP_1) | instskip(SKIP_1) | instid1(VALU_DEP_2)
	v_sub_co_ci_u32_e64 v10, null, 0, 0, s0
	s_waitcnt lgkmcnt(0)
	v_add_co_u32 v9, vcc_lo, s40, v9
	s_delay_alu instid0(VALU_DEP_2)
	v_add_co_ci_u32_e32 v10, vcc_lo, s41, v10, vcc_lo
	s_sub_u32 s0, s42, s24
	s_subb_u32 s1, s43, 0
	s_delay_alu instid0(VALU_DEP_1) | instid1(SALU_CYCLE_1)
	v_cmpx_gt_i64_e64 s[0:1], v[9:10]
	s_cbranch_execz .LBB246_35
; %bb.10:
	v_and_b32_e32 v11, 31, v0
	s_mov_b32 s15, s25
	s_delay_alu instid0(VALU_DEP_1) | instskip(NEXT) | instid1(VALU_DEP_1)
	v_sub_co_u32 v28, s13, v11, s25
	v_sub_co_ci_u32_e64 v29, null, 0, 0, s13
	s_mov_b32 s13, 0
	s_branch .LBB246_12
.LBB246_11:                             ;   in Loop: Header=BB246_12 Depth=1
	s_or_b32 exec_lo, exec_lo, s16
	v_add_co_u32 v9, vcc_lo, v9, 16
	v_add_co_ci_u32_e32 v10, vcc_lo, 0, v10, vcc_lo
	s_delay_alu instid0(VALU_DEP_1) | instskip(SKIP_1) | instid1(SALU_CYCLE_1)
	v_cmp_le_i64_e32 vcc_lo, s[0:1], v[9:10]
	s_or_b32 s13, vcc_lo, s13
	s_and_not1_b32 exec_lo, exec_lo, s13
	s_cbranch_execz .LBB246_35
.LBB246_12:                             ; =>This Loop Header: Depth=1
                                        ;     Child Loop BB246_15 Depth 2
                                        ;       Child Loop BB246_17 Depth 3
                                        ;         Child Loop BB246_23 Depth 4
                                        ;         Child Loop BB246_25 Depth 4
	;; [unrolled: 1-line block ×4, first 2 shown]
	v_lshlrev_b64 v[11:12], 2, v[9:10]
	s_mov_b32 s16, exec_lo
	s_delay_alu instid0(VALU_DEP_1) | instskip(NEXT) | instid1(VALU_DEP_2)
	v_add_co_u32 v11, vcc_lo, s18, v11
	v_add_co_ci_u32_e32 v12, vcc_lo, s19, v12, vcc_lo
	global_load_b32 v11, v[11:12], off
	s_waitcnt vmcnt(0)
	v_subrev_nc_u32_e32 v11, s24, v11
	s_delay_alu instid0(VALU_DEP_1) | instskip(NEXT) | instid1(VALU_DEP_1)
	v_ashrrev_i32_e32 v12, 31, v11
	v_lshlrev_b64 v[11:12], 3, v[11:12]
	s_delay_alu instid0(VALU_DEP_1) | instskip(NEXT) | instid1(VALU_DEP_2)
	v_add_co_u32 v11, vcc_lo, s22, v11
	v_add_co_ci_u32_e32 v12, vcc_lo, s23, v12, vcc_lo
	global_load_b128 v[13:16], v[11:12], off
	s_waitcnt vmcnt(0)
	v_sub_co_u32 v11, vcc_lo, v15, s15
	v_subrev_co_ci_u32_e32 v12, vcc_lo, 0, v16, vcc_lo
	v_add_co_u32 v13, vcc_lo, v13, v28
	v_add_co_ci_u32_e32 v14, vcc_lo, v14, v29, vcc_lo
	s_delay_alu instid0(VALU_DEP_1)
	v_cmpx_lt_i64_e64 v[13:14], v[11:12]
	s_cbranch_execz .LBB246_11
; %bb.13:                               ;   in Loop: Header=BB246_12 Depth=1
	v_lshlrev_b64 v[15:16], 4, v[9:10]
	s_mov_b32 s17, 0
	s_delay_alu instid0(VALU_DEP_1) | instskip(NEXT) | instid1(VALU_DEP_2)
	v_add_co_u32 v15, vcc_lo, s20, v15
	v_add_co_ci_u32_e32 v16, vcc_lo, s21, v16, vcc_lo
	global_load_b128 v[17:20], v[15:16], off
	s_waitcnt vmcnt(0)
	v_mul_f64 v[15:16], v[19:20], -v[7:8]
	v_mul_f64 v[19:20], v[5:6], v[19:20]
	s_delay_alu instid0(VALU_DEP_2) | instskip(NEXT) | instid1(VALU_DEP_2)
	v_fma_f64 v[15:16], v[5:6], v[17:18], v[15:16]
	v_fma_f64 v[17:18], v[7:8], v[17:18], v[19:20]
	s_branch .LBB246_15
.LBB246_14:                             ;   in Loop: Header=BB246_15 Depth=2
	s_or_b32 exec_lo, exec_lo, s33
	v_add_co_u32 v13, vcc_lo, v13, 32
	v_add_co_ci_u32_e32 v14, vcc_lo, 0, v14, vcc_lo
	s_delay_alu instid0(VALU_DEP_1) | instskip(SKIP_1) | instid1(SALU_CYCLE_1)
	v_cmp_ge_i64_e32 vcc_lo, v[13:14], v[11:12]
	s_or_b32 s17, vcc_lo, s17
	s_and_not1_b32 exec_lo, exec_lo, s17
	s_cbranch_execz .LBB246_11
.LBB246_15:                             ;   Parent Loop BB246_12 Depth=1
                                        ; =>  This Loop Header: Depth=2
                                        ;       Child Loop BB246_17 Depth 3
                                        ;         Child Loop BB246_23 Depth 4
                                        ;         Child Loop BB246_25 Depth 4
	;; [unrolled: 1-line block ×4, first 2 shown]
	v_lshlrev_b64 v[19:20], 4, v[13:14]
	s_mov_b32 s33, 0
	s_delay_alu instid0(VALU_DEP_1) | instskip(NEXT) | instid1(VALU_DEP_2)
	v_add_co_u32 v19, vcc_lo, s38, v19
	v_add_co_ci_u32_e32 v20, vcc_lo, s39, v20, vcc_lo
	global_load_b128 v[21:24], v[19:20], off
	v_lshlrev_b64 v[19:20], 2, v[13:14]
	s_delay_alu instid0(VALU_DEP_1) | instskip(NEXT) | instid1(VALU_DEP_2)
	v_add_co_u32 v19, vcc_lo, s36, v19
	v_add_co_ci_u32_e32 v20, vcc_lo, s37, v20, vcc_lo
	global_load_b32 v30, v[19:20], off
	s_waitcnt vmcnt(1)
	v_mul_f64 v[19:20], v[23:24], -v[17:18]
	v_mul_f64 v[23:24], v[15:16], v[23:24]
	s_waitcnt vmcnt(0)
	v_subrev_nc_u32_e32 v30, s25, v30
	s_delay_alu instid0(VALU_DEP_3) | instskip(NEXT) | instid1(VALU_DEP_3)
	v_fma_f64 v[19:20], v[15:16], v[21:22], v[19:20]
	v_fma_f64 v[21:22], v[17:18], v[21:22], v[23:24]
	s_delay_alu instid0(VALU_DEP_3) | instskip(NEXT) | instid1(VALU_DEP_1)
	v_mul_lo_u32 v23, 0x89, v30
	v_and_b32_e32 v31, 0x3ff, v23
	s_branch .LBB246_17
.LBB246_16:                             ;   in Loop: Header=BB246_17 Depth=3
	s_or_b32 exec_lo, exec_lo, s34
	s_xor_b32 s34, s35, -1
	s_delay_alu instid0(SALU_CYCLE_1) | instskip(NEXT) | instid1(SALU_CYCLE_1)
	s_and_b32 s34, exec_lo, s34
	s_or_b32 s33, s34, s33
	s_delay_alu instid0(SALU_CYCLE_1)
	s_and_not1_b32 exec_lo, exec_lo, s33
	s_cbranch_execz .LBB246_14
.LBB246_17:                             ;   Parent Loop BB246_12 Depth=1
                                        ;     Parent Loop BB246_15 Depth=2
                                        ; =>    This Loop Header: Depth=3
                                        ;         Child Loop BB246_23 Depth 4
                                        ;         Child Loop BB246_25 Depth 4
	;; [unrolled: 1-line block ×4, first 2 shown]
	s_delay_alu instid0(VALU_DEP_1)
	v_lshl_add_u32 v23, v31, 2, 0
	s_mov_b32 s34, exec_lo
                                        ; implicit-def: $sgpr35
	ds_load_b32 v24, v23
	s_waitcnt lgkmcnt(0)
	v_cmpx_ne_u32_e64 v24, v30
	s_xor_b32 s34, exec_lo, s34
	s_cbranch_execz .LBB246_29
; %bb.18:                               ;   in Loop: Header=BB246_17 Depth=3
	s_mov_b32 s40, exec_lo
                                        ; implicit-def: $sgpr35
	v_cmpx_ne_u32_e64 s14, v24
	s_xor_b32 s40, exec_lo, s40
; %bb.19:                               ;   in Loop: Header=BB246_17 Depth=3
	v_add_nc_u32_e32 v23, 1, v31
	s_mov_b32 s35, -1
	s_delay_alu instid0(VALU_DEP_1)
	v_and_b32_e32 v31, 0x3ff, v23
                                        ; implicit-def: $vgpr23
; %bb.20:                               ;   in Loop: Header=BB246_17 Depth=3
	s_and_not1_saveexec_b32 s40, s40
	s_cbranch_execz .LBB246_28
; %bb.21:                               ;   in Loop: Header=BB246_17 Depth=3
	v_mov_b32_e32 v24, s14
	s_mov_b32 s42, -1
	s_mov_b32 s41, exec_lo
	ds_cmpstore_rtn_b32 v24, v23, v30, v24
	s_waitcnt lgkmcnt(0)
	v_cmpx_eq_u32_e64 s14, v24
	s_cbranch_execz .LBB246_27
; %bb.22:                               ;   in Loop: Header=BB246_17 Depth=3
	v_mul_lo_u32 v24, v31, 12
	s_mov_b32 s42, 0
	s_delay_alu instid0(VALU_DEP_1)
	v_add_nc_u32_e32 v32, v23, v24
	ds_load_b64 v[23:24], v32 offset:4096
.LBB246_23:                             ;   Parent Loop BB246_12 Depth=1
                                        ;     Parent Loop BB246_15 Depth=2
                                        ;       Parent Loop BB246_17 Depth=3
                                        ; =>      This Inner Loop Header: Depth=4
	s_waitcnt lgkmcnt(0)
	v_add_f64 v[33:34], v[23:24], v[19:20]
	ds_cmpstore_rtn_b64 v[33:34], v32, v[33:34], v[23:24] offset:4096
	s_waitcnt lgkmcnt(0)
	v_cmp_eq_u64_e32 vcc_lo, v[33:34], v[23:24]
	v_dual_mov_b32 v23, v33 :: v_dual_mov_b32 v24, v34
	s_or_b32 s42, vcc_lo, s42
	s_delay_alu instid0(SALU_CYCLE_1)
	s_and_not1_b32 exec_lo, exec_lo, s42
	s_cbranch_execnz .LBB246_23
; %bb.24:                               ;   in Loop: Header=BB246_17 Depth=3
	s_or_b32 exec_lo, exec_lo, s42
	ds_load_b64 v[23:24], v32 offset:4104
	s_mov_b32 s42, 0
.LBB246_25:                             ;   Parent Loop BB246_12 Depth=1
                                        ;     Parent Loop BB246_15 Depth=2
                                        ;       Parent Loop BB246_17 Depth=3
                                        ; =>      This Inner Loop Header: Depth=4
	s_waitcnt lgkmcnt(0)
	v_add_f64 v[33:34], v[23:24], v[21:22]
	ds_cmpstore_rtn_b64 v[33:34], v32, v[33:34], v[23:24] offset:4104
	s_waitcnt lgkmcnt(0)
	v_cmp_eq_u64_e32 vcc_lo, v[33:34], v[23:24]
	v_dual_mov_b32 v23, v33 :: v_dual_mov_b32 v24, v34
	s_or_b32 s42, vcc_lo, s42
	s_delay_alu instid0(SALU_CYCLE_1)
	s_and_not1_b32 exec_lo, exec_lo, s42
	s_cbranch_execnz .LBB246_25
; %bb.26:                               ;   in Loop: Header=BB246_17 Depth=3
	s_or_b32 exec_lo, exec_lo, s42
	s_delay_alu instid0(SALU_CYCLE_1)
	s_xor_b32 s42, exec_lo, -1
.LBB246_27:                             ;   in Loop: Header=BB246_17 Depth=3
	s_or_b32 exec_lo, exec_lo, s41
	s_delay_alu instid0(SALU_CYCLE_1) | instskip(SKIP_1) | instid1(SALU_CYCLE_1)
	s_and_not1_b32 s35, s35, exec_lo
	s_and_b32 s41, s42, exec_lo
	s_or_b32 s35, s35, s41
.LBB246_28:                             ;   in Loop: Header=BB246_17 Depth=3
	s_or_b32 exec_lo, exec_lo, s40
	s_delay_alu instid0(SALU_CYCLE_1)
	s_and_b32 s35, s35, exec_lo
                                        ; implicit-def: $vgpr23
.LBB246_29:                             ;   in Loop: Header=BB246_17 Depth=3
	s_and_not1_saveexec_b32 s34, s34
	s_cbranch_execz .LBB246_16
; %bb.30:                               ;   in Loop: Header=BB246_17 Depth=3
	v_mul_lo_u32 v24, v31, 12
	s_mov_b32 s40, 0
	s_delay_alu instid0(VALU_DEP_1)
	v_add_nc_u32_e32 v32, v23, v24
	ds_load_b64 v[23:24], v32 offset:4096
.LBB246_31:                             ;   Parent Loop BB246_12 Depth=1
                                        ;     Parent Loop BB246_15 Depth=2
                                        ;       Parent Loop BB246_17 Depth=3
                                        ; =>      This Inner Loop Header: Depth=4
	s_waitcnt lgkmcnt(0)
	v_add_f64 v[33:34], v[23:24], v[19:20]
	ds_cmpstore_rtn_b64 v[33:34], v32, v[33:34], v[23:24] offset:4096
	s_waitcnt lgkmcnt(0)
	v_cmp_eq_u64_e32 vcc_lo, v[33:34], v[23:24]
	v_dual_mov_b32 v23, v33 :: v_dual_mov_b32 v24, v34
	s_or_b32 s40, vcc_lo, s40
	s_delay_alu instid0(SALU_CYCLE_1)
	s_and_not1_b32 exec_lo, exec_lo, s40
	s_cbranch_execnz .LBB246_31
; %bb.32:                               ;   in Loop: Header=BB246_17 Depth=3
	s_or_b32 exec_lo, exec_lo, s40
	ds_load_b64 v[23:24], v32 offset:4104
	s_mov_b32 s40, 0
.LBB246_33:                             ;   Parent Loop BB246_12 Depth=1
                                        ;     Parent Loop BB246_15 Depth=2
                                        ;       Parent Loop BB246_17 Depth=3
                                        ; =>      This Inner Loop Header: Depth=4
	s_waitcnt lgkmcnt(0)
	v_add_f64 v[33:34], v[23:24], v[21:22]
	ds_cmpstore_rtn_b64 v[33:34], v32, v[33:34], v[23:24] offset:4104
	s_waitcnt lgkmcnt(0)
	v_cmp_eq_u64_e32 vcc_lo, v[33:34], v[23:24]
	v_dual_mov_b32 v23, v33 :: v_dual_mov_b32 v24, v34
	s_or_b32 s40, vcc_lo, s40
	s_delay_alu instid0(SALU_CYCLE_1)
	s_and_not1_b32 exec_lo, exec_lo, s40
	s_cbranch_execnz .LBB246_33
; %bb.34:                               ;   in Loop: Header=BB246_17 Depth=3
	s_or_b32 exec_lo, exec_lo, s40
	s_delay_alu instid0(SALU_CYCLE_1)
	s_and_not1_b32 s35, s35, exec_lo
	s_branch .LBB246_16
.LBB246_35:
	s_or_b32 exec_lo, exec_lo, s2
.LBB246_36:
	s_delay_alu instid0(SALU_CYCLE_1)
	s_and_not1_b32 vcc_lo, exec_lo, s3
	s_cbranch_vccnz .LBB246_39
; %bb.37:
	s_waitcnt lgkmcnt(0)
	s_ashr_i32 s13, s12, 31
	s_delay_alu instid0(SALU_CYCLE_1) | instskip(NEXT) | instid1(SALU_CYCLE_1)
	s_lshl_b64 s[0:1], s[12:13], 3
	s_add_u32 s0, s4, s0
	s_addc_u32 s1, s5, s1
	v_sub_co_u32 v5, s4, v0, s27
	s_load_b128 s[0:3], s[0:1], 0x0
	v_sub_co_ci_u32_e64 v6, null, 0, 0, s4
	s_waitcnt lgkmcnt(0)
	s_delay_alu instid0(VALU_DEP_2) | instskip(NEXT) | instid1(VALU_DEP_2)
	v_add_co_u32 v5, vcc_lo, s0, v5
	v_add_co_ci_u32_e32 v6, vcc_lo, s1, v6, vcc_lo
	s_sub_u32 s0, s2, s27
	s_subb_u32 s1, s3, 0
	s_mov_b32 s3, 0
	s_mov_b32 s2, exec_lo
	v_cmpx_gt_i64_e64 s[0:1], v[5:6]
	s_cbranch_execnz .LBB246_60
.LBB246_38:
	s_or_b32 exec_lo, exec_lo, s2
.LBB246_39:
	v_mbcnt_lo_u32_b32 v1, -1, 0
	v_lshrrev_b32_e32 v2, 4, v0
	v_cmp_eq_u32_e32 vcc_lo, 0x1ff, v0
	v_cmp_lt_u32_e64 s0, 63, v0
	v_cmp_lt_u32_e64 s1, 0x7f, v0
	v_xor_b32_e32 v1, 63, v1
	v_dual_mov_b32 v4, 0 :: v_dual_and_b32 v3, 28, v2
	v_cmp_lt_u32_e64 s2, 0xbf, v0
	v_cmp_lt_u32_e64 s3, 0xff, v0
	s_delay_alu instid0(VALU_DEP_4) | instskip(NEXT) | instid1(VALU_DEP_4)
	v_lshrrev_b64 v[1:2], v1, -1
	v_dual_mov_b32 v3, 0 :: v_dual_add_nc_u32 v2, 0, v3
	v_cmp_lt_u32_e64 s4, 0x13f, v0
	v_cmp_lt_u32_e64 s5, 0x17f, v0
	;; [unrolled: 1-line block ×3, first 2 shown]
	s_mov_b32 s8, 0
	s_waitcnt lgkmcnt(0)
	s_barrier
	buffer_gl0_inv
	s_branch .LBB246_41
.LBB246_40:                             ;   in Loop: Header=BB246_41 Depth=1
	s_or_b32 exec_lo, exec_lo, s7
	s_waitcnt lgkmcnt(0)
	s_barrier
	buffer_gl0_inv
	ds_load_b32 v5, v3 offset:20508
	v_add_co_u32 v25, s7, 0x200, v25
	s_delay_alu instid0(VALU_DEP_1) | instskip(SKIP_3) | instid1(SALU_CYCLE_1)
	s_xor_b32 s7, s7, -1
	v_add_nc_u32_e32 v27, 0x2000, v27
	v_add_nc_u32_e32 v26, 0x800, v26
	s_and_b32 s7, exec_lo, s7
	s_or_b32 s8, s7, s8
	s_waitcnt lgkmcnt(0)
	v_add_nc_u32_e32 v4, v5, v4
	s_and_not1_b32 exec_lo, exec_lo, s8
	s_cbranch_execz .LBB246_80
.LBB246_41:                             ; =>This Inner Loop Header: Depth=1
	ds_load_b32 v5, v26
	ds_load_2addr_b64 v[6:9], v27 offset1:1
	s_waitcnt lgkmcnt(1)
	v_cmp_gt_i32_e64 s7, s14, v5
	s_waitcnt lgkmcnt(0)
	scratch_store_b128 off, v[6:9], off
	s_waitcnt_vscnt null, 0x0
	s_barrier
	buffer_gl0_inv
	s_bcnt1_i32_b32 s9, s7
	s_delay_alu instid0(SALU_CYCLE_1) | instskip(NEXT) | instid1(VALU_DEP_1)
	v_dual_mov_b32 v7, s9 :: v_dual_and_b32 v6, s7, v1
	v_bcnt_u32_b32 v6, v6, 0
	ds_store_b32 v2, v7 offset:20480
	s_waitcnt lgkmcnt(0)
	s_barrier
	buffer_gl0_inv
	s_and_saveexec_b32 s9, s0
	s_cbranch_execnz .LBB246_50
; %bb.42:                               ;   in Loop: Header=BB246_41 Depth=1
	s_or_b32 exec_lo, exec_lo, s9
	s_and_saveexec_b32 s9, s1
	s_cbranch_execnz .LBB246_51
.LBB246_43:                             ;   in Loop: Header=BB246_41 Depth=1
	s_or_b32 exec_lo, exec_lo, s9
	s_and_saveexec_b32 s9, s2
	s_cbranch_execnz .LBB246_52
.LBB246_44:                             ;   in Loop: Header=BB246_41 Depth=1
	s_or_b32 exec_lo, exec_lo, s9
	s_and_saveexec_b32 s9, s3
	s_cbranch_execnz .LBB246_53
.LBB246_45:                             ;   in Loop: Header=BB246_41 Depth=1
	s_or_b32 exec_lo, exec_lo, s9
	s_and_saveexec_b32 s9, s4
	s_cbranch_execnz .LBB246_54
.LBB246_46:                             ;   in Loop: Header=BB246_41 Depth=1
	s_or_b32 exec_lo, exec_lo, s9
	s_and_saveexec_b32 s9, s5
	s_cbranch_execnz .LBB246_55
.LBB246_47:                             ;   in Loop: Header=BB246_41 Depth=1
	s_or_b32 exec_lo, exec_lo, s9
	s_and_saveexec_b32 s9, s6
	s_cbranch_execnz .LBB246_56
.LBB246_48:                             ;   in Loop: Header=BB246_41 Depth=1
	s_or_b32 exec_lo, exec_lo, s9
	s_and_saveexec_b32 s9, s7
	s_cbranch_execnz .LBB246_57
.LBB246_49:                             ;   in Loop: Header=BB246_41 Depth=1
	s_or_b32 exec_lo, exec_lo, s9
	s_and_saveexec_b32 s7, vcc_lo
	s_cbranch_execz .LBB246_40
	s_branch .LBB246_58
.LBB246_50:                             ;   in Loop: Header=BB246_41 Depth=1
	ds_load_b32 v7, v3 offset:20480
	s_waitcnt lgkmcnt(0)
	v_add_nc_u32_e32 v6, v7, v6
	s_or_b32 exec_lo, exec_lo, s9
	s_and_saveexec_b32 s9, s1
	s_cbranch_execz .LBB246_43
.LBB246_51:                             ;   in Loop: Header=BB246_41 Depth=1
	ds_load_b32 v7, v3 offset:20484
	s_waitcnt lgkmcnt(0)
	v_add_nc_u32_e32 v6, v7, v6
	s_or_b32 exec_lo, exec_lo, s9
	s_and_saveexec_b32 s9, s2
	s_cbranch_execz .LBB246_44
.LBB246_52:                             ;   in Loop: Header=BB246_41 Depth=1
	ds_load_b32 v7, v3 offset:20488
	s_waitcnt lgkmcnt(0)
	v_add_nc_u32_e32 v6, v7, v6
	s_or_b32 exec_lo, exec_lo, s9
	s_and_saveexec_b32 s9, s3
	s_cbranch_execz .LBB246_45
.LBB246_53:                             ;   in Loop: Header=BB246_41 Depth=1
	ds_load_b32 v7, v3 offset:20492
	s_waitcnt lgkmcnt(0)
	v_add_nc_u32_e32 v6, v7, v6
	s_or_b32 exec_lo, exec_lo, s9
	s_and_saveexec_b32 s9, s4
	s_cbranch_execz .LBB246_46
.LBB246_54:                             ;   in Loop: Header=BB246_41 Depth=1
	ds_load_b32 v7, v3 offset:20496
	s_waitcnt lgkmcnt(0)
	v_add_nc_u32_e32 v6, v7, v6
	s_or_b32 exec_lo, exec_lo, s9
	s_and_saveexec_b32 s9, s5
	s_cbranch_execz .LBB246_47
.LBB246_55:                             ;   in Loop: Header=BB246_41 Depth=1
	ds_load_b32 v7, v3 offset:20500
	s_waitcnt lgkmcnt(0)
	v_add_nc_u32_e32 v6, v7, v6
	s_or_b32 exec_lo, exec_lo, s9
	s_and_saveexec_b32 s9, s6
	s_cbranch_execz .LBB246_48
.LBB246_56:                             ;   in Loop: Header=BB246_41 Depth=1
	ds_load_b32 v7, v3 offset:20504
	s_waitcnt lgkmcnt(0)
	v_add_nc_u32_e32 v6, v7, v6
	s_or_b32 exec_lo, exec_lo, s9
	s_and_saveexec_b32 s9, s7
	s_cbranch_execz .LBB246_49
.LBB246_57:                             ;   in Loop: Header=BB246_41 Depth=1
	scratch_load_b128 v[7:10], off, off
	v_add3_u32 v11, v4, -1, v6
	s_delay_alu instid0(VALU_DEP_1) | instskip(SKIP_1) | instid1(VALU_DEP_2)
	v_lshlrev_b32_e32 v12, 4, v11
	v_lshl_add_u32 v11, v11, 2, 0
	v_add3_u32 v12, 0, v12, 0x1000
	ds_store_b32 v11, v5
	s_waitcnt vmcnt(0)
	ds_store_2addr_b64 v12, v[7:8], v[9:10] offset1:1
	s_or_b32 exec_lo, exec_lo, s9
	s_and_saveexec_b32 s7, vcc_lo
	s_cbranch_execz .LBB246_40
.LBB246_58:                             ;   in Loop: Header=BB246_41 Depth=1
	ds_store_b32 v3, v6 offset:20508
	s_branch .LBB246_40
.LBB246_59:                             ;   in Loop: Header=BB246_60 Depth=1
	s_or_b32 exec_lo, exec_lo, s4
	v_add_co_u32 v5, vcc_lo, 0x200, v5
	v_add_co_ci_u32_e32 v6, vcc_lo, 0, v6, vcc_lo
	s_delay_alu instid0(VALU_DEP_1) | instskip(SKIP_1) | instid1(SALU_CYCLE_1)
	v_cmp_le_i64_e32 vcc_lo, s[0:1], v[5:6]
	s_or_b32 s3, vcc_lo, s3
	s_and_not1_b32 exec_lo, exec_lo, s3
	s_cbranch_execz .LBB246_38
.LBB246_60:                             ; =>This Loop Header: Depth=1
                                        ;     Child Loop BB246_62 Depth 2
                                        ;       Child Loop BB246_68 Depth 3
                                        ;       Child Loop BB246_70 Depth 3
                                        ;       Child Loop BB246_76 Depth 3
                                        ;       Child Loop BB246_78 Depth 3
	v_lshlrev_b64 v[7:8], 4, v[5:6]
	s_mov_b32 s4, 0
	s_delay_alu instid0(VALU_DEP_1) | instskip(NEXT) | instid1(VALU_DEP_2)
	v_add_co_u32 v7, vcc_lo, s8, v7
	v_add_co_ci_u32_e32 v8, vcc_lo, s9, v8, vcc_lo
	global_load_b128 v[9:12], v[7:8], off
	v_lshlrev_b64 v[7:8], 2, v[5:6]
	s_delay_alu instid0(VALU_DEP_1) | instskip(NEXT) | instid1(VALU_DEP_2)
	v_add_co_u32 v7, vcc_lo, s6, v7
	v_add_co_ci_u32_e32 v8, vcc_lo, s7, v8, vcc_lo
	global_load_b32 v13, v[7:8], off
	s_waitcnt vmcnt(1)
	v_mul_f64 v[7:8], v[11:12], -v[1:2]
	v_mul_f64 v[11:12], v[3:4], v[11:12]
	s_waitcnt vmcnt(0)
	v_subrev_nc_u32_e32 v13, s27, v13
	s_delay_alu instid0(VALU_DEP_3) | instskip(NEXT) | instid1(VALU_DEP_3)
	v_fma_f64 v[7:8], v[3:4], v[9:10], v[7:8]
	v_fma_f64 v[9:10], v[1:2], v[9:10], v[11:12]
	s_delay_alu instid0(VALU_DEP_3) | instskip(NEXT) | instid1(VALU_DEP_1)
	v_mul_lo_u32 v11, 0x89, v13
	v_and_b32_e32 v14, 0x3ff, v11
	s_branch .LBB246_62
.LBB246_61:                             ;   in Loop: Header=BB246_62 Depth=2
	s_or_b32 exec_lo, exec_lo, s5
	s_xor_b32 s5, s13, -1
	s_delay_alu instid0(SALU_CYCLE_1) | instskip(NEXT) | instid1(SALU_CYCLE_1)
	s_and_b32 s5, exec_lo, s5
	s_or_b32 s4, s5, s4
	s_delay_alu instid0(SALU_CYCLE_1)
	s_and_not1_b32 exec_lo, exec_lo, s4
	s_cbranch_execz .LBB246_59
.LBB246_62:                             ;   Parent Loop BB246_60 Depth=1
                                        ; =>  This Loop Header: Depth=2
                                        ;       Child Loop BB246_68 Depth 3
                                        ;       Child Loop BB246_70 Depth 3
	;; [unrolled: 1-line block ×4, first 2 shown]
	s_delay_alu instid0(VALU_DEP_1)
	v_lshl_add_u32 v11, v14, 2, 0
	s_mov_b32 s5, exec_lo
                                        ; implicit-def: $sgpr13
	ds_load_b32 v12, v11
	s_waitcnt lgkmcnt(0)
	v_cmpx_ne_u32_e64 v12, v13
	s_xor_b32 s5, exec_lo, s5
	s_cbranch_execz .LBB246_74
; %bb.63:                               ;   in Loop: Header=BB246_62 Depth=2
	s_mov_b32 s15, exec_lo
                                        ; implicit-def: $sgpr13
	v_cmpx_ne_u32_e64 s14, v12
	s_xor_b32 s15, exec_lo, s15
; %bb.64:                               ;   in Loop: Header=BB246_62 Depth=2
	v_add_nc_u32_e32 v11, 1, v14
	s_mov_b32 s13, -1
	s_delay_alu instid0(VALU_DEP_1)
	v_and_b32_e32 v14, 0x3ff, v11
                                        ; implicit-def: $vgpr11
; %bb.65:                               ;   in Loop: Header=BB246_62 Depth=2
	s_and_not1_saveexec_b32 s15, s15
	s_cbranch_execz .LBB246_73
; %bb.66:                               ;   in Loop: Header=BB246_62 Depth=2
	v_mov_b32_e32 v12, s14
	s_mov_b32 s17, -1
	s_mov_b32 s16, exec_lo
	ds_cmpstore_rtn_b32 v12, v11, v13, v12
	s_waitcnt lgkmcnt(0)
	v_cmpx_eq_u32_e64 s14, v12
	s_cbranch_execz .LBB246_72
; %bb.67:                               ;   in Loop: Header=BB246_62 Depth=2
	v_mul_lo_u32 v12, v14, 12
	s_mov_b32 s17, 0
	s_delay_alu instid0(VALU_DEP_1)
	v_add_nc_u32_e32 v15, v11, v12
	ds_load_b64 v[11:12], v15 offset:4096
.LBB246_68:                             ;   Parent Loop BB246_60 Depth=1
                                        ;     Parent Loop BB246_62 Depth=2
                                        ; =>    This Inner Loop Header: Depth=3
	s_waitcnt lgkmcnt(0)
	v_add_f64 v[16:17], v[11:12], v[7:8]
	ds_cmpstore_rtn_b64 v[16:17], v15, v[16:17], v[11:12] offset:4096
	s_waitcnt lgkmcnt(0)
	v_cmp_eq_u64_e32 vcc_lo, v[16:17], v[11:12]
	v_dual_mov_b32 v11, v16 :: v_dual_mov_b32 v12, v17
	s_or_b32 s17, vcc_lo, s17
	s_delay_alu instid0(SALU_CYCLE_1)
	s_and_not1_b32 exec_lo, exec_lo, s17
	s_cbranch_execnz .LBB246_68
; %bb.69:                               ;   in Loop: Header=BB246_62 Depth=2
	s_or_b32 exec_lo, exec_lo, s17
	ds_load_b64 v[11:12], v15 offset:4104
	s_mov_b32 s17, 0
.LBB246_70:                             ;   Parent Loop BB246_60 Depth=1
                                        ;     Parent Loop BB246_62 Depth=2
                                        ; =>    This Inner Loop Header: Depth=3
	s_waitcnt lgkmcnt(0)
	v_add_f64 v[16:17], v[11:12], v[9:10]
	ds_cmpstore_rtn_b64 v[16:17], v15, v[16:17], v[11:12] offset:4104
	s_waitcnt lgkmcnt(0)
	v_cmp_eq_u64_e32 vcc_lo, v[16:17], v[11:12]
	v_dual_mov_b32 v11, v16 :: v_dual_mov_b32 v12, v17
	s_or_b32 s17, vcc_lo, s17
	s_delay_alu instid0(SALU_CYCLE_1)
	s_and_not1_b32 exec_lo, exec_lo, s17
	s_cbranch_execnz .LBB246_70
; %bb.71:                               ;   in Loop: Header=BB246_62 Depth=2
	s_or_b32 exec_lo, exec_lo, s17
	s_delay_alu instid0(SALU_CYCLE_1)
	s_xor_b32 s17, exec_lo, -1
.LBB246_72:                             ;   in Loop: Header=BB246_62 Depth=2
	s_or_b32 exec_lo, exec_lo, s16
	s_delay_alu instid0(SALU_CYCLE_1) | instskip(SKIP_1) | instid1(SALU_CYCLE_1)
	s_and_not1_b32 s13, s13, exec_lo
	s_and_b32 s16, s17, exec_lo
	s_or_b32 s13, s13, s16
.LBB246_73:                             ;   in Loop: Header=BB246_62 Depth=2
	s_or_b32 exec_lo, exec_lo, s15
	s_delay_alu instid0(SALU_CYCLE_1)
	s_and_b32 s13, s13, exec_lo
                                        ; implicit-def: $vgpr11
.LBB246_74:                             ;   in Loop: Header=BB246_62 Depth=2
	s_and_not1_saveexec_b32 s5, s5
	s_cbranch_execz .LBB246_61
; %bb.75:                               ;   in Loop: Header=BB246_62 Depth=2
	v_mul_lo_u32 v12, v14, 12
	s_mov_b32 s15, 0
	s_delay_alu instid0(VALU_DEP_1)
	v_add_nc_u32_e32 v15, v11, v12
	ds_load_b64 v[11:12], v15 offset:4096
.LBB246_76:                             ;   Parent Loop BB246_60 Depth=1
                                        ;     Parent Loop BB246_62 Depth=2
                                        ; =>    This Inner Loop Header: Depth=3
	s_waitcnt lgkmcnt(0)
	v_add_f64 v[16:17], v[11:12], v[7:8]
	ds_cmpstore_rtn_b64 v[16:17], v15, v[16:17], v[11:12] offset:4096
	s_waitcnt lgkmcnt(0)
	v_cmp_eq_u64_e32 vcc_lo, v[16:17], v[11:12]
	v_dual_mov_b32 v11, v16 :: v_dual_mov_b32 v12, v17
	s_or_b32 s15, vcc_lo, s15
	s_delay_alu instid0(SALU_CYCLE_1)
	s_and_not1_b32 exec_lo, exec_lo, s15
	s_cbranch_execnz .LBB246_76
; %bb.77:                               ;   in Loop: Header=BB246_62 Depth=2
	s_or_b32 exec_lo, exec_lo, s15
	ds_load_b64 v[11:12], v15 offset:4104
	s_mov_b32 s15, 0
.LBB246_78:                             ;   Parent Loop BB246_60 Depth=1
                                        ;     Parent Loop BB246_62 Depth=2
                                        ; =>    This Inner Loop Header: Depth=3
	s_waitcnt lgkmcnt(0)
	v_add_f64 v[16:17], v[11:12], v[9:10]
	ds_cmpstore_rtn_b64 v[16:17], v15, v[16:17], v[11:12] offset:4104
	s_waitcnt lgkmcnt(0)
	v_cmp_eq_u64_e32 vcc_lo, v[16:17], v[11:12]
	v_dual_mov_b32 v11, v16 :: v_dual_mov_b32 v12, v17
	s_or_b32 s15, vcc_lo, s15
	s_delay_alu instid0(SALU_CYCLE_1)
	s_and_not1_b32 exec_lo, exec_lo, s15
	s_cbranch_execnz .LBB246_78
; %bb.79:                               ;   in Loop: Header=BB246_62 Depth=2
	s_or_b32 exec_lo, exec_lo, s15
	s_delay_alu instid0(SALU_CYCLE_1)
	s_and_not1_b32 s13, s13, exec_lo
	s_branch .LBB246_61
.LBB246_80:
	s_or_b32 exec_lo, exec_lo, s8
	s_ashr_i32 s13, s12, 31
	s_mov_b32 s4, exec_lo
	s_lshl_b64 s[0:1], s[12:13], 3
	s_delay_alu instid0(SALU_CYCLE_1) | instskip(SKIP_4) | instid1(SALU_CYCLE_1)
	s_add_u32 s0, s10, s0
	s_addc_u32 s1, s11, s1
	s_load_b128 s[0:3], s[0:1], 0x0
	s_waitcnt lgkmcnt(0)
	s_sub_i32 s3, s2, s0
	v_cmpx_gt_i32_e64 s3, v0
	s_cbranch_execz .LBB246_90
; %bb.81:
	s_sub_u32 s4, s0, s26
	s_subb_u32 s5, s1, 0
	s_sub_i32 s0, s0, s2
	s_and_b32 s1, s3, 7
	s_cmp_lt_u32 s0, -7
	s_mov_b32 s8, 0
	s_cselect_b32 s2, -1, 0
	s_and_b32 s6, s3, -8
	s_cmp_lg_u32 s1, 0
	s_cselect_b32 s7, -1, 0
	s_branch .LBB246_83
.LBB246_82:                             ;   in Loop: Header=BB246_83 Depth=1
	v_mul_lo_u32 v5, v0, 12
	s_delay_alu instid0(VALU_DEP_2) | instskip(SKIP_4) | instid1(VALU_DEP_4)
	v_lshlrev_b64 v[8:9], 2, v[1:2]
	v_lshlrev_b64 v[1:2], 4, v[1:2]
	v_add_nc_u32_e32 v0, 0x200, v0
	s_waitcnt lgkmcnt(0)
	v_add_nc_u32_e32 v3, s26, v3
	v_add_co_u32 v8, vcc_lo, s28, v8
	v_add3_u32 v4, v4, v5, 0x1000
	v_add_co_ci_u32_e32 v9, vcc_lo, s29, v9, vcc_lo
	v_cmp_le_i32_e32 vcc_lo, s3, v0
	v_add_co_u32 v1, s0, s30, v1
	ds_load_2addr_b64 v[4:7], v4 offset1:1
	v_add_co_ci_u32_e64 v2, s0, s31, v2, s0
	s_or_b32 s8, vcc_lo, s8
	global_store_b32 v[8:9], v3, off
	s_waitcnt lgkmcnt(0)
	global_store_b128 v[1:2], v[4:7], off
	s_and_not1_b32 exec_lo, exec_lo, s8
	s_cbranch_execz .LBB246_90
.LBB246_83:                             ; =>This Loop Header: Depth=1
                                        ;     Child Loop BB246_85 Depth 2
                                        ;     Child Loop BB246_89 Depth 2
	v_lshl_add_u32 v4, v0, 2, 0
	v_dual_mov_b32 v1, s4 :: v_dual_mov_b32 v2, s5
	s_and_not1_b32 vcc_lo, exec_lo, s2
	s_mov_b32 s0, 0
	ds_load_b32 v3, v4
	s_cbranch_vccnz .LBB246_87
; %bb.84:                               ;   in Loop: Header=BB246_83 Depth=1
	v_dual_mov_b32 v1, s4 :: v_dual_mov_b32 v2, s5
	s_mov_b32 s9, 0
	s_mov_b32 s10, 0
.LBB246_85:                             ;   Parent Loop BB246_83 Depth=1
                                        ; =>  This Inner Loop Header: Depth=2
	s_delay_alu instid0(SALU_CYCLE_1)
	v_mov_b32_e32 v11, s10
	s_add_i32 s9, s9, 8
	s_add_i32 s10, s10, 32
	s_cmp_eq_u32 s6, s9
	ds_load_2addr_b32 v[5:6], v11 offset1:1
	ds_load_2addr_b32 v[7:8], v11 offset0:2 offset1:3
	ds_load_2addr_b32 v[9:10], v11 offset0:4 offset1:5
	;; [unrolled: 1-line block ×3, first 2 shown]
	s_waitcnt lgkmcnt(3)
	v_cmp_gt_i32_e32 vcc_lo, v3, v5
	v_cndmask_b32_e64 v5, 0, 1, vcc_lo
	v_cmp_gt_i32_e32 vcc_lo, v3, v6
	v_cndmask_b32_e64 v6, 0, 1, vcc_lo
	s_waitcnt lgkmcnt(2)
	v_cmp_gt_i32_e32 vcc_lo, v3, v7
	v_cndmask_b32_e64 v7, 0, 1, vcc_lo
	v_cmp_gt_i32_e32 vcc_lo, v3, v8
	v_cndmask_b32_e64 v8, 0, 1, vcc_lo
	s_waitcnt lgkmcnt(1)
	v_cmp_gt_i32_e32 vcc_lo, v3, v9
	v_cndmask_b32_e64 v9, 0, 1, vcc_lo
	v_add_co_u32 v1, vcc_lo, v1, v5
	v_add_co_ci_u32_e32 v2, vcc_lo, 0, v2, vcc_lo
	v_cmp_gt_i32_e32 vcc_lo, v3, v10
	s_delay_alu instid0(VALU_DEP_3) | instskip(NEXT) | instid1(VALU_DEP_1)
	v_add_co_u32 v1, s0, v1, v6
	v_add_co_ci_u32_e64 v2, s0, 0, v2, s0
	v_cndmask_b32_e64 v5, 0, 1, vcc_lo
	s_delay_alu instid0(VALU_DEP_3) | instskip(NEXT) | instid1(VALU_DEP_3)
	v_add_co_u32 v1, vcc_lo, v1, v7
	v_add_co_ci_u32_e32 v2, vcc_lo, 0, v2, vcc_lo
	s_waitcnt lgkmcnt(0)
	v_cmp_gt_i32_e32 vcc_lo, v3, v11
	s_delay_alu instid0(VALU_DEP_3) | instskip(NEXT) | instid1(VALU_DEP_1)
	v_add_co_u32 v1, s0, v1, v8
	v_add_co_ci_u32_e64 v2, s0, 0, v2, s0
	v_cndmask_b32_e64 v6, 0, 1, vcc_lo
	s_delay_alu instid0(VALU_DEP_3) | instskip(NEXT) | instid1(VALU_DEP_3)
	v_add_co_u32 v1, vcc_lo, v1, v9
	v_add_co_ci_u32_e32 v2, vcc_lo, 0, v2, vcc_lo
	v_cmp_gt_i32_e32 vcc_lo, v3, v12
	s_delay_alu instid0(VALU_DEP_3) | instskip(NEXT) | instid1(VALU_DEP_1)
	v_add_co_u32 v1, s0, v1, v5
	v_add_co_ci_u32_e64 v2, s0, 0, v2, s0
	v_cndmask_b32_e64 v5, 0, 1, vcc_lo
	s_delay_alu instid0(VALU_DEP_3) | instskip(NEXT) | instid1(VALU_DEP_3)
	v_add_co_u32 v1, vcc_lo, v1, v6
	v_add_co_ci_u32_e32 v2, vcc_lo, 0, v2, vcc_lo
	s_delay_alu instid0(VALU_DEP_2) | instskip(NEXT) | instid1(VALU_DEP_2)
	v_add_co_u32 v1, vcc_lo, v1, v5
	v_add_co_ci_u32_e32 v2, vcc_lo, 0, v2, vcc_lo
	s_cbranch_scc0 .LBB246_85
; %bb.86:                               ;   in Loop: Header=BB246_83 Depth=1
	s_mov_b32 s0, s6
.LBB246_87:                             ;   in Loop: Header=BB246_83 Depth=1
	s_and_not1_b32 vcc_lo, exec_lo, s7
	s_cbranch_vccnz .LBB246_82
; %bb.88:                               ;   in Loop: Header=BB246_83 Depth=1
	s_lshl_b32 s0, s0, 2
	s_mov_b32 s9, s1
	s_add_i32 s0, s0, 0
.LBB246_89:                             ;   Parent Loop BB246_83 Depth=1
                                        ; =>  This Inner Loop Header: Depth=2
	s_delay_alu instid0(SALU_CYCLE_1)
	v_mov_b32_e32 v5, s0
	s_add_i32 s9, s9, -1
	s_add_i32 s0, s0, 4
	s_cmp_lg_u32 s9, 0
	ds_load_b32 v5, v5
	s_waitcnt lgkmcnt(0)
	v_cmp_gt_i32_e32 vcc_lo, v3, v5
	v_cndmask_b32_e64 v5, 0, 1, vcc_lo
	s_delay_alu instid0(VALU_DEP_1)
	v_add_co_u32 v1, vcc_lo, v1, v5
	v_add_co_ci_u32_e32 v2, vcc_lo, 0, v2, vcc_lo
	s_cbranch_scc1 .LBB246_89
	s_branch .LBB246_82
.LBB246_90:
	s_nop 0
	s_sendmsg sendmsg(MSG_DEALLOC_VGPRS)
	s_endpgm
	.section	.rodata,"a",@progbits
	.p2align	6, 0x0
	.amdhsa_kernel _ZN9rocsparseL26csrgemm_fill_block_per_rowILj512ELj32ELj1024ELj137ELj64Eli21rocsparse_complex_numIdEEEvT5_PKS3_S5_NS_24const_host_device_scalarIT6_EEPKT4_S5_PKS7_SB_S5_SD_S8_SB_S5_SD_SB_PS3_PS7_21rocsparse_index_base_SG_SG_SG_bbb
		.amdhsa_group_segment_fixed_size 0
		.amdhsa_private_segment_fixed_size 40
		.amdhsa_kernarg_size 172
		.amdhsa_user_sgpr_count 15
		.amdhsa_user_sgpr_dispatch_ptr 0
		.amdhsa_user_sgpr_queue_ptr 0
		.amdhsa_user_sgpr_kernarg_segment_ptr 1
		.amdhsa_user_sgpr_dispatch_id 0
		.amdhsa_user_sgpr_private_segment_size 0
		.amdhsa_wavefront_size32 1
		.amdhsa_uses_dynamic_stack 0
		.amdhsa_enable_private_segment 1
		.amdhsa_system_sgpr_workgroup_id_x 1
		.amdhsa_system_sgpr_workgroup_id_y 0
		.amdhsa_system_sgpr_workgroup_id_z 0
		.amdhsa_system_sgpr_workgroup_info 0
		.amdhsa_system_vgpr_workitem_id 0
		.amdhsa_next_free_vgpr 35
		.amdhsa_next_free_sgpr 48
		.amdhsa_reserve_vcc 1
		.amdhsa_float_round_mode_32 0
		.amdhsa_float_round_mode_16_64 0
		.amdhsa_float_denorm_mode_32 3
		.amdhsa_float_denorm_mode_16_64 3
		.amdhsa_dx10_clamp 1
		.amdhsa_ieee_mode 1
		.amdhsa_fp16_overflow 0
		.amdhsa_workgroup_processor_mode 1
		.amdhsa_memory_ordered 1
		.amdhsa_forward_progress 0
		.amdhsa_shared_vgpr_count 0
		.amdhsa_exception_fp_ieee_invalid_op 0
		.amdhsa_exception_fp_denorm_src 0
		.amdhsa_exception_fp_ieee_div_zero 0
		.amdhsa_exception_fp_ieee_overflow 0
		.amdhsa_exception_fp_ieee_underflow 0
		.amdhsa_exception_fp_ieee_inexact 0
		.amdhsa_exception_int_div_zero 0
	.end_amdhsa_kernel
	.section	.text._ZN9rocsparseL26csrgemm_fill_block_per_rowILj512ELj32ELj1024ELj137ELj64Eli21rocsparse_complex_numIdEEEvT5_PKS3_S5_NS_24const_host_device_scalarIT6_EEPKT4_S5_PKS7_SB_S5_SD_S8_SB_S5_SD_SB_PS3_PS7_21rocsparse_index_base_SG_SG_SG_bbb,"axG",@progbits,_ZN9rocsparseL26csrgemm_fill_block_per_rowILj512ELj32ELj1024ELj137ELj64Eli21rocsparse_complex_numIdEEEvT5_PKS3_S5_NS_24const_host_device_scalarIT6_EEPKT4_S5_PKS7_SB_S5_SD_S8_SB_S5_SD_SB_PS3_PS7_21rocsparse_index_base_SG_SG_SG_bbb,comdat
.Lfunc_end246:
	.size	_ZN9rocsparseL26csrgemm_fill_block_per_rowILj512ELj32ELj1024ELj137ELj64Eli21rocsparse_complex_numIdEEEvT5_PKS3_S5_NS_24const_host_device_scalarIT6_EEPKT4_S5_PKS7_SB_S5_SD_S8_SB_S5_SD_SB_PS3_PS7_21rocsparse_index_base_SG_SG_SG_bbb, .Lfunc_end246-_ZN9rocsparseL26csrgemm_fill_block_per_rowILj512ELj32ELj1024ELj137ELj64Eli21rocsparse_complex_numIdEEEvT5_PKS3_S5_NS_24const_host_device_scalarIT6_EEPKT4_S5_PKS7_SB_S5_SD_S8_SB_S5_SD_SB_PS3_PS7_21rocsparse_index_base_SG_SG_SG_bbb
                                        ; -- End function
	.section	.AMDGPU.csdata,"",@progbits
; Kernel info:
; codeLenInByte = 3940
; NumSgprs: 50
; NumVgprs: 35
; ScratchSize: 40
; MemoryBound: 0
; FloatMode: 240
; IeeeMode: 1
; LDSByteSize: 0 bytes/workgroup (compile time only)
; SGPRBlocks: 6
; VGPRBlocks: 4
; NumSGPRsForWavesPerEU: 50
; NumVGPRsForWavesPerEU: 35
; Occupancy: 16
; WaveLimiterHint : 1
; COMPUTE_PGM_RSRC2:SCRATCH_EN: 1
; COMPUTE_PGM_RSRC2:USER_SGPR: 15
; COMPUTE_PGM_RSRC2:TRAP_HANDLER: 0
; COMPUTE_PGM_RSRC2:TGID_X_EN: 1
; COMPUTE_PGM_RSRC2:TGID_Y_EN: 0
; COMPUTE_PGM_RSRC2:TGID_Z_EN: 0
; COMPUTE_PGM_RSRC2:TIDIG_COMP_CNT: 0
	.section	.text._ZN9rocsparseL26csrgemm_fill_block_per_rowILj1024ELj32ELj2048ELj137ELj32Eli21rocsparse_complex_numIdEEEvT5_PKS3_S5_NS_24const_host_device_scalarIT6_EEPKT4_S5_PKS7_SB_S5_SD_S8_SB_S5_SD_SB_PS3_PS7_21rocsparse_index_base_SG_SG_SG_bbb,"axG",@progbits,_ZN9rocsparseL26csrgemm_fill_block_per_rowILj1024ELj32ELj2048ELj137ELj32Eli21rocsparse_complex_numIdEEEvT5_PKS3_S5_NS_24const_host_device_scalarIT6_EEPKT4_S5_PKS7_SB_S5_SD_S8_SB_S5_SD_SB_PS3_PS7_21rocsparse_index_base_SG_SG_SG_bbb,comdat
	.globl	_ZN9rocsparseL26csrgemm_fill_block_per_rowILj1024ELj32ELj2048ELj137ELj32Eli21rocsparse_complex_numIdEEEvT5_PKS3_S5_NS_24const_host_device_scalarIT6_EEPKT4_S5_PKS7_SB_S5_SD_S8_SB_S5_SD_SB_PS3_PS7_21rocsparse_index_base_SG_SG_SG_bbb ; -- Begin function _ZN9rocsparseL26csrgemm_fill_block_per_rowILj1024ELj32ELj2048ELj137ELj32Eli21rocsparse_complex_numIdEEEvT5_PKS3_S5_NS_24const_host_device_scalarIT6_EEPKT4_S5_PKS7_SB_S5_SD_S8_SB_S5_SD_SB_PS3_PS7_21rocsparse_index_base_SG_SG_SG_bbb
	.p2align	8
	.type	_ZN9rocsparseL26csrgemm_fill_block_per_rowILj1024ELj32ELj2048ELj137ELj32Eli21rocsparse_complex_numIdEEEvT5_PKS3_S5_NS_24const_host_device_scalarIT6_EEPKT4_S5_PKS7_SB_S5_SD_S8_SB_S5_SD_SB_PS3_PS7_21rocsparse_index_base_SG_SG_SG_bbb,@function
_ZN9rocsparseL26csrgemm_fill_block_per_rowILj1024ELj32ELj2048ELj137ELj32Eli21rocsparse_complex_numIdEEEvT5_PKS3_S5_NS_24const_host_device_scalarIT6_EEPKT4_S5_PKS7_SB_S5_SD_S8_SB_S5_SD_SB_PS3_PS7_21rocsparse_index_base_SG_SG_SG_bbb: ; @_ZN9rocsparseL26csrgemm_fill_block_per_rowILj1024ELj32ELj2048ELj137ELj32Eli21rocsparse_complex_numIdEEEvT5_PKS3_S5_NS_24const_host_device_scalarIT6_EEPKT4_S5_PKS7_SB_S5_SD_S8_SB_S5_SD_SB_PS3_PS7_21rocsparse_index_base_SG_SG_SG_bbb
; %bb.0:
	s_clause 0x3
	s_load_b32 s14, s[0:1], 0xa8
	s_load_b128 s[4:7], s[0:1], 0x18
	s_load_b128 s[20:23], s[0:1], 0x58
	;; [unrolled: 1-line block ×3, first 2 shown]
	v_mov_b32_e32 v1, 0
	v_mov_b32_e32 v2, 0
	s_waitcnt lgkmcnt(0)
	s_bitcmp1_b32 s14, 0
	v_mov_b32_e32 v3, s4
	s_cselect_b32 s12, -1, 0
	s_bitcmp1_b32 s14, 16
	v_dual_mov_b32 v6, v2 :: v_dual_mov_b32 v5, v1
	s_cselect_b32 s2, -1, 0
	v_mov_b32_e32 v4, s5
	s_xor_b32 s13, s2, -1
	v_dual_mov_b32 v9, s20 :: v_dual_mov_b32 v10, s21
	v_cndmask_b32_e64 v7, 0, 1, s13
	s_bitcmp0_b32 s14, 0
	s_clause 0x1
	scratch_store_b64 off, v[3:4], off offset:16
	scratch_store_b64 off, v[9:10], off offset:24
	v_cmp_ne_u32_e32 vcc_lo, 1, v7
	v_dual_mov_b32 v8, v2 :: v_dual_mov_b32 v7, v1
	s_cbranch_scc1 .LBB247_3
; %bb.1:
	s_mov_b64 s[8:9], src_private_base
	s_and_b32 s3, s2, exec_lo
	s_cselect_b32 s3, s9, s5
	s_delay_alu instid0(SALU_CYCLE_1) | instskip(SKIP_2) | instid1(VALU_DEP_2)
	v_dual_mov_b32 v3, 16 :: v_dual_mov_b32 v4, s3
	v_dual_mov_b32 v8, s7 :: v_dual_mov_b32 v7, s6
	s_and_b32 vcc_lo, exec_lo, vcc_lo
	v_cndmask_b32_e64 v3, s4, v3, s2
	flat_load_b64 v[5:6], v[3:4]
	s_cbranch_vccnz .LBB247_3
; %bb.2:
	v_dual_mov_b32 v3, s4 :: v_dual_mov_b32 v4, s5
	flat_load_b64 v[7:8], v[3:4] offset:8
.LBB247_3:
	s_clause 0x4
	s_load_b128 s[48:51], s[0:1], 0x88
	s_load_b256 s[36:43], s[0:1], 0x68
	s_load_b128 s[16:19], s[0:1], 0x48
	s_load_b128 s[24:27], s[0:1], 0x8
	s_load_b256 s[4:11], s[0:1], 0x28
	s_bitcmp1_b32 s14, 8
	v_dual_mov_b32 v4, v2 :: v_dual_mov_b32 v3, v1
	s_cselect_b32 s3, -1, 0
	s_bfe_u32 s14, s14, 0x10008
	s_delay_alu instid0(SALU_CYCLE_1)
	s_cmp_eq_u32 s14, 0
	s_cbranch_scc1 .LBB247_6
; %bb.4:
	s_mov_b64 s[28:29], src_private_base
	s_and_b32 s14, s2, exec_lo
	s_cselect_b32 s14, s29, s21
	s_delay_alu instid0(SALU_CYCLE_1) | instskip(SKIP_1) | instid1(VALU_DEP_1)
	v_dual_mov_b32 v1, 24 :: v_dual_mov_b32 v2, s14
	s_and_not1_b32 vcc_lo, exec_lo, s13
	v_cndmask_b32_e64 v1, s20, v1, s2
	flat_load_b64 v[3:4], v[1:2]
	v_dual_mov_b32 v1, s22 :: v_dual_mov_b32 v2, s23
	s_cbranch_vccnz .LBB247_6
; %bb.5:
	v_dual_mov_b32 v1, s20 :: v_dual_mov_b32 v2, s21
	flat_load_b64 v[1:2], v[1:2] offset:8
.LBB247_6:
	s_load_b32 s33, s[0:1], 0x0
	s_mov_b32 s0, 0
	v_or_b32_e32 v25, 0xfffffc00, v0
	s_mov_b32 s1, s0
	s_delay_alu instid0(SALU_CYCLE_1) | instskip(SKIP_3) | instid1(VALU_DEP_2)
	v_dual_mov_b32 v10, s1 :: v_dual_lshlrev_b32 v11, 4, v0
	v_lshl_add_u32 v26, v0, 2, 0
	s_mov_b32 s20, s0
	s_mov_b32 s21, s0
	v_add3_u32 v27, v11, 0, 0x2000
	v_dual_mov_b32 v11, s20 :: v_dual_mov_b32 v14, v25
	v_dual_mov_b32 v9, s0 :: v_dual_mov_b32 v12, s21
	s_delay_alu instid0(VALU_DEP_3)
	v_dual_mov_b32 v13, v26 :: v_dual_mov_b32 v16, v27
	s_waitcnt lgkmcnt(0)
	v_mov_b32_e32 v15, s33
.LBB247_7:                              ; =>This Inner Loop Header: Depth=1
	v_add_co_u32 v14, s1, 0x400, v14
	s_delay_alu instid0(VALU_DEP_1)
	s_xor_b32 s1, s1, -1
	ds_store_b32 v13, v15
	ds_store_2addr_b64 v16, v[9:10], v[11:12] offset1:1
	v_add_nc_u32_e32 v16, 0x4000, v16
	v_add_nc_u32_e32 v13, 0x1000, v13
	s_and_b32 s1, exec_lo, s1
	s_delay_alu instid0(SALU_CYCLE_1) | instskip(NEXT) | instid1(SALU_CYCLE_1)
	s_or_b32 s0, s1, s0
	s_and_not1_b32 exec_lo, exec_lo, s0
	s_cbranch_execnz .LBB247_7
; %bb.8:
	s_or_b32 exec_lo, exec_lo, s0
	s_waitcnt vmcnt(0) lgkmcnt(0)
	s_waitcnt_vscnt null, 0x0
	s_barrier
	buffer_gl0_inv
	s_load_b32 s0, s[24:25], 0x0
	s_mov_b32 s1, 0
	v_lshrrev_b32_e32 v28, 5, v0
	s_waitcnt lgkmcnt(0)
	s_add_i32 s0, s0, s15
	s_delay_alu instid0(SALU_CYCLE_1) | instskip(NEXT) | instid1(SALU_CYCLE_1)
	s_lshl_b64 s[0:1], s[0:1], 2
	s_add_u32 s0, s26, s0
	s_addc_u32 s1, s27, s1
	s_and_b32 vcc_lo, exec_lo, s12
	s_load_b32 s34, s[0:1], 0x0
	s_cbranch_vccz .LBB247_36
; %bb.9:
	s_waitcnt lgkmcnt(0)
	s_ashr_i32 s35, s34, 31
	s_mov_b32 s2, exec_lo
	s_lshl_b64 s[0:1], s[34:35], 3
	s_delay_alu instid0(SALU_CYCLE_1) | instskip(SKIP_3) | instid1(VALU_DEP_1)
	s_add_u32 s0, s4, s0
	s_addc_u32 s1, s5, s1
	s_load_b128 s[12:15], s[0:1], 0x0
	v_sub_co_u32 v9, s0, v28, s44
	v_sub_co_ci_u32_e64 v10, null, 0, 0, s0
	s_waitcnt lgkmcnt(0)
	s_delay_alu instid0(VALU_DEP_2) | instskip(NEXT) | instid1(VALU_DEP_2)
	v_add_co_u32 v9, vcc_lo, s12, v9
	v_add_co_ci_u32_e32 v10, vcc_lo, s13, v10, vcc_lo
	s_sub_u32 s0, s14, s44
	s_subb_u32 s1, s15, 0
	s_delay_alu instid0(VALU_DEP_1) | instid1(SALU_CYCLE_1)
	v_cmpx_gt_i64_e64 s[0:1], v[9:10]
	s_cbranch_execz .LBB247_35
; %bb.10:
	v_and_b32_e32 v11, 31, v0
	s_mov_b32 s5, s45
	s_delay_alu instid0(VALU_DEP_1) | instskip(NEXT) | instid1(VALU_DEP_1)
	v_sub_co_u32 v29, s4, v11, s45
	v_sub_co_ci_u32_e64 v30, null, 0, 0, s4
	s_mov_b32 s4, 0
	s_branch .LBB247_12
.LBB247_11:                             ;   in Loop: Header=BB247_12 Depth=1
	s_or_b32 exec_lo, exec_lo, s12
	v_add_co_u32 v9, vcc_lo, v9, 32
	v_add_co_ci_u32_e32 v10, vcc_lo, 0, v10, vcc_lo
	s_delay_alu instid0(VALU_DEP_1) | instskip(SKIP_1) | instid1(SALU_CYCLE_1)
	v_cmp_le_i64_e32 vcc_lo, s[0:1], v[9:10]
	s_or_b32 s4, vcc_lo, s4
	s_and_not1_b32 exec_lo, exec_lo, s4
	s_cbranch_execz .LBB247_35
.LBB247_12:                             ; =>This Loop Header: Depth=1
                                        ;     Child Loop BB247_15 Depth 2
                                        ;       Child Loop BB247_17 Depth 3
                                        ;         Child Loop BB247_23 Depth 4
                                        ;         Child Loop BB247_25 Depth 4
	;; [unrolled: 1-line block ×4, first 2 shown]
	v_lshlrev_b64 v[11:12], 2, v[9:10]
	s_mov_b32 s12, exec_lo
	s_delay_alu instid0(VALU_DEP_1) | instskip(NEXT) | instid1(VALU_DEP_2)
	v_add_co_u32 v11, vcc_lo, s6, v11
	v_add_co_ci_u32_e32 v12, vcc_lo, s7, v12, vcc_lo
	global_load_b32 v11, v[11:12], off
	s_waitcnt vmcnt(0)
	v_subrev_nc_u32_e32 v11, s44, v11
	s_delay_alu instid0(VALU_DEP_1) | instskip(NEXT) | instid1(VALU_DEP_1)
	v_ashrrev_i32_e32 v12, 31, v11
	v_lshlrev_b64 v[11:12], 3, v[11:12]
	s_delay_alu instid0(VALU_DEP_1) | instskip(NEXT) | instid1(VALU_DEP_2)
	v_add_co_u32 v11, vcc_lo, s10, v11
	v_add_co_ci_u32_e32 v12, vcc_lo, s11, v12, vcc_lo
	global_load_b128 v[13:16], v[11:12], off
	s_waitcnt vmcnt(0)
	v_sub_co_u32 v11, vcc_lo, v15, s5
	v_subrev_co_ci_u32_e32 v12, vcc_lo, 0, v16, vcc_lo
	v_add_co_u32 v13, vcc_lo, v13, v29
	v_add_co_ci_u32_e32 v14, vcc_lo, v14, v30, vcc_lo
	s_delay_alu instid0(VALU_DEP_1)
	v_cmpx_lt_i64_e64 v[13:14], v[11:12]
	s_cbranch_execz .LBB247_11
; %bb.13:                               ;   in Loop: Header=BB247_12 Depth=1
	v_lshlrev_b64 v[15:16], 4, v[9:10]
	s_mov_b32 s13, 0
	s_delay_alu instid0(VALU_DEP_1) | instskip(NEXT) | instid1(VALU_DEP_2)
	v_add_co_u32 v15, vcc_lo, s8, v15
	v_add_co_ci_u32_e32 v16, vcc_lo, s9, v16, vcc_lo
	global_load_b128 v[17:20], v[15:16], off
	s_waitcnt vmcnt(0)
	v_mul_f64 v[15:16], v[19:20], -v[7:8]
	v_mul_f64 v[19:20], v[5:6], v[19:20]
	s_delay_alu instid0(VALU_DEP_2) | instskip(NEXT) | instid1(VALU_DEP_2)
	v_fma_f64 v[15:16], v[5:6], v[17:18], v[15:16]
	v_fma_f64 v[17:18], v[7:8], v[17:18], v[19:20]
	s_branch .LBB247_15
.LBB247_14:                             ;   in Loop: Header=BB247_15 Depth=2
	s_or_b32 exec_lo, exec_lo, s14
	v_add_co_u32 v13, vcc_lo, v13, 32
	v_add_co_ci_u32_e32 v14, vcc_lo, 0, v14, vcc_lo
	s_delay_alu instid0(VALU_DEP_1) | instskip(SKIP_1) | instid1(SALU_CYCLE_1)
	v_cmp_ge_i64_e32 vcc_lo, v[13:14], v[11:12]
	s_or_b32 s13, vcc_lo, s13
	s_and_not1_b32 exec_lo, exec_lo, s13
	s_cbranch_execz .LBB247_11
.LBB247_15:                             ;   Parent Loop BB247_12 Depth=1
                                        ; =>  This Loop Header: Depth=2
                                        ;       Child Loop BB247_17 Depth 3
                                        ;         Child Loop BB247_23 Depth 4
                                        ;         Child Loop BB247_25 Depth 4
	;; [unrolled: 1-line block ×4, first 2 shown]
	v_lshlrev_b64 v[19:20], 4, v[13:14]
	s_mov_b32 s14, 0
	s_delay_alu instid0(VALU_DEP_1) | instskip(NEXT) | instid1(VALU_DEP_2)
	v_add_co_u32 v19, vcc_lo, s18, v19
	v_add_co_ci_u32_e32 v20, vcc_lo, s19, v20, vcc_lo
	global_load_b128 v[21:24], v[19:20], off
	v_lshlrev_b64 v[19:20], 2, v[13:14]
	s_delay_alu instid0(VALU_DEP_1) | instskip(NEXT) | instid1(VALU_DEP_2)
	v_add_co_u32 v19, vcc_lo, s16, v19
	v_add_co_ci_u32_e32 v20, vcc_lo, s17, v20, vcc_lo
	global_load_b32 v31, v[19:20], off
	s_waitcnt vmcnt(1)
	v_mul_f64 v[19:20], v[23:24], -v[17:18]
	v_mul_f64 v[23:24], v[15:16], v[23:24]
	s_waitcnt vmcnt(0)
	v_subrev_nc_u32_e32 v31, s45, v31
	s_delay_alu instid0(VALU_DEP_3) | instskip(NEXT) | instid1(VALU_DEP_3)
	v_fma_f64 v[19:20], v[15:16], v[21:22], v[19:20]
	v_fma_f64 v[21:22], v[17:18], v[21:22], v[23:24]
	s_delay_alu instid0(VALU_DEP_3) | instskip(NEXT) | instid1(VALU_DEP_1)
	v_mul_lo_u32 v23, 0x89, v31
	v_and_b32_e32 v32, 0x7ff, v23
	s_branch .LBB247_17
.LBB247_16:                             ;   in Loop: Header=BB247_17 Depth=3
	s_or_b32 exec_lo, exec_lo, s15
	s_xor_b32 s15, s20, -1
	s_delay_alu instid0(SALU_CYCLE_1) | instskip(NEXT) | instid1(SALU_CYCLE_1)
	s_and_b32 s15, exec_lo, s15
	s_or_b32 s14, s15, s14
	s_delay_alu instid0(SALU_CYCLE_1)
	s_and_not1_b32 exec_lo, exec_lo, s14
	s_cbranch_execz .LBB247_14
.LBB247_17:                             ;   Parent Loop BB247_12 Depth=1
                                        ;     Parent Loop BB247_15 Depth=2
                                        ; =>    This Loop Header: Depth=3
                                        ;         Child Loop BB247_23 Depth 4
                                        ;         Child Loop BB247_25 Depth 4
	;; [unrolled: 1-line block ×4, first 2 shown]
	s_delay_alu instid0(VALU_DEP_1)
	v_lshl_add_u32 v23, v32, 2, 0
	s_mov_b32 s15, exec_lo
                                        ; implicit-def: $sgpr20
	ds_load_b32 v24, v23
	s_waitcnt lgkmcnt(0)
	v_cmpx_ne_u32_e64 v24, v31
	s_xor_b32 s15, exec_lo, s15
	s_cbranch_execz .LBB247_29
; %bb.18:                               ;   in Loop: Header=BB247_17 Depth=3
	s_mov_b32 s21, exec_lo
                                        ; implicit-def: $sgpr20
	v_cmpx_ne_u32_e64 s33, v24
	s_xor_b32 s21, exec_lo, s21
; %bb.19:                               ;   in Loop: Header=BB247_17 Depth=3
	v_add_nc_u32_e32 v23, 1, v32
	s_mov_b32 s20, -1
	s_delay_alu instid0(VALU_DEP_1)
	v_and_b32_e32 v32, 0x7ff, v23
                                        ; implicit-def: $vgpr23
; %bb.20:                               ;   in Loop: Header=BB247_17 Depth=3
	s_and_not1_saveexec_b32 s21, s21
	s_cbranch_execz .LBB247_28
; %bb.21:                               ;   in Loop: Header=BB247_17 Depth=3
	v_mov_b32_e32 v24, s33
	s_mov_b32 s23, -1
	s_mov_b32 s22, exec_lo
	ds_cmpstore_rtn_b32 v24, v23, v31, v24
	s_waitcnt lgkmcnt(0)
	v_cmpx_eq_u32_e64 s33, v24
	s_cbranch_execz .LBB247_27
; %bb.22:                               ;   in Loop: Header=BB247_17 Depth=3
	v_mul_lo_u32 v24, v32, 12
	s_mov_b32 s23, 0
	s_delay_alu instid0(VALU_DEP_1)
	v_add_nc_u32_e32 v33, v23, v24
	ds_load_b64 v[23:24], v33 offset:8192
.LBB247_23:                             ;   Parent Loop BB247_12 Depth=1
                                        ;     Parent Loop BB247_15 Depth=2
                                        ;       Parent Loop BB247_17 Depth=3
                                        ; =>      This Inner Loop Header: Depth=4
	s_waitcnt lgkmcnt(0)
	v_add_f64 v[34:35], v[23:24], v[19:20]
	ds_cmpstore_rtn_b64 v[34:35], v33, v[34:35], v[23:24] offset:8192
	s_waitcnt lgkmcnt(0)
	v_cmp_eq_u64_e32 vcc_lo, v[34:35], v[23:24]
	v_dual_mov_b32 v23, v34 :: v_dual_mov_b32 v24, v35
	s_or_b32 s23, vcc_lo, s23
	s_delay_alu instid0(SALU_CYCLE_1)
	s_and_not1_b32 exec_lo, exec_lo, s23
	s_cbranch_execnz .LBB247_23
; %bb.24:                               ;   in Loop: Header=BB247_17 Depth=3
	s_or_b32 exec_lo, exec_lo, s23
	ds_load_b64 v[23:24], v33 offset:8200
	s_mov_b32 s23, 0
.LBB247_25:                             ;   Parent Loop BB247_12 Depth=1
                                        ;     Parent Loop BB247_15 Depth=2
                                        ;       Parent Loop BB247_17 Depth=3
                                        ; =>      This Inner Loop Header: Depth=4
	s_waitcnt lgkmcnt(0)
	v_add_f64 v[34:35], v[23:24], v[21:22]
	ds_cmpstore_rtn_b64 v[34:35], v33, v[34:35], v[23:24] offset:8200
	s_waitcnt lgkmcnt(0)
	v_cmp_eq_u64_e32 vcc_lo, v[34:35], v[23:24]
	v_dual_mov_b32 v23, v34 :: v_dual_mov_b32 v24, v35
	s_or_b32 s23, vcc_lo, s23
	s_delay_alu instid0(SALU_CYCLE_1)
	s_and_not1_b32 exec_lo, exec_lo, s23
	s_cbranch_execnz .LBB247_25
; %bb.26:                               ;   in Loop: Header=BB247_17 Depth=3
	s_or_b32 exec_lo, exec_lo, s23
	s_delay_alu instid0(SALU_CYCLE_1)
	s_xor_b32 s23, exec_lo, -1
.LBB247_27:                             ;   in Loop: Header=BB247_17 Depth=3
	s_or_b32 exec_lo, exec_lo, s22
	s_delay_alu instid0(SALU_CYCLE_1) | instskip(SKIP_1) | instid1(SALU_CYCLE_1)
	s_and_not1_b32 s20, s20, exec_lo
	s_and_b32 s22, s23, exec_lo
	s_or_b32 s20, s20, s22
.LBB247_28:                             ;   in Loop: Header=BB247_17 Depth=3
	s_or_b32 exec_lo, exec_lo, s21
	s_delay_alu instid0(SALU_CYCLE_1)
	s_and_b32 s20, s20, exec_lo
                                        ; implicit-def: $vgpr23
.LBB247_29:                             ;   in Loop: Header=BB247_17 Depth=3
	s_and_not1_saveexec_b32 s15, s15
	s_cbranch_execz .LBB247_16
; %bb.30:                               ;   in Loop: Header=BB247_17 Depth=3
	v_mul_lo_u32 v24, v32, 12
	s_mov_b32 s21, 0
	s_delay_alu instid0(VALU_DEP_1)
	v_add_nc_u32_e32 v33, v23, v24
	ds_load_b64 v[23:24], v33 offset:8192
.LBB247_31:                             ;   Parent Loop BB247_12 Depth=1
                                        ;     Parent Loop BB247_15 Depth=2
                                        ;       Parent Loop BB247_17 Depth=3
                                        ; =>      This Inner Loop Header: Depth=4
	s_waitcnt lgkmcnt(0)
	v_add_f64 v[34:35], v[23:24], v[19:20]
	ds_cmpstore_rtn_b64 v[34:35], v33, v[34:35], v[23:24] offset:8192
	s_waitcnt lgkmcnt(0)
	v_cmp_eq_u64_e32 vcc_lo, v[34:35], v[23:24]
	v_dual_mov_b32 v23, v34 :: v_dual_mov_b32 v24, v35
	s_or_b32 s21, vcc_lo, s21
	s_delay_alu instid0(SALU_CYCLE_1)
	s_and_not1_b32 exec_lo, exec_lo, s21
	s_cbranch_execnz .LBB247_31
; %bb.32:                               ;   in Loop: Header=BB247_17 Depth=3
	s_or_b32 exec_lo, exec_lo, s21
	ds_load_b64 v[23:24], v33 offset:8200
	s_mov_b32 s21, 0
.LBB247_33:                             ;   Parent Loop BB247_12 Depth=1
                                        ;     Parent Loop BB247_15 Depth=2
                                        ;       Parent Loop BB247_17 Depth=3
                                        ; =>      This Inner Loop Header: Depth=4
	s_waitcnt lgkmcnt(0)
	v_add_f64 v[34:35], v[23:24], v[21:22]
	ds_cmpstore_rtn_b64 v[34:35], v33, v[34:35], v[23:24] offset:8200
	s_waitcnt lgkmcnt(0)
	v_cmp_eq_u64_e32 vcc_lo, v[34:35], v[23:24]
	v_dual_mov_b32 v23, v34 :: v_dual_mov_b32 v24, v35
	s_or_b32 s21, vcc_lo, s21
	s_delay_alu instid0(SALU_CYCLE_1)
	s_and_not1_b32 exec_lo, exec_lo, s21
	s_cbranch_execnz .LBB247_33
; %bb.34:                               ;   in Loop: Header=BB247_17 Depth=3
	s_or_b32 exec_lo, exec_lo, s21
	s_delay_alu instid0(SALU_CYCLE_1)
	s_and_not1_b32 s20, s20, exec_lo
	s_branch .LBB247_16
.LBB247_35:
	s_or_b32 exec_lo, exec_lo, s2
.LBB247_36:
	s_delay_alu instid0(SALU_CYCLE_1)
	s_and_not1_b32 vcc_lo, exec_lo, s3
	s_cbranch_vccnz .LBB247_39
; %bb.37:
	s_waitcnt lgkmcnt(0)
	s_ashr_i32 s35, s34, 31
	v_sub_co_u32 v5, s4, v0, s47
	s_lshl_b64 s[0:1], s[34:35], 3
	v_sub_co_ci_u32_e64 v6, null, 0, 0, s4
	s_add_u32 s0, s36, s0
	s_addc_u32 s1, s37, s1
	s_load_b128 s[0:3], s[0:1], 0x0
	s_waitcnt lgkmcnt(0)
	v_add_co_u32 v5, vcc_lo, s0, v5
	v_add_co_ci_u32_e32 v6, vcc_lo, s1, v6, vcc_lo
	s_sub_u32 s0, s2, s47
	s_subb_u32 s1, s3, 0
	s_mov_b32 s3, 0
	s_mov_b32 s2, exec_lo
	v_cmpx_gt_i64_e64 s[0:1], v[5:6]
	s_cbranch_execnz .LBB247_108
.LBB247_38:
	s_or_b32 exec_lo, exec_lo, s2
.LBB247_39:
	v_mbcnt_lo_u32_b32 v1, -1, 0
	v_lshl_add_u32 v3, v28, 2, 0
	v_cmp_eq_u32_e32 vcc_lo, 0x3ff, v0
	v_cmp_lt_u32_e64 s0, 31, v0
	v_cmp_lt_u32_e64 s1, 63, v0
	v_xor_b32_e32 v1, 63, v1
	v_cmp_lt_u32_e64 s2, 0x5f, v0
	v_cmp_lt_u32_e64 s3, 0x7f, v0
	;; [unrolled: 1-line block ×4, first 2 shown]
	v_lshrrev_b64 v[1:2], v1, -1
	v_cmp_lt_u32_e64 s6, 0xdf, v0
	v_cmp_lt_u32_e64 s7, 0xff, v0
	;; [unrolled: 1-line block ×25, first 2 shown]
	v_mov_b32_e32 v2, 0
	v_mov_b32_e32 v4, 0
	s_mov_b32 s35, 0
	s_waitcnt lgkmcnt(0)
	s_barrier
	buffer_gl0_inv
	s_branch .LBB247_41
.LBB247_40:                             ;   in Loop: Header=BB247_41 Depth=1
	s_or_b32 exec_lo, exec_lo, s31
	s_waitcnt lgkmcnt(0)
	s_barrier
	buffer_gl0_inv
	ds_load_b32 v5, v2 offset:41084
	v_add_co_u32 v25, s31, 0x400, v25
	s_delay_alu instid0(VALU_DEP_1) | instskip(SKIP_3) | instid1(SALU_CYCLE_1)
	s_xor_b32 s31, s31, -1
	v_add_nc_u32_e32 v27, 0x4000, v27
	v_add_nc_u32_e32 v26, 0x1000, v26
	s_and_b32 s31, exec_lo, s31
	s_or_b32 s35, s31, s35
	s_waitcnt lgkmcnt(0)
	v_add_nc_u32_e32 v4, v5, v4
	s_and_not1_b32 exec_lo, exec_lo, s35
	s_cbranch_execz .LBB247_128
.LBB247_41:                             ; =>This Inner Loop Header: Depth=1
	ds_load_b32 v5, v26
	ds_load_2addr_b64 v[6:9], v27 offset1:1
	s_waitcnt lgkmcnt(1)
	v_cmp_gt_i32_e64 s31, s33, v5
	s_waitcnt lgkmcnt(0)
	scratch_store_b128 off, v[6:9], off
	s_waitcnt_vscnt null, 0x0
	s_barrier
	buffer_gl0_inv
	s_bcnt1_i32_b32 s36, s31
	s_delay_alu instid0(SALU_CYCLE_1) | instskip(NEXT) | instid1(VALU_DEP_1)
	v_dual_mov_b32 v7, s36 :: v_dual_and_b32 v6, s31, v1
	v_bcnt_u32_b32 v6, v6, 0
	ds_store_b32 v3, v7 offset:40960
	s_waitcnt lgkmcnt(0)
	s_barrier
	buffer_gl0_inv
	s_and_saveexec_b32 s36, s0
	s_cbranch_execnz .LBB247_74
; %bb.42:                               ;   in Loop: Header=BB247_41 Depth=1
	s_or_b32 exec_lo, exec_lo, s36
	s_and_saveexec_b32 s36, s1
	s_cbranch_execnz .LBB247_75
.LBB247_43:                             ;   in Loop: Header=BB247_41 Depth=1
	s_or_b32 exec_lo, exec_lo, s36
	s_and_saveexec_b32 s36, s2
	s_cbranch_execnz .LBB247_76
.LBB247_44:                             ;   in Loop: Header=BB247_41 Depth=1
	s_or_b32 exec_lo, exec_lo, s36
	s_and_saveexec_b32 s36, s3
	s_cbranch_execnz .LBB247_77
.LBB247_45:                             ;   in Loop: Header=BB247_41 Depth=1
	s_or_b32 exec_lo, exec_lo, s36
	s_and_saveexec_b32 s36, s4
	s_cbranch_execnz .LBB247_78
.LBB247_46:                             ;   in Loop: Header=BB247_41 Depth=1
	s_or_b32 exec_lo, exec_lo, s36
	s_and_saveexec_b32 s36, s5
	s_cbranch_execnz .LBB247_79
.LBB247_47:                             ;   in Loop: Header=BB247_41 Depth=1
	s_or_b32 exec_lo, exec_lo, s36
	s_and_saveexec_b32 s36, s6
	s_cbranch_execnz .LBB247_80
.LBB247_48:                             ;   in Loop: Header=BB247_41 Depth=1
	s_or_b32 exec_lo, exec_lo, s36
	s_and_saveexec_b32 s36, s7
	s_cbranch_execnz .LBB247_81
.LBB247_49:                             ;   in Loop: Header=BB247_41 Depth=1
	s_or_b32 exec_lo, exec_lo, s36
	s_and_saveexec_b32 s36, s8
	s_cbranch_execnz .LBB247_82
.LBB247_50:                             ;   in Loop: Header=BB247_41 Depth=1
	s_or_b32 exec_lo, exec_lo, s36
	s_and_saveexec_b32 s36, s9
	s_cbranch_execnz .LBB247_83
.LBB247_51:                             ;   in Loop: Header=BB247_41 Depth=1
	s_or_b32 exec_lo, exec_lo, s36
	s_and_saveexec_b32 s36, s10
	s_cbranch_execnz .LBB247_84
.LBB247_52:                             ;   in Loop: Header=BB247_41 Depth=1
	s_or_b32 exec_lo, exec_lo, s36
	s_and_saveexec_b32 s36, s11
	s_cbranch_execnz .LBB247_85
.LBB247_53:                             ;   in Loop: Header=BB247_41 Depth=1
	s_or_b32 exec_lo, exec_lo, s36
	s_and_saveexec_b32 s36, s12
	s_cbranch_execnz .LBB247_86
.LBB247_54:                             ;   in Loop: Header=BB247_41 Depth=1
	s_or_b32 exec_lo, exec_lo, s36
	s_and_saveexec_b32 s36, s13
	s_cbranch_execnz .LBB247_87
.LBB247_55:                             ;   in Loop: Header=BB247_41 Depth=1
	s_or_b32 exec_lo, exec_lo, s36
	s_and_saveexec_b32 s36, s14
	s_cbranch_execnz .LBB247_88
.LBB247_56:                             ;   in Loop: Header=BB247_41 Depth=1
	s_or_b32 exec_lo, exec_lo, s36
	s_and_saveexec_b32 s36, s15
	s_cbranch_execnz .LBB247_89
.LBB247_57:                             ;   in Loop: Header=BB247_41 Depth=1
	s_or_b32 exec_lo, exec_lo, s36
	s_and_saveexec_b32 s36, s16
	s_cbranch_execnz .LBB247_90
.LBB247_58:                             ;   in Loop: Header=BB247_41 Depth=1
	s_or_b32 exec_lo, exec_lo, s36
	s_and_saveexec_b32 s36, s17
	s_cbranch_execnz .LBB247_91
.LBB247_59:                             ;   in Loop: Header=BB247_41 Depth=1
	s_or_b32 exec_lo, exec_lo, s36
	s_and_saveexec_b32 s36, s18
	s_cbranch_execnz .LBB247_92
.LBB247_60:                             ;   in Loop: Header=BB247_41 Depth=1
	s_or_b32 exec_lo, exec_lo, s36
	s_and_saveexec_b32 s36, s19
	s_cbranch_execnz .LBB247_93
.LBB247_61:                             ;   in Loop: Header=BB247_41 Depth=1
	s_or_b32 exec_lo, exec_lo, s36
	s_and_saveexec_b32 s36, s20
	s_cbranch_execnz .LBB247_94
.LBB247_62:                             ;   in Loop: Header=BB247_41 Depth=1
	s_or_b32 exec_lo, exec_lo, s36
	s_and_saveexec_b32 s36, s21
	s_cbranch_execnz .LBB247_95
.LBB247_63:                             ;   in Loop: Header=BB247_41 Depth=1
	s_or_b32 exec_lo, exec_lo, s36
	s_and_saveexec_b32 s36, s22
	s_cbranch_execnz .LBB247_96
.LBB247_64:                             ;   in Loop: Header=BB247_41 Depth=1
	s_or_b32 exec_lo, exec_lo, s36
	s_and_saveexec_b32 s36, s23
	s_cbranch_execnz .LBB247_97
.LBB247_65:                             ;   in Loop: Header=BB247_41 Depth=1
	s_or_b32 exec_lo, exec_lo, s36
	s_and_saveexec_b32 s36, s24
	s_cbranch_execnz .LBB247_98
.LBB247_66:                             ;   in Loop: Header=BB247_41 Depth=1
	s_or_b32 exec_lo, exec_lo, s36
	s_and_saveexec_b32 s36, s25
	s_cbranch_execnz .LBB247_99
.LBB247_67:                             ;   in Loop: Header=BB247_41 Depth=1
	s_or_b32 exec_lo, exec_lo, s36
	s_and_saveexec_b32 s36, s26
	s_cbranch_execnz .LBB247_100
.LBB247_68:                             ;   in Loop: Header=BB247_41 Depth=1
	s_or_b32 exec_lo, exec_lo, s36
	s_and_saveexec_b32 s36, s27
	s_cbranch_execnz .LBB247_101
.LBB247_69:                             ;   in Loop: Header=BB247_41 Depth=1
	s_or_b32 exec_lo, exec_lo, s36
	s_and_saveexec_b32 s36, s28
	s_cbranch_execnz .LBB247_102
.LBB247_70:                             ;   in Loop: Header=BB247_41 Depth=1
	s_or_b32 exec_lo, exec_lo, s36
	s_and_saveexec_b32 s36, s29
	s_cbranch_execnz .LBB247_103
.LBB247_71:                             ;   in Loop: Header=BB247_41 Depth=1
	s_or_b32 exec_lo, exec_lo, s36
	s_and_saveexec_b32 s36, s30
	s_cbranch_execnz .LBB247_104
.LBB247_72:                             ;   in Loop: Header=BB247_41 Depth=1
	s_or_b32 exec_lo, exec_lo, s36
	s_and_saveexec_b32 s36, s31
	s_cbranch_execnz .LBB247_105
.LBB247_73:                             ;   in Loop: Header=BB247_41 Depth=1
	s_or_b32 exec_lo, exec_lo, s36
	s_and_saveexec_b32 s31, vcc_lo
	s_cbranch_execz .LBB247_40
	s_branch .LBB247_106
.LBB247_74:                             ;   in Loop: Header=BB247_41 Depth=1
	ds_load_b32 v7, v2 offset:40960
	s_waitcnt lgkmcnt(0)
	v_add_nc_u32_e32 v6, v7, v6
	s_or_b32 exec_lo, exec_lo, s36
	s_and_saveexec_b32 s36, s1
	s_cbranch_execz .LBB247_43
.LBB247_75:                             ;   in Loop: Header=BB247_41 Depth=1
	ds_load_b32 v7, v2 offset:40964
	s_waitcnt lgkmcnt(0)
	v_add_nc_u32_e32 v6, v7, v6
	s_or_b32 exec_lo, exec_lo, s36
	s_and_saveexec_b32 s36, s2
	s_cbranch_execz .LBB247_44
.LBB247_76:                             ;   in Loop: Header=BB247_41 Depth=1
	ds_load_b32 v7, v2 offset:40968
	s_waitcnt lgkmcnt(0)
	v_add_nc_u32_e32 v6, v7, v6
	s_or_b32 exec_lo, exec_lo, s36
	s_and_saveexec_b32 s36, s3
	s_cbranch_execz .LBB247_45
.LBB247_77:                             ;   in Loop: Header=BB247_41 Depth=1
	ds_load_b32 v7, v2 offset:40972
	s_waitcnt lgkmcnt(0)
	v_add_nc_u32_e32 v6, v7, v6
	s_or_b32 exec_lo, exec_lo, s36
	s_and_saveexec_b32 s36, s4
	s_cbranch_execz .LBB247_46
.LBB247_78:                             ;   in Loop: Header=BB247_41 Depth=1
	ds_load_b32 v7, v2 offset:40976
	s_waitcnt lgkmcnt(0)
	v_add_nc_u32_e32 v6, v7, v6
	s_or_b32 exec_lo, exec_lo, s36
	s_and_saveexec_b32 s36, s5
	s_cbranch_execz .LBB247_47
.LBB247_79:                             ;   in Loop: Header=BB247_41 Depth=1
	ds_load_b32 v7, v2 offset:40980
	s_waitcnt lgkmcnt(0)
	v_add_nc_u32_e32 v6, v7, v6
	s_or_b32 exec_lo, exec_lo, s36
	s_and_saveexec_b32 s36, s6
	s_cbranch_execz .LBB247_48
.LBB247_80:                             ;   in Loop: Header=BB247_41 Depth=1
	ds_load_b32 v7, v2 offset:40984
	s_waitcnt lgkmcnt(0)
	v_add_nc_u32_e32 v6, v7, v6
	s_or_b32 exec_lo, exec_lo, s36
	s_and_saveexec_b32 s36, s7
	s_cbranch_execz .LBB247_49
.LBB247_81:                             ;   in Loop: Header=BB247_41 Depth=1
	ds_load_b32 v7, v2 offset:40988
	s_waitcnt lgkmcnt(0)
	v_add_nc_u32_e32 v6, v7, v6
	s_or_b32 exec_lo, exec_lo, s36
	s_and_saveexec_b32 s36, s8
	s_cbranch_execz .LBB247_50
.LBB247_82:                             ;   in Loop: Header=BB247_41 Depth=1
	ds_load_b32 v7, v2 offset:40992
	s_waitcnt lgkmcnt(0)
	v_add_nc_u32_e32 v6, v7, v6
	s_or_b32 exec_lo, exec_lo, s36
	s_and_saveexec_b32 s36, s9
	s_cbranch_execz .LBB247_51
.LBB247_83:                             ;   in Loop: Header=BB247_41 Depth=1
	ds_load_b32 v7, v2 offset:40996
	s_waitcnt lgkmcnt(0)
	v_add_nc_u32_e32 v6, v7, v6
	s_or_b32 exec_lo, exec_lo, s36
	s_and_saveexec_b32 s36, s10
	s_cbranch_execz .LBB247_52
.LBB247_84:                             ;   in Loop: Header=BB247_41 Depth=1
	ds_load_b32 v7, v2 offset:41000
	s_waitcnt lgkmcnt(0)
	v_add_nc_u32_e32 v6, v7, v6
	s_or_b32 exec_lo, exec_lo, s36
	s_and_saveexec_b32 s36, s11
	s_cbranch_execz .LBB247_53
.LBB247_85:                             ;   in Loop: Header=BB247_41 Depth=1
	ds_load_b32 v7, v2 offset:41004
	s_waitcnt lgkmcnt(0)
	v_add_nc_u32_e32 v6, v7, v6
	s_or_b32 exec_lo, exec_lo, s36
	s_and_saveexec_b32 s36, s12
	s_cbranch_execz .LBB247_54
.LBB247_86:                             ;   in Loop: Header=BB247_41 Depth=1
	ds_load_b32 v7, v2 offset:41008
	s_waitcnt lgkmcnt(0)
	v_add_nc_u32_e32 v6, v7, v6
	s_or_b32 exec_lo, exec_lo, s36
	s_and_saveexec_b32 s36, s13
	s_cbranch_execz .LBB247_55
.LBB247_87:                             ;   in Loop: Header=BB247_41 Depth=1
	ds_load_b32 v7, v2 offset:41012
	s_waitcnt lgkmcnt(0)
	v_add_nc_u32_e32 v6, v7, v6
	s_or_b32 exec_lo, exec_lo, s36
	s_and_saveexec_b32 s36, s14
	s_cbranch_execz .LBB247_56
.LBB247_88:                             ;   in Loop: Header=BB247_41 Depth=1
	ds_load_b32 v7, v2 offset:41016
	s_waitcnt lgkmcnt(0)
	v_add_nc_u32_e32 v6, v7, v6
	s_or_b32 exec_lo, exec_lo, s36
	s_and_saveexec_b32 s36, s15
	s_cbranch_execz .LBB247_57
.LBB247_89:                             ;   in Loop: Header=BB247_41 Depth=1
	ds_load_b32 v7, v2 offset:41020
	s_waitcnt lgkmcnt(0)
	v_add_nc_u32_e32 v6, v7, v6
	s_or_b32 exec_lo, exec_lo, s36
	s_and_saveexec_b32 s36, s16
	s_cbranch_execz .LBB247_58
.LBB247_90:                             ;   in Loop: Header=BB247_41 Depth=1
	ds_load_b32 v7, v2 offset:41024
	s_waitcnt lgkmcnt(0)
	v_add_nc_u32_e32 v6, v7, v6
	s_or_b32 exec_lo, exec_lo, s36
	s_and_saveexec_b32 s36, s17
	s_cbranch_execz .LBB247_59
.LBB247_91:                             ;   in Loop: Header=BB247_41 Depth=1
	ds_load_b32 v7, v2 offset:41028
	s_waitcnt lgkmcnt(0)
	v_add_nc_u32_e32 v6, v7, v6
	s_or_b32 exec_lo, exec_lo, s36
	s_and_saveexec_b32 s36, s18
	s_cbranch_execz .LBB247_60
.LBB247_92:                             ;   in Loop: Header=BB247_41 Depth=1
	ds_load_b32 v7, v2 offset:41032
	s_waitcnt lgkmcnt(0)
	v_add_nc_u32_e32 v6, v7, v6
	s_or_b32 exec_lo, exec_lo, s36
	s_and_saveexec_b32 s36, s19
	s_cbranch_execz .LBB247_61
.LBB247_93:                             ;   in Loop: Header=BB247_41 Depth=1
	ds_load_b32 v7, v2 offset:41036
	s_waitcnt lgkmcnt(0)
	v_add_nc_u32_e32 v6, v7, v6
	s_or_b32 exec_lo, exec_lo, s36
	s_and_saveexec_b32 s36, s20
	s_cbranch_execz .LBB247_62
.LBB247_94:                             ;   in Loop: Header=BB247_41 Depth=1
	ds_load_b32 v7, v2 offset:41040
	s_waitcnt lgkmcnt(0)
	v_add_nc_u32_e32 v6, v7, v6
	s_or_b32 exec_lo, exec_lo, s36
	s_and_saveexec_b32 s36, s21
	s_cbranch_execz .LBB247_63
.LBB247_95:                             ;   in Loop: Header=BB247_41 Depth=1
	ds_load_b32 v7, v2 offset:41044
	s_waitcnt lgkmcnt(0)
	v_add_nc_u32_e32 v6, v7, v6
	s_or_b32 exec_lo, exec_lo, s36
	s_and_saveexec_b32 s36, s22
	s_cbranch_execz .LBB247_64
.LBB247_96:                             ;   in Loop: Header=BB247_41 Depth=1
	ds_load_b32 v7, v2 offset:41048
	s_waitcnt lgkmcnt(0)
	v_add_nc_u32_e32 v6, v7, v6
	s_or_b32 exec_lo, exec_lo, s36
	s_and_saveexec_b32 s36, s23
	s_cbranch_execz .LBB247_65
.LBB247_97:                             ;   in Loop: Header=BB247_41 Depth=1
	ds_load_b32 v7, v2 offset:41052
	s_waitcnt lgkmcnt(0)
	v_add_nc_u32_e32 v6, v7, v6
	s_or_b32 exec_lo, exec_lo, s36
	s_and_saveexec_b32 s36, s24
	s_cbranch_execz .LBB247_66
.LBB247_98:                             ;   in Loop: Header=BB247_41 Depth=1
	ds_load_b32 v7, v2 offset:41056
	s_waitcnt lgkmcnt(0)
	v_add_nc_u32_e32 v6, v7, v6
	s_or_b32 exec_lo, exec_lo, s36
	s_and_saveexec_b32 s36, s25
	s_cbranch_execz .LBB247_67
.LBB247_99:                             ;   in Loop: Header=BB247_41 Depth=1
	ds_load_b32 v7, v2 offset:41060
	s_waitcnt lgkmcnt(0)
	v_add_nc_u32_e32 v6, v7, v6
	s_or_b32 exec_lo, exec_lo, s36
	s_and_saveexec_b32 s36, s26
	s_cbranch_execz .LBB247_68
.LBB247_100:                            ;   in Loop: Header=BB247_41 Depth=1
	ds_load_b32 v7, v2 offset:41064
	s_waitcnt lgkmcnt(0)
	v_add_nc_u32_e32 v6, v7, v6
	s_or_b32 exec_lo, exec_lo, s36
	s_and_saveexec_b32 s36, s27
	s_cbranch_execz .LBB247_69
.LBB247_101:                            ;   in Loop: Header=BB247_41 Depth=1
	ds_load_b32 v7, v2 offset:41068
	s_waitcnt lgkmcnt(0)
	v_add_nc_u32_e32 v6, v7, v6
	s_or_b32 exec_lo, exec_lo, s36
	s_and_saveexec_b32 s36, s28
	s_cbranch_execz .LBB247_70
.LBB247_102:                            ;   in Loop: Header=BB247_41 Depth=1
	ds_load_b32 v7, v2 offset:41072
	s_waitcnt lgkmcnt(0)
	v_add_nc_u32_e32 v6, v7, v6
	s_or_b32 exec_lo, exec_lo, s36
	s_and_saveexec_b32 s36, s29
	s_cbranch_execz .LBB247_71
.LBB247_103:                            ;   in Loop: Header=BB247_41 Depth=1
	ds_load_b32 v7, v2 offset:41076
	s_waitcnt lgkmcnt(0)
	v_add_nc_u32_e32 v6, v7, v6
	s_or_b32 exec_lo, exec_lo, s36
	s_and_saveexec_b32 s36, s30
	s_cbranch_execz .LBB247_72
.LBB247_104:                            ;   in Loop: Header=BB247_41 Depth=1
	ds_load_b32 v7, v2 offset:41080
	s_waitcnt lgkmcnt(0)
	v_add_nc_u32_e32 v6, v7, v6
	s_or_b32 exec_lo, exec_lo, s36
	s_and_saveexec_b32 s36, s31
	s_cbranch_execz .LBB247_73
.LBB247_105:                            ;   in Loop: Header=BB247_41 Depth=1
	scratch_load_b128 v[7:10], off, off
	v_add3_u32 v11, v4, -1, v6
	s_delay_alu instid0(VALU_DEP_1) | instskip(SKIP_1) | instid1(VALU_DEP_2)
	v_lshlrev_b32_e32 v12, 4, v11
	v_lshl_add_u32 v11, v11, 2, 0
	v_add3_u32 v12, 0, v12, 0x2000
	ds_store_b32 v11, v5
	s_waitcnt vmcnt(0)
	ds_store_2addr_b64 v12, v[7:8], v[9:10] offset1:1
	s_or_b32 exec_lo, exec_lo, s36
	s_and_saveexec_b32 s31, vcc_lo
	s_cbranch_execz .LBB247_40
.LBB247_106:                            ;   in Loop: Header=BB247_41 Depth=1
	ds_store_b32 v2, v6 offset:41084
	s_branch .LBB247_40
.LBB247_107:                            ;   in Loop: Header=BB247_108 Depth=1
	s_or_b32 exec_lo, exec_lo, s4
	v_add_co_u32 v5, vcc_lo, 0x400, v5
	v_add_co_ci_u32_e32 v6, vcc_lo, 0, v6, vcc_lo
	s_delay_alu instid0(VALU_DEP_1) | instskip(SKIP_1) | instid1(SALU_CYCLE_1)
	v_cmp_le_i64_e32 vcc_lo, s[0:1], v[5:6]
	s_or_b32 s3, vcc_lo, s3
	s_and_not1_b32 exec_lo, exec_lo, s3
	s_cbranch_execz .LBB247_38
.LBB247_108:                            ; =>This Loop Header: Depth=1
                                        ;     Child Loop BB247_110 Depth 2
                                        ;       Child Loop BB247_116 Depth 3
                                        ;       Child Loop BB247_118 Depth 3
	;; [unrolled: 1-line block ×4, first 2 shown]
	v_lshlrev_b64 v[7:8], 4, v[5:6]
	s_mov_b32 s4, 0
	s_delay_alu instid0(VALU_DEP_1) | instskip(NEXT) | instid1(VALU_DEP_2)
	v_add_co_u32 v7, vcc_lo, s40, v7
	v_add_co_ci_u32_e32 v8, vcc_lo, s41, v8, vcc_lo
	global_load_b128 v[9:12], v[7:8], off
	v_lshlrev_b64 v[7:8], 2, v[5:6]
	s_delay_alu instid0(VALU_DEP_1) | instskip(NEXT) | instid1(VALU_DEP_2)
	v_add_co_u32 v7, vcc_lo, s38, v7
	v_add_co_ci_u32_e32 v8, vcc_lo, s39, v8, vcc_lo
	global_load_b32 v13, v[7:8], off
	s_waitcnt vmcnt(1)
	v_mul_f64 v[7:8], v[11:12], -v[1:2]
	v_mul_f64 v[11:12], v[3:4], v[11:12]
	s_waitcnt vmcnt(0)
	v_subrev_nc_u32_e32 v13, s47, v13
	s_delay_alu instid0(VALU_DEP_3) | instskip(NEXT) | instid1(VALU_DEP_3)
	v_fma_f64 v[7:8], v[3:4], v[9:10], v[7:8]
	v_fma_f64 v[9:10], v[1:2], v[9:10], v[11:12]
	s_delay_alu instid0(VALU_DEP_3) | instskip(NEXT) | instid1(VALU_DEP_1)
	v_mul_lo_u32 v11, 0x89, v13
	v_and_b32_e32 v14, 0x7ff, v11
	s_branch .LBB247_110
.LBB247_109:                            ;   in Loop: Header=BB247_110 Depth=2
	s_or_b32 exec_lo, exec_lo, s5
	s_xor_b32 s5, s6, -1
	s_delay_alu instid0(SALU_CYCLE_1) | instskip(NEXT) | instid1(SALU_CYCLE_1)
	s_and_b32 s5, exec_lo, s5
	s_or_b32 s4, s5, s4
	s_delay_alu instid0(SALU_CYCLE_1)
	s_and_not1_b32 exec_lo, exec_lo, s4
	s_cbranch_execz .LBB247_107
.LBB247_110:                            ;   Parent Loop BB247_108 Depth=1
                                        ; =>  This Loop Header: Depth=2
                                        ;       Child Loop BB247_116 Depth 3
                                        ;       Child Loop BB247_118 Depth 3
	;; [unrolled: 1-line block ×4, first 2 shown]
	s_delay_alu instid0(VALU_DEP_1)
	v_lshl_add_u32 v11, v14, 2, 0
	s_mov_b32 s5, exec_lo
                                        ; implicit-def: $sgpr6
	ds_load_b32 v12, v11
	s_waitcnt lgkmcnt(0)
	v_cmpx_ne_u32_e64 v12, v13
	s_xor_b32 s5, exec_lo, s5
	s_cbranch_execz .LBB247_122
; %bb.111:                              ;   in Loop: Header=BB247_110 Depth=2
	s_mov_b32 s7, exec_lo
                                        ; implicit-def: $sgpr6
	v_cmpx_ne_u32_e64 s33, v12
	s_xor_b32 s7, exec_lo, s7
; %bb.112:                              ;   in Loop: Header=BB247_110 Depth=2
	v_add_nc_u32_e32 v11, 1, v14
	s_mov_b32 s6, -1
	s_delay_alu instid0(VALU_DEP_1)
	v_and_b32_e32 v14, 0x7ff, v11
                                        ; implicit-def: $vgpr11
; %bb.113:                              ;   in Loop: Header=BB247_110 Depth=2
	s_and_not1_saveexec_b32 s7, s7
	s_cbranch_execz .LBB247_121
; %bb.114:                              ;   in Loop: Header=BB247_110 Depth=2
	v_mov_b32_e32 v12, s33
	s_mov_b32 s9, -1
	s_mov_b32 s8, exec_lo
	ds_cmpstore_rtn_b32 v12, v11, v13, v12
	s_waitcnt lgkmcnt(0)
	v_cmpx_eq_u32_e64 s33, v12
	s_cbranch_execz .LBB247_120
; %bb.115:                              ;   in Loop: Header=BB247_110 Depth=2
	v_mul_lo_u32 v12, v14, 12
	s_mov_b32 s9, 0
	s_delay_alu instid0(VALU_DEP_1)
	v_add_nc_u32_e32 v15, v11, v12
	ds_load_b64 v[11:12], v15 offset:8192
.LBB247_116:                            ;   Parent Loop BB247_108 Depth=1
                                        ;     Parent Loop BB247_110 Depth=2
                                        ; =>    This Inner Loop Header: Depth=3
	s_waitcnt lgkmcnt(0)
	v_add_f64 v[16:17], v[11:12], v[7:8]
	ds_cmpstore_rtn_b64 v[16:17], v15, v[16:17], v[11:12] offset:8192
	s_waitcnt lgkmcnt(0)
	v_cmp_eq_u64_e32 vcc_lo, v[16:17], v[11:12]
	v_dual_mov_b32 v11, v16 :: v_dual_mov_b32 v12, v17
	s_or_b32 s9, vcc_lo, s9
	s_delay_alu instid0(SALU_CYCLE_1)
	s_and_not1_b32 exec_lo, exec_lo, s9
	s_cbranch_execnz .LBB247_116
; %bb.117:                              ;   in Loop: Header=BB247_110 Depth=2
	s_or_b32 exec_lo, exec_lo, s9
	ds_load_b64 v[11:12], v15 offset:8200
	s_mov_b32 s9, 0
.LBB247_118:                            ;   Parent Loop BB247_108 Depth=1
                                        ;     Parent Loop BB247_110 Depth=2
                                        ; =>    This Inner Loop Header: Depth=3
	s_waitcnt lgkmcnt(0)
	v_add_f64 v[16:17], v[11:12], v[9:10]
	ds_cmpstore_rtn_b64 v[16:17], v15, v[16:17], v[11:12] offset:8200
	s_waitcnt lgkmcnt(0)
	v_cmp_eq_u64_e32 vcc_lo, v[16:17], v[11:12]
	v_dual_mov_b32 v11, v16 :: v_dual_mov_b32 v12, v17
	s_or_b32 s9, vcc_lo, s9
	s_delay_alu instid0(SALU_CYCLE_1)
	s_and_not1_b32 exec_lo, exec_lo, s9
	s_cbranch_execnz .LBB247_118
; %bb.119:                              ;   in Loop: Header=BB247_110 Depth=2
	s_or_b32 exec_lo, exec_lo, s9
	s_delay_alu instid0(SALU_CYCLE_1)
	s_xor_b32 s9, exec_lo, -1
.LBB247_120:                            ;   in Loop: Header=BB247_110 Depth=2
	s_or_b32 exec_lo, exec_lo, s8
	s_delay_alu instid0(SALU_CYCLE_1) | instskip(SKIP_1) | instid1(SALU_CYCLE_1)
	s_and_not1_b32 s6, s6, exec_lo
	s_and_b32 s8, s9, exec_lo
	s_or_b32 s6, s6, s8
.LBB247_121:                            ;   in Loop: Header=BB247_110 Depth=2
	s_or_b32 exec_lo, exec_lo, s7
	s_delay_alu instid0(SALU_CYCLE_1)
	s_and_b32 s6, s6, exec_lo
                                        ; implicit-def: $vgpr11
.LBB247_122:                            ;   in Loop: Header=BB247_110 Depth=2
	s_and_not1_saveexec_b32 s5, s5
	s_cbranch_execz .LBB247_109
; %bb.123:                              ;   in Loop: Header=BB247_110 Depth=2
	v_mul_lo_u32 v12, v14, 12
	s_mov_b32 s7, 0
	s_delay_alu instid0(VALU_DEP_1)
	v_add_nc_u32_e32 v15, v11, v12
	ds_load_b64 v[11:12], v15 offset:8192
.LBB247_124:                            ;   Parent Loop BB247_108 Depth=1
                                        ;     Parent Loop BB247_110 Depth=2
                                        ; =>    This Inner Loop Header: Depth=3
	s_waitcnt lgkmcnt(0)
	v_add_f64 v[16:17], v[11:12], v[7:8]
	ds_cmpstore_rtn_b64 v[16:17], v15, v[16:17], v[11:12] offset:8192
	s_waitcnt lgkmcnt(0)
	v_cmp_eq_u64_e32 vcc_lo, v[16:17], v[11:12]
	v_dual_mov_b32 v11, v16 :: v_dual_mov_b32 v12, v17
	s_or_b32 s7, vcc_lo, s7
	s_delay_alu instid0(SALU_CYCLE_1)
	s_and_not1_b32 exec_lo, exec_lo, s7
	s_cbranch_execnz .LBB247_124
; %bb.125:                              ;   in Loop: Header=BB247_110 Depth=2
	s_or_b32 exec_lo, exec_lo, s7
	ds_load_b64 v[11:12], v15 offset:8200
	s_mov_b32 s7, 0
.LBB247_126:                            ;   Parent Loop BB247_108 Depth=1
                                        ;     Parent Loop BB247_110 Depth=2
                                        ; =>    This Inner Loop Header: Depth=3
	s_waitcnt lgkmcnt(0)
	v_add_f64 v[16:17], v[11:12], v[9:10]
	ds_cmpstore_rtn_b64 v[16:17], v15, v[16:17], v[11:12] offset:8200
	s_waitcnt lgkmcnt(0)
	v_cmp_eq_u64_e32 vcc_lo, v[16:17], v[11:12]
	v_dual_mov_b32 v11, v16 :: v_dual_mov_b32 v12, v17
	s_or_b32 s7, vcc_lo, s7
	s_delay_alu instid0(SALU_CYCLE_1)
	s_and_not1_b32 exec_lo, exec_lo, s7
	s_cbranch_execnz .LBB247_126
; %bb.127:                              ;   in Loop: Header=BB247_110 Depth=2
	s_or_b32 exec_lo, exec_lo, s7
	s_delay_alu instid0(SALU_CYCLE_1)
	s_and_not1_b32 s6, s6, exec_lo
	s_branch .LBB247_109
.LBB247_128:
	s_or_b32 exec_lo, exec_lo, s35
	s_ashr_i32 s35, s34, 31
	s_mov_b32 s4, exec_lo
	s_lshl_b64 s[0:1], s[34:35], 3
	s_delay_alu instid0(SALU_CYCLE_1) | instskip(SKIP_4) | instid1(SALU_CYCLE_1)
	s_add_u32 s0, s42, s0
	s_addc_u32 s1, s43, s1
	s_load_b128 s[0:3], s[0:1], 0x0
	s_waitcnt lgkmcnt(0)
	s_sub_i32 s3, s2, s0
	v_cmpx_gt_i32_e64 s3, v0
	s_cbranch_execz .LBB247_138
; %bb.129:
	s_sub_u32 s4, s0, s46
	s_subb_u32 s5, s1, 0
	s_sub_i32 s0, s0, s2
	s_and_b32 s1, s3, 7
	s_cmp_lt_u32 s0, -7
	s_mov_b32 s8, 0
	s_cselect_b32 s2, -1, 0
	s_and_b32 s6, s3, -8
	s_cmp_lg_u32 s1, 0
	s_cselect_b32 s7, -1, 0
	s_branch .LBB247_131
.LBB247_130:                            ;   in Loop: Header=BB247_131 Depth=1
	v_mul_lo_u32 v5, v0, 12
	s_delay_alu instid0(VALU_DEP_2) | instskip(SKIP_4) | instid1(VALU_DEP_4)
	v_lshlrev_b64 v[8:9], 2, v[1:2]
	v_lshlrev_b64 v[1:2], 4, v[1:2]
	v_add_nc_u32_e32 v0, 0x400, v0
	s_waitcnt lgkmcnt(0)
	v_add_nc_u32_e32 v3, s46, v3
	v_add_co_u32 v8, vcc_lo, s48, v8
	v_add3_u32 v4, v4, v5, 0x2000
	v_add_co_ci_u32_e32 v9, vcc_lo, s49, v9, vcc_lo
	v_cmp_le_i32_e32 vcc_lo, s3, v0
	v_add_co_u32 v1, s0, s50, v1
	ds_load_2addr_b64 v[4:7], v4 offset1:1
	v_add_co_ci_u32_e64 v2, s0, s51, v2, s0
	s_or_b32 s8, vcc_lo, s8
	global_store_b32 v[8:9], v3, off
	s_waitcnt lgkmcnt(0)
	global_store_b128 v[1:2], v[4:7], off
	s_and_not1_b32 exec_lo, exec_lo, s8
	s_cbranch_execz .LBB247_138
.LBB247_131:                            ; =>This Loop Header: Depth=1
                                        ;     Child Loop BB247_133 Depth 2
                                        ;     Child Loop BB247_137 Depth 2
	v_lshl_add_u32 v4, v0, 2, 0
	v_dual_mov_b32 v1, s4 :: v_dual_mov_b32 v2, s5
	s_and_not1_b32 vcc_lo, exec_lo, s2
	s_mov_b32 s0, 0
	ds_load_b32 v3, v4
	s_cbranch_vccnz .LBB247_135
; %bb.132:                              ;   in Loop: Header=BB247_131 Depth=1
	v_dual_mov_b32 v1, s4 :: v_dual_mov_b32 v2, s5
	s_mov_b32 s9, 0
	s_mov_b32 s10, 0
.LBB247_133:                            ;   Parent Loop BB247_131 Depth=1
                                        ; =>  This Inner Loop Header: Depth=2
	s_delay_alu instid0(SALU_CYCLE_1)
	v_mov_b32_e32 v11, s10
	s_add_i32 s9, s9, 8
	s_add_i32 s10, s10, 32
	s_cmp_eq_u32 s6, s9
	ds_load_2addr_b32 v[5:6], v11 offset1:1
	ds_load_2addr_b32 v[7:8], v11 offset0:2 offset1:3
	ds_load_2addr_b32 v[9:10], v11 offset0:4 offset1:5
	;; [unrolled: 1-line block ×3, first 2 shown]
	s_waitcnt lgkmcnt(3)
	v_cmp_gt_i32_e32 vcc_lo, v3, v5
	v_cndmask_b32_e64 v5, 0, 1, vcc_lo
	v_cmp_gt_i32_e32 vcc_lo, v3, v6
	v_cndmask_b32_e64 v6, 0, 1, vcc_lo
	s_waitcnt lgkmcnt(2)
	v_cmp_gt_i32_e32 vcc_lo, v3, v7
	v_cndmask_b32_e64 v7, 0, 1, vcc_lo
	v_cmp_gt_i32_e32 vcc_lo, v3, v8
	v_cndmask_b32_e64 v8, 0, 1, vcc_lo
	s_waitcnt lgkmcnt(1)
	v_cmp_gt_i32_e32 vcc_lo, v3, v9
	v_cndmask_b32_e64 v9, 0, 1, vcc_lo
	v_add_co_u32 v1, vcc_lo, v1, v5
	v_add_co_ci_u32_e32 v2, vcc_lo, 0, v2, vcc_lo
	v_cmp_gt_i32_e32 vcc_lo, v3, v10
	s_delay_alu instid0(VALU_DEP_3) | instskip(NEXT) | instid1(VALU_DEP_1)
	v_add_co_u32 v1, s0, v1, v6
	v_add_co_ci_u32_e64 v2, s0, 0, v2, s0
	v_cndmask_b32_e64 v5, 0, 1, vcc_lo
	s_delay_alu instid0(VALU_DEP_3) | instskip(NEXT) | instid1(VALU_DEP_3)
	v_add_co_u32 v1, vcc_lo, v1, v7
	v_add_co_ci_u32_e32 v2, vcc_lo, 0, v2, vcc_lo
	s_waitcnt lgkmcnt(0)
	v_cmp_gt_i32_e32 vcc_lo, v3, v11
	s_delay_alu instid0(VALU_DEP_3) | instskip(NEXT) | instid1(VALU_DEP_1)
	v_add_co_u32 v1, s0, v1, v8
	v_add_co_ci_u32_e64 v2, s0, 0, v2, s0
	v_cndmask_b32_e64 v6, 0, 1, vcc_lo
	s_delay_alu instid0(VALU_DEP_3) | instskip(NEXT) | instid1(VALU_DEP_3)
	v_add_co_u32 v1, vcc_lo, v1, v9
	v_add_co_ci_u32_e32 v2, vcc_lo, 0, v2, vcc_lo
	v_cmp_gt_i32_e32 vcc_lo, v3, v12
	s_delay_alu instid0(VALU_DEP_3) | instskip(NEXT) | instid1(VALU_DEP_1)
	v_add_co_u32 v1, s0, v1, v5
	v_add_co_ci_u32_e64 v2, s0, 0, v2, s0
	v_cndmask_b32_e64 v5, 0, 1, vcc_lo
	s_delay_alu instid0(VALU_DEP_3) | instskip(NEXT) | instid1(VALU_DEP_3)
	v_add_co_u32 v1, vcc_lo, v1, v6
	v_add_co_ci_u32_e32 v2, vcc_lo, 0, v2, vcc_lo
	s_delay_alu instid0(VALU_DEP_2) | instskip(NEXT) | instid1(VALU_DEP_2)
	v_add_co_u32 v1, vcc_lo, v1, v5
	v_add_co_ci_u32_e32 v2, vcc_lo, 0, v2, vcc_lo
	s_cbranch_scc0 .LBB247_133
; %bb.134:                              ;   in Loop: Header=BB247_131 Depth=1
	s_mov_b32 s0, s6
.LBB247_135:                            ;   in Loop: Header=BB247_131 Depth=1
	s_and_not1_b32 vcc_lo, exec_lo, s7
	s_cbranch_vccnz .LBB247_130
; %bb.136:                              ;   in Loop: Header=BB247_131 Depth=1
	s_lshl_b32 s0, s0, 2
	s_mov_b32 s9, s1
	s_add_i32 s0, s0, 0
.LBB247_137:                            ;   Parent Loop BB247_131 Depth=1
                                        ; =>  This Inner Loop Header: Depth=2
	s_delay_alu instid0(SALU_CYCLE_1)
	v_mov_b32_e32 v5, s0
	s_add_i32 s9, s9, -1
	s_add_i32 s0, s0, 4
	s_cmp_lg_u32 s9, 0
	ds_load_b32 v5, v5
	s_waitcnt lgkmcnt(0)
	v_cmp_gt_i32_e32 vcc_lo, v3, v5
	v_cndmask_b32_e64 v5, 0, 1, vcc_lo
	s_delay_alu instid0(VALU_DEP_1)
	v_add_co_u32 v1, vcc_lo, v1, v5
	v_add_co_ci_u32_e32 v2, vcc_lo, 0, v2, vcc_lo
	s_cbranch_scc1 .LBB247_137
	s_branch .LBB247_130
.LBB247_138:
	s_nop 0
	s_sendmsg sendmsg(MSG_DEALLOC_VGPRS)
	s_endpgm
	.section	.rodata,"a",@progbits
	.p2align	6, 0x0
	.amdhsa_kernel _ZN9rocsparseL26csrgemm_fill_block_per_rowILj1024ELj32ELj2048ELj137ELj32Eli21rocsparse_complex_numIdEEEvT5_PKS3_S5_NS_24const_host_device_scalarIT6_EEPKT4_S5_PKS7_SB_S5_SD_S8_SB_S5_SD_SB_PS3_PS7_21rocsparse_index_base_SG_SG_SG_bbb
		.amdhsa_group_segment_fixed_size 0
		.amdhsa_private_segment_fixed_size 40
		.amdhsa_kernarg_size 172
		.amdhsa_user_sgpr_count 15
		.amdhsa_user_sgpr_dispatch_ptr 0
		.amdhsa_user_sgpr_queue_ptr 0
		.amdhsa_user_sgpr_kernarg_segment_ptr 1
		.amdhsa_user_sgpr_dispatch_id 0
		.amdhsa_user_sgpr_private_segment_size 0
		.amdhsa_wavefront_size32 1
		.amdhsa_uses_dynamic_stack 0
		.amdhsa_enable_private_segment 1
		.amdhsa_system_sgpr_workgroup_id_x 1
		.amdhsa_system_sgpr_workgroup_id_y 0
		.amdhsa_system_sgpr_workgroup_id_z 0
		.amdhsa_system_sgpr_workgroup_info 0
		.amdhsa_system_vgpr_workitem_id 0
		.amdhsa_next_free_vgpr 36
		.amdhsa_next_free_sgpr 52
		.amdhsa_reserve_vcc 1
		.amdhsa_float_round_mode_32 0
		.amdhsa_float_round_mode_16_64 0
		.amdhsa_float_denorm_mode_32 3
		.amdhsa_float_denorm_mode_16_64 3
		.amdhsa_dx10_clamp 1
		.amdhsa_ieee_mode 1
		.amdhsa_fp16_overflow 0
		.amdhsa_workgroup_processor_mode 1
		.amdhsa_memory_ordered 1
		.amdhsa_forward_progress 0
		.amdhsa_shared_vgpr_count 0
		.amdhsa_exception_fp_ieee_invalid_op 0
		.amdhsa_exception_fp_denorm_src 0
		.amdhsa_exception_fp_ieee_div_zero 0
		.amdhsa_exception_fp_ieee_overflow 0
		.amdhsa_exception_fp_ieee_underflow 0
		.amdhsa_exception_fp_ieee_inexact 0
		.amdhsa_exception_int_div_zero 0
	.end_amdhsa_kernel
	.section	.text._ZN9rocsparseL26csrgemm_fill_block_per_rowILj1024ELj32ELj2048ELj137ELj32Eli21rocsparse_complex_numIdEEEvT5_PKS3_S5_NS_24const_host_device_scalarIT6_EEPKT4_S5_PKS7_SB_S5_SD_S8_SB_S5_SD_SB_PS3_PS7_21rocsparse_index_base_SG_SG_SG_bbb,"axG",@progbits,_ZN9rocsparseL26csrgemm_fill_block_per_rowILj1024ELj32ELj2048ELj137ELj32Eli21rocsparse_complex_numIdEEEvT5_PKS3_S5_NS_24const_host_device_scalarIT6_EEPKT4_S5_PKS7_SB_S5_SD_S8_SB_S5_SD_SB_PS3_PS7_21rocsparse_index_base_SG_SG_SG_bbb,comdat
.Lfunc_end247:
	.size	_ZN9rocsparseL26csrgemm_fill_block_per_rowILj1024ELj32ELj2048ELj137ELj32Eli21rocsparse_complex_numIdEEEvT5_PKS3_S5_NS_24const_host_device_scalarIT6_EEPKT4_S5_PKS7_SB_S5_SD_S8_SB_S5_SD_SB_PS3_PS7_21rocsparse_index_base_SG_SG_SG_bbb, .Lfunc_end247-_ZN9rocsparseL26csrgemm_fill_block_per_rowILj1024ELj32ELj2048ELj137ELj32Eli21rocsparse_complex_numIdEEEvT5_PKS3_S5_NS_24const_host_device_scalarIT6_EEPKT4_S5_PKS7_SB_S5_SD_S8_SB_S5_SD_SB_PS3_PS7_21rocsparse_index_base_SG_SG_SG_bbb
                                        ; -- End function
	.section	.AMDGPU.csdata,"",@progbits
; Kernel info:
; codeLenInByte = 5168
; NumSgprs: 54
; NumVgprs: 36
; ScratchSize: 40
; MemoryBound: 0
; FloatMode: 240
; IeeeMode: 1
; LDSByteSize: 0 bytes/workgroup (compile time only)
; SGPRBlocks: 6
; VGPRBlocks: 4
; NumSGPRsForWavesPerEU: 54
; NumVGPRsForWavesPerEU: 36
; Occupancy: 16
; WaveLimiterHint : 1
; COMPUTE_PGM_RSRC2:SCRATCH_EN: 1
; COMPUTE_PGM_RSRC2:USER_SGPR: 15
; COMPUTE_PGM_RSRC2:TRAP_HANDLER: 0
; COMPUTE_PGM_RSRC2:TGID_X_EN: 1
; COMPUTE_PGM_RSRC2:TGID_Y_EN: 0
; COMPUTE_PGM_RSRC2:TGID_Z_EN: 0
; COMPUTE_PGM_RSRC2:TIDIG_COMP_CNT: 0
	.section	.text._ZN9rocsparseL26csrgemm_fill_block_per_rowILj1024ELj32ELj2048ELj137ELj64Eli21rocsparse_complex_numIdEEEvT5_PKS3_S5_NS_24const_host_device_scalarIT6_EEPKT4_S5_PKS7_SB_S5_SD_S8_SB_S5_SD_SB_PS3_PS7_21rocsparse_index_base_SG_SG_SG_bbb,"axG",@progbits,_ZN9rocsparseL26csrgemm_fill_block_per_rowILj1024ELj32ELj2048ELj137ELj64Eli21rocsparse_complex_numIdEEEvT5_PKS3_S5_NS_24const_host_device_scalarIT6_EEPKT4_S5_PKS7_SB_S5_SD_S8_SB_S5_SD_SB_PS3_PS7_21rocsparse_index_base_SG_SG_SG_bbb,comdat
	.globl	_ZN9rocsparseL26csrgemm_fill_block_per_rowILj1024ELj32ELj2048ELj137ELj64Eli21rocsparse_complex_numIdEEEvT5_PKS3_S5_NS_24const_host_device_scalarIT6_EEPKT4_S5_PKS7_SB_S5_SD_S8_SB_S5_SD_SB_PS3_PS7_21rocsparse_index_base_SG_SG_SG_bbb ; -- Begin function _ZN9rocsparseL26csrgemm_fill_block_per_rowILj1024ELj32ELj2048ELj137ELj64Eli21rocsparse_complex_numIdEEEvT5_PKS3_S5_NS_24const_host_device_scalarIT6_EEPKT4_S5_PKS7_SB_S5_SD_S8_SB_S5_SD_SB_PS3_PS7_21rocsparse_index_base_SG_SG_SG_bbb
	.p2align	8
	.type	_ZN9rocsparseL26csrgemm_fill_block_per_rowILj1024ELj32ELj2048ELj137ELj64Eli21rocsparse_complex_numIdEEEvT5_PKS3_S5_NS_24const_host_device_scalarIT6_EEPKT4_S5_PKS7_SB_S5_SD_S8_SB_S5_SD_SB_PS3_PS7_21rocsparse_index_base_SG_SG_SG_bbb,@function
_ZN9rocsparseL26csrgemm_fill_block_per_rowILj1024ELj32ELj2048ELj137ELj64Eli21rocsparse_complex_numIdEEEvT5_PKS3_S5_NS_24const_host_device_scalarIT6_EEPKT4_S5_PKS7_SB_S5_SD_S8_SB_S5_SD_SB_PS3_PS7_21rocsparse_index_base_SG_SG_SG_bbb: ; @_ZN9rocsparseL26csrgemm_fill_block_per_rowILj1024ELj32ELj2048ELj137ELj64Eli21rocsparse_complex_numIdEEEvT5_PKS3_S5_NS_24const_host_device_scalarIT6_EEPKT4_S5_PKS7_SB_S5_SD_S8_SB_S5_SD_SB_PS3_PS7_21rocsparse_index_base_SG_SG_SG_bbb
; %bb.0:
	s_clause 0x3
	s_load_b32 s14, s[0:1], 0xa8
	s_load_b128 s[4:7], s[0:1], 0x18
	s_load_b128 s[40:43], s[0:1], 0x58
	;; [unrolled: 1-line block ×3, first 2 shown]
	v_mov_b32_e32 v1, 0
	v_mov_b32_e32 v2, 0
	s_waitcnt lgkmcnt(0)
	s_bitcmp1_b32 s14, 0
	v_mov_b32_e32 v3, s4
	s_cselect_b32 s12, -1, 0
	s_bitcmp1_b32 s14, 16
	v_dual_mov_b32 v6, v2 :: v_dual_mov_b32 v5, v1
	s_cselect_b32 s2, -1, 0
	v_mov_b32_e32 v4, s5
	s_xor_b32 s13, s2, -1
	v_dual_mov_b32 v9, s40 :: v_dual_mov_b32 v10, s41
	v_cndmask_b32_e64 v7, 0, 1, s13
	s_bitcmp0_b32 s14, 0
	s_clause 0x1
	scratch_store_b64 off, v[3:4], off offset:16
	scratch_store_b64 off, v[9:10], off offset:24
	v_cmp_ne_u32_e32 vcc_lo, 1, v7
	v_dual_mov_b32 v8, v2 :: v_dual_mov_b32 v7, v1
	s_cbranch_scc1 .LBB248_3
; %bb.1:
	s_mov_b64 s[8:9], src_private_base
	s_and_b32 s3, s2, exec_lo
	s_cselect_b32 s3, s9, s5
	s_delay_alu instid0(SALU_CYCLE_1) | instskip(SKIP_2) | instid1(VALU_DEP_2)
	v_dual_mov_b32 v3, 16 :: v_dual_mov_b32 v4, s3
	v_dual_mov_b32 v8, s7 :: v_dual_mov_b32 v7, s6
	s_and_b32 vcc_lo, exec_lo, vcc_lo
	v_cndmask_b32_e64 v3, s4, v3, s2
	flat_load_b64 v[5:6], v[3:4]
	s_cbranch_vccnz .LBB248_3
; %bb.2:
	v_dual_mov_b32 v3, s4 :: v_dual_mov_b32 v4, s5
	flat_load_b64 v[7:8], v[3:4] offset:8
.LBB248_3:
	s_clause 0x4
	s_load_b128 s[28:31], s[0:1], 0x88
	s_load_b256 s[16:23], s[0:1], 0x68
	s_load_b128 s[36:39], s[0:1], 0x48
	s_load_b128 s[44:47], s[0:1], 0x8
	s_load_b256 s[4:11], s[0:1], 0x28
	s_bitcmp1_b32 s14, 8
	v_dual_mov_b32 v4, v2 :: v_dual_mov_b32 v3, v1
	s_cselect_b32 s3, -1, 0
	s_bfe_u32 s14, s14, 0x10008
	s_delay_alu instid0(SALU_CYCLE_1)
	s_cmp_eq_u32 s14, 0
	s_cbranch_scc1 .LBB248_6
; %bb.4:
	s_mov_b64 s[34:35], src_private_base
	s_and_b32 s14, s2, exec_lo
	s_cselect_b32 s14, s35, s41
	s_delay_alu instid0(SALU_CYCLE_1) | instskip(SKIP_1) | instid1(VALU_DEP_1)
	v_dual_mov_b32 v1, 24 :: v_dual_mov_b32 v2, s14
	s_and_not1_b32 vcc_lo, exec_lo, s13
	v_cndmask_b32_e64 v1, s40, v1, s2
	flat_load_b64 v[3:4], v[1:2]
	v_dual_mov_b32 v1, s42 :: v_dual_mov_b32 v2, s43
	s_cbranch_vccnz .LBB248_6
; %bb.5:
	v_dual_mov_b32 v1, s40 :: v_dual_mov_b32 v2, s41
	flat_load_b64 v[1:2], v[1:2] offset:8
.LBB248_6:
	s_load_b32 s33, s[0:1], 0x0
	s_mov_b32 s0, 0
	v_or_b32_e32 v25, 0xfffffc00, v0
	s_mov_b32 s1, s0
	s_delay_alu instid0(SALU_CYCLE_1) | instskip(SKIP_3) | instid1(VALU_DEP_2)
	v_dual_mov_b32 v10, s1 :: v_dual_lshlrev_b32 v11, 4, v0
	v_lshl_add_u32 v26, v0, 2, 0
	s_mov_b32 s34, s0
	s_mov_b32 s35, s0
	v_add3_u32 v27, v11, 0, 0x2000
	v_dual_mov_b32 v11, s34 :: v_dual_mov_b32 v14, v25
	v_dual_mov_b32 v9, s0 :: v_dual_mov_b32 v12, s35
	s_delay_alu instid0(VALU_DEP_3)
	v_dual_mov_b32 v13, v26 :: v_dual_mov_b32 v16, v27
	s_waitcnt lgkmcnt(0)
	v_mov_b32_e32 v15, s33
.LBB248_7:                              ; =>This Inner Loop Header: Depth=1
	v_add_co_u32 v14, s1, 0x400, v14
	s_delay_alu instid0(VALU_DEP_1)
	s_xor_b32 s1, s1, -1
	ds_store_b32 v13, v15
	ds_store_2addr_b64 v16, v[9:10], v[11:12] offset1:1
	v_add_nc_u32_e32 v16, 0x4000, v16
	v_add_nc_u32_e32 v13, 0x1000, v13
	s_and_b32 s1, exec_lo, s1
	s_delay_alu instid0(SALU_CYCLE_1) | instskip(NEXT) | instid1(SALU_CYCLE_1)
	s_or_b32 s0, s1, s0
	s_and_not1_b32 exec_lo, exec_lo, s0
	s_cbranch_execnz .LBB248_7
; %bb.8:
	s_or_b32 exec_lo, exec_lo, s0
	s_waitcnt vmcnt(0) lgkmcnt(0)
	s_waitcnt_vscnt null, 0x0
	s_barrier
	buffer_gl0_inv
	s_load_b32 s0, s[44:45], 0x0
	s_mov_b32 s1, 0
	s_waitcnt lgkmcnt(0)
	s_add_i32 s0, s0, s15
	s_delay_alu instid0(SALU_CYCLE_1) | instskip(NEXT) | instid1(SALU_CYCLE_1)
	s_lshl_b64 s[0:1], s[0:1], 2
	s_add_u32 s0, s46, s0
	s_addc_u32 s1, s47, s1
	s_and_b32 vcc_lo, exec_lo, s12
	s_load_b32 s34, s[0:1], 0x0
	s_cbranch_vccz .LBB248_36
; %bb.9:
	s_waitcnt lgkmcnt(0)
	s_ashr_i32 s35, s34, 31
	v_lshrrev_b32_e32 v9, 5, v0
	s_lshl_b64 s[0:1], s[34:35], 3
	s_mov_b32 s2, exec_lo
	s_add_u32 s0, s4, s0
	s_addc_u32 s1, s5, s1
	s_load_b128 s[12:15], s[0:1], 0x0
	v_sub_co_u32 v9, s0, v9, s24
	s_delay_alu instid0(VALU_DEP_1) | instskip(SKIP_1) | instid1(VALU_DEP_2)
	v_sub_co_ci_u32_e64 v10, null, 0, 0, s0
	s_waitcnt lgkmcnt(0)
	v_add_co_u32 v9, vcc_lo, s12, v9
	s_delay_alu instid0(VALU_DEP_2)
	v_add_co_ci_u32_e32 v10, vcc_lo, s13, v10, vcc_lo
	s_sub_u32 s0, s14, s24
	s_subb_u32 s1, s15, 0
	s_delay_alu instid0(VALU_DEP_1) | instid1(SALU_CYCLE_1)
	v_cmpx_gt_i64_e64 s[0:1], v[9:10]
	s_cbranch_execz .LBB248_35
; %bb.10:
	v_and_b32_e32 v11, 31, v0
	s_mov_b32 s5, s25
	s_delay_alu instid0(VALU_DEP_1) | instskip(NEXT) | instid1(VALU_DEP_1)
	v_sub_co_u32 v28, s4, v11, s25
	v_sub_co_ci_u32_e64 v29, null, 0, 0, s4
	s_mov_b32 s4, 0
	s_branch .LBB248_12
.LBB248_11:                             ;   in Loop: Header=BB248_12 Depth=1
	s_or_b32 exec_lo, exec_lo, s12
	v_add_co_u32 v9, vcc_lo, v9, 32
	v_add_co_ci_u32_e32 v10, vcc_lo, 0, v10, vcc_lo
	s_delay_alu instid0(VALU_DEP_1) | instskip(SKIP_1) | instid1(SALU_CYCLE_1)
	v_cmp_le_i64_e32 vcc_lo, s[0:1], v[9:10]
	s_or_b32 s4, vcc_lo, s4
	s_and_not1_b32 exec_lo, exec_lo, s4
	s_cbranch_execz .LBB248_35
.LBB248_12:                             ; =>This Loop Header: Depth=1
                                        ;     Child Loop BB248_15 Depth 2
                                        ;       Child Loop BB248_17 Depth 3
                                        ;         Child Loop BB248_23 Depth 4
                                        ;         Child Loop BB248_25 Depth 4
	;; [unrolled: 1-line block ×4, first 2 shown]
	v_lshlrev_b64 v[11:12], 2, v[9:10]
	s_mov_b32 s12, exec_lo
	s_delay_alu instid0(VALU_DEP_1) | instskip(NEXT) | instid1(VALU_DEP_2)
	v_add_co_u32 v11, vcc_lo, s6, v11
	v_add_co_ci_u32_e32 v12, vcc_lo, s7, v12, vcc_lo
	global_load_b32 v11, v[11:12], off
	s_waitcnt vmcnt(0)
	v_subrev_nc_u32_e32 v11, s24, v11
	s_delay_alu instid0(VALU_DEP_1) | instskip(NEXT) | instid1(VALU_DEP_1)
	v_ashrrev_i32_e32 v12, 31, v11
	v_lshlrev_b64 v[11:12], 3, v[11:12]
	s_delay_alu instid0(VALU_DEP_1) | instskip(NEXT) | instid1(VALU_DEP_2)
	v_add_co_u32 v11, vcc_lo, s10, v11
	v_add_co_ci_u32_e32 v12, vcc_lo, s11, v12, vcc_lo
	global_load_b128 v[13:16], v[11:12], off
	s_waitcnt vmcnt(0)
	v_sub_co_u32 v11, vcc_lo, v15, s5
	v_subrev_co_ci_u32_e32 v12, vcc_lo, 0, v16, vcc_lo
	v_add_co_u32 v13, vcc_lo, v13, v28
	v_add_co_ci_u32_e32 v14, vcc_lo, v14, v29, vcc_lo
	s_delay_alu instid0(VALU_DEP_1)
	v_cmpx_lt_i64_e64 v[13:14], v[11:12]
	s_cbranch_execz .LBB248_11
; %bb.13:                               ;   in Loop: Header=BB248_12 Depth=1
	v_lshlrev_b64 v[15:16], 4, v[9:10]
	s_mov_b32 s13, 0
	s_delay_alu instid0(VALU_DEP_1) | instskip(NEXT) | instid1(VALU_DEP_2)
	v_add_co_u32 v15, vcc_lo, s8, v15
	v_add_co_ci_u32_e32 v16, vcc_lo, s9, v16, vcc_lo
	global_load_b128 v[17:20], v[15:16], off
	s_waitcnt vmcnt(0)
	v_mul_f64 v[15:16], v[19:20], -v[7:8]
	v_mul_f64 v[19:20], v[5:6], v[19:20]
	s_delay_alu instid0(VALU_DEP_2) | instskip(NEXT) | instid1(VALU_DEP_2)
	v_fma_f64 v[15:16], v[5:6], v[17:18], v[15:16]
	v_fma_f64 v[17:18], v[7:8], v[17:18], v[19:20]
	s_branch .LBB248_15
.LBB248_14:                             ;   in Loop: Header=BB248_15 Depth=2
	s_or_b32 exec_lo, exec_lo, s14
	v_add_co_u32 v13, vcc_lo, v13, 32
	v_add_co_ci_u32_e32 v14, vcc_lo, 0, v14, vcc_lo
	s_delay_alu instid0(VALU_DEP_1) | instskip(SKIP_1) | instid1(SALU_CYCLE_1)
	v_cmp_ge_i64_e32 vcc_lo, v[13:14], v[11:12]
	s_or_b32 s13, vcc_lo, s13
	s_and_not1_b32 exec_lo, exec_lo, s13
	s_cbranch_execz .LBB248_11
.LBB248_15:                             ;   Parent Loop BB248_12 Depth=1
                                        ; =>  This Loop Header: Depth=2
                                        ;       Child Loop BB248_17 Depth 3
                                        ;         Child Loop BB248_23 Depth 4
                                        ;         Child Loop BB248_25 Depth 4
	;; [unrolled: 1-line block ×4, first 2 shown]
	v_lshlrev_b64 v[19:20], 4, v[13:14]
	s_mov_b32 s14, 0
	s_delay_alu instid0(VALU_DEP_1) | instskip(NEXT) | instid1(VALU_DEP_2)
	v_add_co_u32 v19, vcc_lo, s38, v19
	v_add_co_ci_u32_e32 v20, vcc_lo, s39, v20, vcc_lo
	global_load_b128 v[21:24], v[19:20], off
	v_lshlrev_b64 v[19:20], 2, v[13:14]
	s_delay_alu instid0(VALU_DEP_1) | instskip(NEXT) | instid1(VALU_DEP_2)
	v_add_co_u32 v19, vcc_lo, s36, v19
	v_add_co_ci_u32_e32 v20, vcc_lo, s37, v20, vcc_lo
	global_load_b32 v30, v[19:20], off
	s_waitcnt vmcnt(1)
	v_mul_f64 v[19:20], v[23:24], -v[17:18]
	v_mul_f64 v[23:24], v[15:16], v[23:24]
	s_waitcnt vmcnt(0)
	v_subrev_nc_u32_e32 v30, s25, v30
	s_delay_alu instid0(VALU_DEP_3) | instskip(NEXT) | instid1(VALU_DEP_3)
	v_fma_f64 v[19:20], v[15:16], v[21:22], v[19:20]
	v_fma_f64 v[21:22], v[17:18], v[21:22], v[23:24]
	s_delay_alu instid0(VALU_DEP_3) | instskip(NEXT) | instid1(VALU_DEP_1)
	v_mul_lo_u32 v23, 0x89, v30
	v_and_b32_e32 v31, 0x7ff, v23
	s_branch .LBB248_17
.LBB248_16:                             ;   in Loop: Header=BB248_17 Depth=3
	s_or_b32 exec_lo, exec_lo, s15
	s_xor_b32 s15, s35, -1
	s_delay_alu instid0(SALU_CYCLE_1) | instskip(NEXT) | instid1(SALU_CYCLE_1)
	s_and_b32 s15, exec_lo, s15
	s_or_b32 s14, s15, s14
	s_delay_alu instid0(SALU_CYCLE_1)
	s_and_not1_b32 exec_lo, exec_lo, s14
	s_cbranch_execz .LBB248_14
.LBB248_17:                             ;   Parent Loop BB248_12 Depth=1
                                        ;     Parent Loop BB248_15 Depth=2
                                        ; =>    This Loop Header: Depth=3
                                        ;         Child Loop BB248_23 Depth 4
                                        ;         Child Loop BB248_25 Depth 4
	;; [unrolled: 1-line block ×4, first 2 shown]
	s_delay_alu instid0(VALU_DEP_1)
	v_lshl_add_u32 v23, v31, 2, 0
	s_mov_b32 s15, exec_lo
                                        ; implicit-def: $sgpr35
	ds_load_b32 v24, v23
	s_waitcnt lgkmcnt(0)
	v_cmpx_ne_u32_e64 v24, v30
	s_xor_b32 s15, exec_lo, s15
	s_cbranch_execz .LBB248_29
; %bb.18:                               ;   in Loop: Header=BB248_17 Depth=3
	s_mov_b32 s40, exec_lo
                                        ; implicit-def: $sgpr35
	v_cmpx_ne_u32_e64 s33, v24
	s_xor_b32 s40, exec_lo, s40
; %bb.19:                               ;   in Loop: Header=BB248_17 Depth=3
	v_add_nc_u32_e32 v23, 1, v31
	s_mov_b32 s35, -1
	s_delay_alu instid0(VALU_DEP_1)
	v_and_b32_e32 v31, 0x7ff, v23
                                        ; implicit-def: $vgpr23
; %bb.20:                               ;   in Loop: Header=BB248_17 Depth=3
	s_and_not1_saveexec_b32 s40, s40
	s_cbranch_execz .LBB248_28
; %bb.21:                               ;   in Loop: Header=BB248_17 Depth=3
	v_mov_b32_e32 v24, s33
	s_mov_b32 s42, -1
	s_mov_b32 s41, exec_lo
	ds_cmpstore_rtn_b32 v24, v23, v30, v24
	s_waitcnt lgkmcnt(0)
	v_cmpx_eq_u32_e64 s33, v24
	s_cbranch_execz .LBB248_27
; %bb.22:                               ;   in Loop: Header=BB248_17 Depth=3
	v_mul_lo_u32 v24, v31, 12
	s_mov_b32 s42, 0
	s_delay_alu instid0(VALU_DEP_1)
	v_add_nc_u32_e32 v32, v23, v24
	ds_load_b64 v[23:24], v32 offset:8192
.LBB248_23:                             ;   Parent Loop BB248_12 Depth=1
                                        ;     Parent Loop BB248_15 Depth=2
                                        ;       Parent Loop BB248_17 Depth=3
                                        ; =>      This Inner Loop Header: Depth=4
	s_waitcnt lgkmcnt(0)
	v_add_f64 v[33:34], v[23:24], v[19:20]
	ds_cmpstore_rtn_b64 v[33:34], v32, v[33:34], v[23:24] offset:8192
	s_waitcnt lgkmcnt(0)
	v_cmp_eq_u64_e32 vcc_lo, v[33:34], v[23:24]
	v_dual_mov_b32 v23, v33 :: v_dual_mov_b32 v24, v34
	s_or_b32 s42, vcc_lo, s42
	s_delay_alu instid0(SALU_CYCLE_1)
	s_and_not1_b32 exec_lo, exec_lo, s42
	s_cbranch_execnz .LBB248_23
; %bb.24:                               ;   in Loop: Header=BB248_17 Depth=3
	s_or_b32 exec_lo, exec_lo, s42
	ds_load_b64 v[23:24], v32 offset:8200
	s_mov_b32 s42, 0
.LBB248_25:                             ;   Parent Loop BB248_12 Depth=1
                                        ;     Parent Loop BB248_15 Depth=2
                                        ;       Parent Loop BB248_17 Depth=3
                                        ; =>      This Inner Loop Header: Depth=4
	s_waitcnt lgkmcnt(0)
	v_add_f64 v[33:34], v[23:24], v[21:22]
	ds_cmpstore_rtn_b64 v[33:34], v32, v[33:34], v[23:24] offset:8200
	s_waitcnt lgkmcnt(0)
	v_cmp_eq_u64_e32 vcc_lo, v[33:34], v[23:24]
	v_dual_mov_b32 v23, v33 :: v_dual_mov_b32 v24, v34
	s_or_b32 s42, vcc_lo, s42
	s_delay_alu instid0(SALU_CYCLE_1)
	s_and_not1_b32 exec_lo, exec_lo, s42
	s_cbranch_execnz .LBB248_25
; %bb.26:                               ;   in Loop: Header=BB248_17 Depth=3
	s_or_b32 exec_lo, exec_lo, s42
	s_delay_alu instid0(SALU_CYCLE_1)
	s_xor_b32 s42, exec_lo, -1
.LBB248_27:                             ;   in Loop: Header=BB248_17 Depth=3
	s_or_b32 exec_lo, exec_lo, s41
	s_delay_alu instid0(SALU_CYCLE_1) | instskip(SKIP_1) | instid1(SALU_CYCLE_1)
	s_and_not1_b32 s35, s35, exec_lo
	s_and_b32 s41, s42, exec_lo
	s_or_b32 s35, s35, s41
.LBB248_28:                             ;   in Loop: Header=BB248_17 Depth=3
	s_or_b32 exec_lo, exec_lo, s40
	s_delay_alu instid0(SALU_CYCLE_1)
	s_and_b32 s35, s35, exec_lo
                                        ; implicit-def: $vgpr23
.LBB248_29:                             ;   in Loop: Header=BB248_17 Depth=3
	s_and_not1_saveexec_b32 s15, s15
	s_cbranch_execz .LBB248_16
; %bb.30:                               ;   in Loop: Header=BB248_17 Depth=3
	v_mul_lo_u32 v24, v31, 12
	s_mov_b32 s40, 0
	s_delay_alu instid0(VALU_DEP_1)
	v_add_nc_u32_e32 v32, v23, v24
	ds_load_b64 v[23:24], v32 offset:8192
.LBB248_31:                             ;   Parent Loop BB248_12 Depth=1
                                        ;     Parent Loop BB248_15 Depth=2
                                        ;       Parent Loop BB248_17 Depth=3
                                        ; =>      This Inner Loop Header: Depth=4
	s_waitcnt lgkmcnt(0)
	v_add_f64 v[33:34], v[23:24], v[19:20]
	ds_cmpstore_rtn_b64 v[33:34], v32, v[33:34], v[23:24] offset:8192
	s_waitcnt lgkmcnt(0)
	v_cmp_eq_u64_e32 vcc_lo, v[33:34], v[23:24]
	v_dual_mov_b32 v23, v33 :: v_dual_mov_b32 v24, v34
	s_or_b32 s40, vcc_lo, s40
	s_delay_alu instid0(SALU_CYCLE_1)
	s_and_not1_b32 exec_lo, exec_lo, s40
	s_cbranch_execnz .LBB248_31
; %bb.32:                               ;   in Loop: Header=BB248_17 Depth=3
	s_or_b32 exec_lo, exec_lo, s40
	ds_load_b64 v[23:24], v32 offset:8200
	s_mov_b32 s40, 0
.LBB248_33:                             ;   Parent Loop BB248_12 Depth=1
                                        ;     Parent Loop BB248_15 Depth=2
                                        ;       Parent Loop BB248_17 Depth=3
                                        ; =>      This Inner Loop Header: Depth=4
	s_waitcnt lgkmcnt(0)
	v_add_f64 v[33:34], v[23:24], v[21:22]
	ds_cmpstore_rtn_b64 v[33:34], v32, v[33:34], v[23:24] offset:8200
	s_waitcnt lgkmcnt(0)
	v_cmp_eq_u64_e32 vcc_lo, v[33:34], v[23:24]
	v_dual_mov_b32 v23, v33 :: v_dual_mov_b32 v24, v34
	s_or_b32 s40, vcc_lo, s40
	s_delay_alu instid0(SALU_CYCLE_1)
	s_and_not1_b32 exec_lo, exec_lo, s40
	s_cbranch_execnz .LBB248_33
; %bb.34:                               ;   in Loop: Header=BB248_17 Depth=3
	s_or_b32 exec_lo, exec_lo, s40
	s_delay_alu instid0(SALU_CYCLE_1)
	s_and_not1_b32 s35, s35, exec_lo
	s_branch .LBB248_16
.LBB248_35:
	s_or_b32 exec_lo, exec_lo, s2
.LBB248_36:
	s_delay_alu instid0(SALU_CYCLE_1)
	s_and_not1_b32 vcc_lo, exec_lo, s3
	s_cbranch_vccnz .LBB248_39
; %bb.37:
	s_waitcnt lgkmcnt(0)
	s_ashr_i32 s35, s34, 31
	v_sub_co_u32 v5, s4, v0, s27
	s_lshl_b64 s[0:1], s[34:35], 3
	v_sub_co_ci_u32_e64 v6, null, 0, 0, s4
	s_add_u32 s0, s16, s0
	s_addc_u32 s1, s17, s1
	s_load_b128 s[0:3], s[0:1], 0x0
	s_waitcnt lgkmcnt(0)
	v_add_co_u32 v5, vcc_lo, s0, v5
	v_add_co_ci_u32_e32 v6, vcc_lo, s1, v6, vcc_lo
	s_sub_u32 s0, s2, s27
	s_subb_u32 s1, s3, 0
	s_mov_b32 s3, 0
	s_mov_b32 s2, exec_lo
	v_cmpx_gt_i64_e64 s[0:1], v[5:6]
	s_cbranch_execnz .LBB248_76
.LBB248_38:
	s_or_b32 exec_lo, exec_lo, s2
.LBB248_39:
	v_mbcnt_lo_u32_b32 v1, -1, 0
	v_lshrrev_b32_e32 v2, 4, v0
	v_cmp_eq_u32_e32 vcc_lo, 0x3ff, v0
	v_cmp_lt_u32_e64 s0, 63, v0
	v_cmp_lt_u32_e64 s1, 0x7f, v0
	v_xor_b32_e32 v1, 63, v1
	v_dual_mov_b32 v4, 0 :: v_dual_and_b32 v3, 60, v2
	v_cmp_lt_u32_e64 s2, 0xbf, v0
	v_cmp_lt_u32_e64 s3, 0xff, v0
	s_delay_alu instid0(VALU_DEP_4) | instskip(NEXT) | instid1(VALU_DEP_4)
	v_lshrrev_b64 v[1:2], v1, -1
	v_dual_mov_b32 v3, 0 :: v_dual_add_nc_u32 v2, 0, v3
	v_cmp_lt_u32_e64 s4, 0x13f, v0
	v_cmp_lt_u32_e64 s5, 0x17f, v0
	;; [unrolled: 1-line block ×11, first 2 shown]
	s_mov_b32 s16, 0
	s_waitcnt lgkmcnt(0)
	s_barrier
	buffer_gl0_inv
	s_branch .LBB248_41
.LBB248_40:                             ;   in Loop: Header=BB248_41 Depth=1
	s_or_b32 exec_lo, exec_lo, s15
	s_waitcnt lgkmcnt(0)
	s_barrier
	buffer_gl0_inv
	ds_load_b32 v5, v3 offset:41020
	v_add_co_u32 v25, s15, 0x400, v25
	s_delay_alu instid0(VALU_DEP_1) | instskip(SKIP_3) | instid1(SALU_CYCLE_1)
	s_xor_b32 s15, s15, -1
	v_add_nc_u32_e32 v27, 0x4000, v27
	v_add_nc_u32_e32 v26, 0x1000, v26
	s_and_b32 s15, exec_lo, s15
	s_or_b32 s16, s15, s16
	s_waitcnt lgkmcnt(0)
	v_add_nc_u32_e32 v4, v5, v4
	s_and_not1_b32 exec_lo, exec_lo, s16
	s_cbranch_execz .LBB248_96
.LBB248_41:                             ; =>This Inner Loop Header: Depth=1
	ds_load_b32 v5, v26
	ds_load_2addr_b64 v[6:9], v27 offset1:1
	s_waitcnt lgkmcnt(1)
	v_cmp_gt_i32_e64 s15, s33, v5
	s_waitcnt lgkmcnt(0)
	scratch_store_b128 off, v[6:9], off
	s_waitcnt_vscnt null, 0x0
	s_barrier
	buffer_gl0_inv
	s_bcnt1_i32_b32 s17, s15
	s_delay_alu instid0(SALU_CYCLE_1) | instskip(NEXT) | instid1(VALU_DEP_1)
	v_dual_mov_b32 v7, s17 :: v_dual_and_b32 v6, s15, v1
	v_bcnt_u32_b32 v6, v6, 0
	ds_store_b32 v2, v7 offset:40960
	s_waitcnt lgkmcnt(0)
	s_barrier
	buffer_gl0_inv
	s_and_saveexec_b32 s17, s0
	s_cbranch_execnz .LBB248_58
; %bb.42:                               ;   in Loop: Header=BB248_41 Depth=1
	s_or_b32 exec_lo, exec_lo, s17
	s_and_saveexec_b32 s17, s1
	s_cbranch_execnz .LBB248_59
.LBB248_43:                             ;   in Loop: Header=BB248_41 Depth=1
	s_or_b32 exec_lo, exec_lo, s17
	s_and_saveexec_b32 s17, s2
	s_cbranch_execnz .LBB248_60
.LBB248_44:                             ;   in Loop: Header=BB248_41 Depth=1
	s_or_b32 exec_lo, exec_lo, s17
	s_and_saveexec_b32 s17, s3
	s_cbranch_execnz .LBB248_61
.LBB248_45:                             ;   in Loop: Header=BB248_41 Depth=1
	s_or_b32 exec_lo, exec_lo, s17
	s_and_saveexec_b32 s17, s4
	s_cbranch_execnz .LBB248_62
.LBB248_46:                             ;   in Loop: Header=BB248_41 Depth=1
	s_or_b32 exec_lo, exec_lo, s17
	s_and_saveexec_b32 s17, s5
	s_cbranch_execnz .LBB248_63
.LBB248_47:                             ;   in Loop: Header=BB248_41 Depth=1
	s_or_b32 exec_lo, exec_lo, s17
	s_and_saveexec_b32 s17, s6
	s_cbranch_execnz .LBB248_64
.LBB248_48:                             ;   in Loop: Header=BB248_41 Depth=1
	s_or_b32 exec_lo, exec_lo, s17
	s_and_saveexec_b32 s17, s7
	s_cbranch_execnz .LBB248_65
.LBB248_49:                             ;   in Loop: Header=BB248_41 Depth=1
	s_or_b32 exec_lo, exec_lo, s17
	s_and_saveexec_b32 s17, s8
	s_cbranch_execnz .LBB248_66
.LBB248_50:                             ;   in Loop: Header=BB248_41 Depth=1
	s_or_b32 exec_lo, exec_lo, s17
	s_and_saveexec_b32 s17, s9
	s_cbranch_execnz .LBB248_67
.LBB248_51:                             ;   in Loop: Header=BB248_41 Depth=1
	s_or_b32 exec_lo, exec_lo, s17
	s_and_saveexec_b32 s17, s10
	s_cbranch_execnz .LBB248_68
.LBB248_52:                             ;   in Loop: Header=BB248_41 Depth=1
	s_or_b32 exec_lo, exec_lo, s17
	s_and_saveexec_b32 s17, s11
	s_cbranch_execnz .LBB248_69
.LBB248_53:                             ;   in Loop: Header=BB248_41 Depth=1
	s_or_b32 exec_lo, exec_lo, s17
	s_and_saveexec_b32 s17, s12
	s_cbranch_execnz .LBB248_70
.LBB248_54:                             ;   in Loop: Header=BB248_41 Depth=1
	s_or_b32 exec_lo, exec_lo, s17
	s_and_saveexec_b32 s17, s13
	s_cbranch_execnz .LBB248_71
.LBB248_55:                             ;   in Loop: Header=BB248_41 Depth=1
	s_or_b32 exec_lo, exec_lo, s17
	s_and_saveexec_b32 s17, s14
	s_cbranch_execnz .LBB248_72
.LBB248_56:                             ;   in Loop: Header=BB248_41 Depth=1
	s_or_b32 exec_lo, exec_lo, s17
	s_and_saveexec_b32 s17, s15
	s_cbranch_execnz .LBB248_73
.LBB248_57:                             ;   in Loop: Header=BB248_41 Depth=1
	s_or_b32 exec_lo, exec_lo, s17
	s_and_saveexec_b32 s15, vcc_lo
	s_cbranch_execz .LBB248_40
	s_branch .LBB248_74
.LBB248_58:                             ;   in Loop: Header=BB248_41 Depth=1
	ds_load_b32 v7, v3 offset:40960
	s_waitcnt lgkmcnt(0)
	v_add_nc_u32_e32 v6, v7, v6
	s_or_b32 exec_lo, exec_lo, s17
	s_and_saveexec_b32 s17, s1
	s_cbranch_execz .LBB248_43
.LBB248_59:                             ;   in Loop: Header=BB248_41 Depth=1
	ds_load_b32 v7, v3 offset:40964
	s_waitcnt lgkmcnt(0)
	v_add_nc_u32_e32 v6, v7, v6
	s_or_b32 exec_lo, exec_lo, s17
	s_and_saveexec_b32 s17, s2
	s_cbranch_execz .LBB248_44
.LBB248_60:                             ;   in Loop: Header=BB248_41 Depth=1
	ds_load_b32 v7, v3 offset:40968
	s_waitcnt lgkmcnt(0)
	v_add_nc_u32_e32 v6, v7, v6
	s_or_b32 exec_lo, exec_lo, s17
	s_and_saveexec_b32 s17, s3
	s_cbranch_execz .LBB248_45
.LBB248_61:                             ;   in Loop: Header=BB248_41 Depth=1
	ds_load_b32 v7, v3 offset:40972
	s_waitcnt lgkmcnt(0)
	v_add_nc_u32_e32 v6, v7, v6
	s_or_b32 exec_lo, exec_lo, s17
	s_and_saveexec_b32 s17, s4
	s_cbranch_execz .LBB248_46
.LBB248_62:                             ;   in Loop: Header=BB248_41 Depth=1
	ds_load_b32 v7, v3 offset:40976
	s_waitcnt lgkmcnt(0)
	v_add_nc_u32_e32 v6, v7, v6
	s_or_b32 exec_lo, exec_lo, s17
	s_and_saveexec_b32 s17, s5
	s_cbranch_execz .LBB248_47
.LBB248_63:                             ;   in Loop: Header=BB248_41 Depth=1
	ds_load_b32 v7, v3 offset:40980
	s_waitcnt lgkmcnt(0)
	v_add_nc_u32_e32 v6, v7, v6
	s_or_b32 exec_lo, exec_lo, s17
	s_and_saveexec_b32 s17, s6
	s_cbranch_execz .LBB248_48
.LBB248_64:                             ;   in Loop: Header=BB248_41 Depth=1
	ds_load_b32 v7, v3 offset:40984
	s_waitcnt lgkmcnt(0)
	v_add_nc_u32_e32 v6, v7, v6
	s_or_b32 exec_lo, exec_lo, s17
	s_and_saveexec_b32 s17, s7
	s_cbranch_execz .LBB248_49
.LBB248_65:                             ;   in Loop: Header=BB248_41 Depth=1
	ds_load_b32 v7, v3 offset:40988
	s_waitcnt lgkmcnt(0)
	v_add_nc_u32_e32 v6, v7, v6
	s_or_b32 exec_lo, exec_lo, s17
	s_and_saveexec_b32 s17, s8
	s_cbranch_execz .LBB248_50
.LBB248_66:                             ;   in Loop: Header=BB248_41 Depth=1
	ds_load_b32 v7, v3 offset:40992
	s_waitcnt lgkmcnt(0)
	v_add_nc_u32_e32 v6, v7, v6
	s_or_b32 exec_lo, exec_lo, s17
	s_and_saveexec_b32 s17, s9
	s_cbranch_execz .LBB248_51
.LBB248_67:                             ;   in Loop: Header=BB248_41 Depth=1
	ds_load_b32 v7, v3 offset:40996
	s_waitcnt lgkmcnt(0)
	v_add_nc_u32_e32 v6, v7, v6
	s_or_b32 exec_lo, exec_lo, s17
	s_and_saveexec_b32 s17, s10
	s_cbranch_execz .LBB248_52
.LBB248_68:                             ;   in Loop: Header=BB248_41 Depth=1
	ds_load_b32 v7, v3 offset:41000
	s_waitcnt lgkmcnt(0)
	v_add_nc_u32_e32 v6, v7, v6
	s_or_b32 exec_lo, exec_lo, s17
	s_and_saveexec_b32 s17, s11
	s_cbranch_execz .LBB248_53
.LBB248_69:                             ;   in Loop: Header=BB248_41 Depth=1
	ds_load_b32 v7, v3 offset:41004
	s_waitcnt lgkmcnt(0)
	v_add_nc_u32_e32 v6, v7, v6
	s_or_b32 exec_lo, exec_lo, s17
	s_and_saveexec_b32 s17, s12
	s_cbranch_execz .LBB248_54
.LBB248_70:                             ;   in Loop: Header=BB248_41 Depth=1
	ds_load_b32 v7, v3 offset:41008
	s_waitcnt lgkmcnt(0)
	v_add_nc_u32_e32 v6, v7, v6
	s_or_b32 exec_lo, exec_lo, s17
	s_and_saveexec_b32 s17, s13
	s_cbranch_execz .LBB248_55
.LBB248_71:                             ;   in Loop: Header=BB248_41 Depth=1
	ds_load_b32 v7, v3 offset:41012
	s_waitcnt lgkmcnt(0)
	v_add_nc_u32_e32 v6, v7, v6
	s_or_b32 exec_lo, exec_lo, s17
	s_and_saveexec_b32 s17, s14
	s_cbranch_execz .LBB248_56
.LBB248_72:                             ;   in Loop: Header=BB248_41 Depth=1
	ds_load_b32 v7, v3 offset:41016
	s_waitcnt lgkmcnt(0)
	v_add_nc_u32_e32 v6, v7, v6
	s_or_b32 exec_lo, exec_lo, s17
	s_and_saveexec_b32 s17, s15
	s_cbranch_execz .LBB248_57
.LBB248_73:                             ;   in Loop: Header=BB248_41 Depth=1
	scratch_load_b128 v[7:10], off, off
	v_add3_u32 v11, v4, -1, v6
	s_delay_alu instid0(VALU_DEP_1) | instskip(SKIP_1) | instid1(VALU_DEP_2)
	v_lshlrev_b32_e32 v12, 4, v11
	v_lshl_add_u32 v11, v11, 2, 0
	v_add3_u32 v12, 0, v12, 0x2000
	ds_store_b32 v11, v5
	s_waitcnt vmcnt(0)
	ds_store_2addr_b64 v12, v[7:8], v[9:10] offset1:1
	s_or_b32 exec_lo, exec_lo, s17
	s_and_saveexec_b32 s15, vcc_lo
	s_cbranch_execz .LBB248_40
.LBB248_74:                             ;   in Loop: Header=BB248_41 Depth=1
	ds_store_b32 v3, v6 offset:41020
	s_branch .LBB248_40
.LBB248_75:                             ;   in Loop: Header=BB248_76 Depth=1
	s_or_b32 exec_lo, exec_lo, s4
	v_add_co_u32 v5, vcc_lo, 0x400, v5
	v_add_co_ci_u32_e32 v6, vcc_lo, 0, v6, vcc_lo
	s_delay_alu instid0(VALU_DEP_1) | instskip(SKIP_1) | instid1(SALU_CYCLE_1)
	v_cmp_le_i64_e32 vcc_lo, s[0:1], v[5:6]
	s_or_b32 s3, vcc_lo, s3
	s_and_not1_b32 exec_lo, exec_lo, s3
	s_cbranch_execz .LBB248_38
.LBB248_76:                             ; =>This Loop Header: Depth=1
                                        ;     Child Loop BB248_78 Depth 2
                                        ;       Child Loop BB248_84 Depth 3
                                        ;       Child Loop BB248_86 Depth 3
	;; [unrolled: 1-line block ×4, first 2 shown]
	v_lshlrev_b64 v[7:8], 4, v[5:6]
	s_mov_b32 s4, 0
	s_delay_alu instid0(VALU_DEP_1) | instskip(NEXT) | instid1(VALU_DEP_2)
	v_add_co_u32 v7, vcc_lo, s20, v7
	v_add_co_ci_u32_e32 v8, vcc_lo, s21, v8, vcc_lo
	global_load_b128 v[9:12], v[7:8], off
	v_lshlrev_b64 v[7:8], 2, v[5:6]
	s_delay_alu instid0(VALU_DEP_1) | instskip(NEXT) | instid1(VALU_DEP_2)
	v_add_co_u32 v7, vcc_lo, s18, v7
	v_add_co_ci_u32_e32 v8, vcc_lo, s19, v8, vcc_lo
	global_load_b32 v13, v[7:8], off
	s_waitcnt vmcnt(1)
	v_mul_f64 v[7:8], v[11:12], -v[1:2]
	v_mul_f64 v[11:12], v[3:4], v[11:12]
	s_waitcnt vmcnt(0)
	v_subrev_nc_u32_e32 v13, s27, v13
	s_delay_alu instid0(VALU_DEP_3) | instskip(NEXT) | instid1(VALU_DEP_3)
	v_fma_f64 v[7:8], v[3:4], v[9:10], v[7:8]
	v_fma_f64 v[9:10], v[1:2], v[9:10], v[11:12]
	s_delay_alu instid0(VALU_DEP_3) | instskip(NEXT) | instid1(VALU_DEP_1)
	v_mul_lo_u32 v11, 0x89, v13
	v_and_b32_e32 v14, 0x7ff, v11
	s_branch .LBB248_78
.LBB248_77:                             ;   in Loop: Header=BB248_78 Depth=2
	s_or_b32 exec_lo, exec_lo, s5
	s_xor_b32 s5, s6, -1
	s_delay_alu instid0(SALU_CYCLE_1) | instskip(NEXT) | instid1(SALU_CYCLE_1)
	s_and_b32 s5, exec_lo, s5
	s_or_b32 s4, s5, s4
	s_delay_alu instid0(SALU_CYCLE_1)
	s_and_not1_b32 exec_lo, exec_lo, s4
	s_cbranch_execz .LBB248_75
.LBB248_78:                             ;   Parent Loop BB248_76 Depth=1
                                        ; =>  This Loop Header: Depth=2
                                        ;       Child Loop BB248_84 Depth 3
                                        ;       Child Loop BB248_86 Depth 3
	;; [unrolled: 1-line block ×4, first 2 shown]
	s_delay_alu instid0(VALU_DEP_1)
	v_lshl_add_u32 v11, v14, 2, 0
	s_mov_b32 s5, exec_lo
                                        ; implicit-def: $sgpr6
	ds_load_b32 v12, v11
	s_waitcnt lgkmcnt(0)
	v_cmpx_ne_u32_e64 v12, v13
	s_xor_b32 s5, exec_lo, s5
	s_cbranch_execz .LBB248_90
; %bb.79:                               ;   in Loop: Header=BB248_78 Depth=2
	s_mov_b32 s7, exec_lo
                                        ; implicit-def: $sgpr6
	v_cmpx_ne_u32_e64 s33, v12
	s_xor_b32 s7, exec_lo, s7
; %bb.80:                               ;   in Loop: Header=BB248_78 Depth=2
	v_add_nc_u32_e32 v11, 1, v14
	s_mov_b32 s6, -1
	s_delay_alu instid0(VALU_DEP_1)
	v_and_b32_e32 v14, 0x7ff, v11
                                        ; implicit-def: $vgpr11
; %bb.81:                               ;   in Loop: Header=BB248_78 Depth=2
	s_and_not1_saveexec_b32 s7, s7
	s_cbranch_execz .LBB248_89
; %bb.82:                               ;   in Loop: Header=BB248_78 Depth=2
	v_mov_b32_e32 v12, s33
	s_mov_b32 s9, -1
	s_mov_b32 s8, exec_lo
	ds_cmpstore_rtn_b32 v12, v11, v13, v12
	s_waitcnt lgkmcnt(0)
	v_cmpx_eq_u32_e64 s33, v12
	s_cbranch_execz .LBB248_88
; %bb.83:                               ;   in Loop: Header=BB248_78 Depth=2
	v_mul_lo_u32 v12, v14, 12
	s_mov_b32 s9, 0
	s_delay_alu instid0(VALU_DEP_1)
	v_add_nc_u32_e32 v15, v11, v12
	ds_load_b64 v[11:12], v15 offset:8192
.LBB248_84:                             ;   Parent Loop BB248_76 Depth=1
                                        ;     Parent Loop BB248_78 Depth=2
                                        ; =>    This Inner Loop Header: Depth=3
	s_waitcnt lgkmcnt(0)
	v_add_f64 v[16:17], v[11:12], v[7:8]
	ds_cmpstore_rtn_b64 v[16:17], v15, v[16:17], v[11:12] offset:8192
	s_waitcnt lgkmcnt(0)
	v_cmp_eq_u64_e32 vcc_lo, v[16:17], v[11:12]
	v_dual_mov_b32 v11, v16 :: v_dual_mov_b32 v12, v17
	s_or_b32 s9, vcc_lo, s9
	s_delay_alu instid0(SALU_CYCLE_1)
	s_and_not1_b32 exec_lo, exec_lo, s9
	s_cbranch_execnz .LBB248_84
; %bb.85:                               ;   in Loop: Header=BB248_78 Depth=2
	s_or_b32 exec_lo, exec_lo, s9
	ds_load_b64 v[11:12], v15 offset:8200
	s_mov_b32 s9, 0
.LBB248_86:                             ;   Parent Loop BB248_76 Depth=1
                                        ;     Parent Loop BB248_78 Depth=2
                                        ; =>    This Inner Loop Header: Depth=3
	s_waitcnt lgkmcnt(0)
	v_add_f64 v[16:17], v[11:12], v[9:10]
	ds_cmpstore_rtn_b64 v[16:17], v15, v[16:17], v[11:12] offset:8200
	s_waitcnt lgkmcnt(0)
	v_cmp_eq_u64_e32 vcc_lo, v[16:17], v[11:12]
	v_dual_mov_b32 v11, v16 :: v_dual_mov_b32 v12, v17
	s_or_b32 s9, vcc_lo, s9
	s_delay_alu instid0(SALU_CYCLE_1)
	s_and_not1_b32 exec_lo, exec_lo, s9
	s_cbranch_execnz .LBB248_86
; %bb.87:                               ;   in Loop: Header=BB248_78 Depth=2
	s_or_b32 exec_lo, exec_lo, s9
	s_delay_alu instid0(SALU_CYCLE_1)
	s_xor_b32 s9, exec_lo, -1
.LBB248_88:                             ;   in Loop: Header=BB248_78 Depth=2
	s_or_b32 exec_lo, exec_lo, s8
	s_delay_alu instid0(SALU_CYCLE_1) | instskip(SKIP_1) | instid1(SALU_CYCLE_1)
	s_and_not1_b32 s6, s6, exec_lo
	s_and_b32 s8, s9, exec_lo
	s_or_b32 s6, s6, s8
.LBB248_89:                             ;   in Loop: Header=BB248_78 Depth=2
	s_or_b32 exec_lo, exec_lo, s7
	s_delay_alu instid0(SALU_CYCLE_1)
	s_and_b32 s6, s6, exec_lo
                                        ; implicit-def: $vgpr11
.LBB248_90:                             ;   in Loop: Header=BB248_78 Depth=2
	s_and_not1_saveexec_b32 s5, s5
	s_cbranch_execz .LBB248_77
; %bb.91:                               ;   in Loop: Header=BB248_78 Depth=2
	v_mul_lo_u32 v12, v14, 12
	s_mov_b32 s7, 0
	s_delay_alu instid0(VALU_DEP_1)
	v_add_nc_u32_e32 v15, v11, v12
	ds_load_b64 v[11:12], v15 offset:8192
.LBB248_92:                             ;   Parent Loop BB248_76 Depth=1
                                        ;     Parent Loop BB248_78 Depth=2
                                        ; =>    This Inner Loop Header: Depth=3
	s_waitcnt lgkmcnt(0)
	v_add_f64 v[16:17], v[11:12], v[7:8]
	ds_cmpstore_rtn_b64 v[16:17], v15, v[16:17], v[11:12] offset:8192
	s_waitcnt lgkmcnt(0)
	v_cmp_eq_u64_e32 vcc_lo, v[16:17], v[11:12]
	v_dual_mov_b32 v11, v16 :: v_dual_mov_b32 v12, v17
	s_or_b32 s7, vcc_lo, s7
	s_delay_alu instid0(SALU_CYCLE_1)
	s_and_not1_b32 exec_lo, exec_lo, s7
	s_cbranch_execnz .LBB248_92
; %bb.93:                               ;   in Loop: Header=BB248_78 Depth=2
	s_or_b32 exec_lo, exec_lo, s7
	ds_load_b64 v[11:12], v15 offset:8200
	s_mov_b32 s7, 0
.LBB248_94:                             ;   Parent Loop BB248_76 Depth=1
                                        ;     Parent Loop BB248_78 Depth=2
                                        ; =>    This Inner Loop Header: Depth=3
	s_waitcnt lgkmcnt(0)
	v_add_f64 v[16:17], v[11:12], v[9:10]
	ds_cmpstore_rtn_b64 v[16:17], v15, v[16:17], v[11:12] offset:8200
	s_waitcnt lgkmcnt(0)
	v_cmp_eq_u64_e32 vcc_lo, v[16:17], v[11:12]
	v_dual_mov_b32 v11, v16 :: v_dual_mov_b32 v12, v17
	s_or_b32 s7, vcc_lo, s7
	s_delay_alu instid0(SALU_CYCLE_1)
	s_and_not1_b32 exec_lo, exec_lo, s7
	s_cbranch_execnz .LBB248_94
; %bb.95:                               ;   in Loop: Header=BB248_78 Depth=2
	s_or_b32 exec_lo, exec_lo, s7
	s_delay_alu instid0(SALU_CYCLE_1)
	s_and_not1_b32 s6, s6, exec_lo
	s_branch .LBB248_77
.LBB248_96:
	s_or_b32 exec_lo, exec_lo, s16
	s_ashr_i32 s35, s34, 31
	s_mov_b32 s4, exec_lo
	s_lshl_b64 s[0:1], s[34:35], 3
	s_delay_alu instid0(SALU_CYCLE_1) | instskip(SKIP_4) | instid1(SALU_CYCLE_1)
	s_add_u32 s0, s22, s0
	s_addc_u32 s1, s23, s1
	s_load_b128 s[0:3], s[0:1], 0x0
	s_waitcnt lgkmcnt(0)
	s_sub_i32 s3, s2, s0
	v_cmpx_gt_i32_e64 s3, v0
	s_cbranch_execz .LBB248_106
; %bb.97:
	s_sub_u32 s4, s0, s26
	s_subb_u32 s5, s1, 0
	s_sub_i32 s0, s0, s2
	s_and_b32 s1, s3, 7
	s_cmp_lt_u32 s0, -7
	s_mov_b32 s8, 0
	s_cselect_b32 s2, -1, 0
	s_and_b32 s6, s3, -8
	s_cmp_lg_u32 s1, 0
	s_cselect_b32 s7, -1, 0
	s_branch .LBB248_99
.LBB248_98:                             ;   in Loop: Header=BB248_99 Depth=1
	v_mul_lo_u32 v5, v0, 12
	s_delay_alu instid0(VALU_DEP_2) | instskip(SKIP_4) | instid1(VALU_DEP_4)
	v_lshlrev_b64 v[8:9], 2, v[1:2]
	v_lshlrev_b64 v[1:2], 4, v[1:2]
	v_add_nc_u32_e32 v0, 0x400, v0
	s_waitcnt lgkmcnt(0)
	v_add_nc_u32_e32 v3, s26, v3
	v_add_co_u32 v8, vcc_lo, s28, v8
	v_add3_u32 v4, v4, v5, 0x2000
	v_add_co_ci_u32_e32 v9, vcc_lo, s29, v9, vcc_lo
	v_cmp_le_i32_e32 vcc_lo, s3, v0
	v_add_co_u32 v1, s0, s30, v1
	ds_load_2addr_b64 v[4:7], v4 offset1:1
	v_add_co_ci_u32_e64 v2, s0, s31, v2, s0
	s_or_b32 s8, vcc_lo, s8
	global_store_b32 v[8:9], v3, off
	s_waitcnt lgkmcnt(0)
	global_store_b128 v[1:2], v[4:7], off
	s_and_not1_b32 exec_lo, exec_lo, s8
	s_cbranch_execz .LBB248_106
.LBB248_99:                             ; =>This Loop Header: Depth=1
                                        ;     Child Loop BB248_101 Depth 2
                                        ;     Child Loop BB248_105 Depth 2
	v_lshl_add_u32 v4, v0, 2, 0
	v_dual_mov_b32 v1, s4 :: v_dual_mov_b32 v2, s5
	s_and_not1_b32 vcc_lo, exec_lo, s2
	s_mov_b32 s0, 0
	ds_load_b32 v3, v4
	s_cbranch_vccnz .LBB248_103
; %bb.100:                              ;   in Loop: Header=BB248_99 Depth=1
	v_dual_mov_b32 v1, s4 :: v_dual_mov_b32 v2, s5
	s_mov_b32 s9, 0
	s_mov_b32 s10, 0
.LBB248_101:                            ;   Parent Loop BB248_99 Depth=1
                                        ; =>  This Inner Loop Header: Depth=2
	s_delay_alu instid0(SALU_CYCLE_1)
	v_mov_b32_e32 v11, s10
	s_add_i32 s9, s9, 8
	s_add_i32 s10, s10, 32
	s_cmp_eq_u32 s6, s9
	ds_load_2addr_b32 v[5:6], v11 offset1:1
	ds_load_2addr_b32 v[7:8], v11 offset0:2 offset1:3
	ds_load_2addr_b32 v[9:10], v11 offset0:4 offset1:5
	;; [unrolled: 1-line block ×3, first 2 shown]
	s_waitcnt lgkmcnt(3)
	v_cmp_gt_i32_e32 vcc_lo, v3, v5
	v_cndmask_b32_e64 v5, 0, 1, vcc_lo
	v_cmp_gt_i32_e32 vcc_lo, v3, v6
	v_cndmask_b32_e64 v6, 0, 1, vcc_lo
	s_waitcnt lgkmcnt(2)
	v_cmp_gt_i32_e32 vcc_lo, v3, v7
	v_cndmask_b32_e64 v7, 0, 1, vcc_lo
	v_cmp_gt_i32_e32 vcc_lo, v3, v8
	v_cndmask_b32_e64 v8, 0, 1, vcc_lo
	s_waitcnt lgkmcnt(1)
	v_cmp_gt_i32_e32 vcc_lo, v3, v9
	v_cndmask_b32_e64 v9, 0, 1, vcc_lo
	v_add_co_u32 v1, vcc_lo, v1, v5
	v_add_co_ci_u32_e32 v2, vcc_lo, 0, v2, vcc_lo
	v_cmp_gt_i32_e32 vcc_lo, v3, v10
	s_delay_alu instid0(VALU_DEP_3) | instskip(NEXT) | instid1(VALU_DEP_1)
	v_add_co_u32 v1, s0, v1, v6
	v_add_co_ci_u32_e64 v2, s0, 0, v2, s0
	v_cndmask_b32_e64 v5, 0, 1, vcc_lo
	s_delay_alu instid0(VALU_DEP_3) | instskip(NEXT) | instid1(VALU_DEP_3)
	v_add_co_u32 v1, vcc_lo, v1, v7
	v_add_co_ci_u32_e32 v2, vcc_lo, 0, v2, vcc_lo
	s_waitcnt lgkmcnt(0)
	v_cmp_gt_i32_e32 vcc_lo, v3, v11
	s_delay_alu instid0(VALU_DEP_3) | instskip(NEXT) | instid1(VALU_DEP_1)
	v_add_co_u32 v1, s0, v1, v8
	v_add_co_ci_u32_e64 v2, s0, 0, v2, s0
	v_cndmask_b32_e64 v6, 0, 1, vcc_lo
	s_delay_alu instid0(VALU_DEP_3) | instskip(NEXT) | instid1(VALU_DEP_3)
	v_add_co_u32 v1, vcc_lo, v1, v9
	v_add_co_ci_u32_e32 v2, vcc_lo, 0, v2, vcc_lo
	v_cmp_gt_i32_e32 vcc_lo, v3, v12
	s_delay_alu instid0(VALU_DEP_3) | instskip(NEXT) | instid1(VALU_DEP_1)
	v_add_co_u32 v1, s0, v1, v5
	v_add_co_ci_u32_e64 v2, s0, 0, v2, s0
	v_cndmask_b32_e64 v5, 0, 1, vcc_lo
	s_delay_alu instid0(VALU_DEP_3) | instskip(NEXT) | instid1(VALU_DEP_3)
	v_add_co_u32 v1, vcc_lo, v1, v6
	v_add_co_ci_u32_e32 v2, vcc_lo, 0, v2, vcc_lo
	s_delay_alu instid0(VALU_DEP_2) | instskip(NEXT) | instid1(VALU_DEP_2)
	v_add_co_u32 v1, vcc_lo, v1, v5
	v_add_co_ci_u32_e32 v2, vcc_lo, 0, v2, vcc_lo
	s_cbranch_scc0 .LBB248_101
; %bb.102:                              ;   in Loop: Header=BB248_99 Depth=1
	s_mov_b32 s0, s6
.LBB248_103:                            ;   in Loop: Header=BB248_99 Depth=1
	s_and_not1_b32 vcc_lo, exec_lo, s7
	s_cbranch_vccnz .LBB248_98
; %bb.104:                              ;   in Loop: Header=BB248_99 Depth=1
	s_lshl_b32 s0, s0, 2
	s_mov_b32 s9, s1
	s_add_i32 s0, s0, 0
.LBB248_105:                            ;   Parent Loop BB248_99 Depth=1
                                        ; =>  This Inner Loop Header: Depth=2
	s_delay_alu instid0(SALU_CYCLE_1)
	v_mov_b32_e32 v5, s0
	s_add_i32 s9, s9, -1
	s_add_i32 s0, s0, 4
	s_cmp_lg_u32 s9, 0
	ds_load_b32 v5, v5
	s_waitcnt lgkmcnt(0)
	v_cmp_gt_i32_e32 vcc_lo, v3, v5
	v_cndmask_b32_e64 v5, 0, 1, vcc_lo
	s_delay_alu instid0(VALU_DEP_1)
	v_add_co_u32 v1, vcc_lo, v1, v5
	v_add_co_ci_u32_e32 v2, vcc_lo, 0, v2, vcc_lo
	s_cbranch_scc1 .LBB248_105
	s_branch .LBB248_98
.LBB248_106:
	s_nop 0
	s_sendmsg sendmsg(MSG_DEALLOC_VGPRS)
	s_endpgm
	.section	.rodata,"a",@progbits
	.p2align	6, 0x0
	.amdhsa_kernel _ZN9rocsparseL26csrgemm_fill_block_per_rowILj1024ELj32ELj2048ELj137ELj64Eli21rocsparse_complex_numIdEEEvT5_PKS3_S5_NS_24const_host_device_scalarIT6_EEPKT4_S5_PKS7_SB_S5_SD_S8_SB_S5_SD_SB_PS3_PS7_21rocsparse_index_base_SG_SG_SG_bbb
		.amdhsa_group_segment_fixed_size 0
		.amdhsa_private_segment_fixed_size 40
		.amdhsa_kernarg_size 172
		.amdhsa_user_sgpr_count 15
		.amdhsa_user_sgpr_dispatch_ptr 0
		.amdhsa_user_sgpr_queue_ptr 0
		.amdhsa_user_sgpr_kernarg_segment_ptr 1
		.amdhsa_user_sgpr_dispatch_id 0
		.amdhsa_user_sgpr_private_segment_size 0
		.amdhsa_wavefront_size32 1
		.amdhsa_uses_dynamic_stack 0
		.amdhsa_enable_private_segment 1
		.amdhsa_system_sgpr_workgroup_id_x 1
		.amdhsa_system_sgpr_workgroup_id_y 0
		.amdhsa_system_sgpr_workgroup_id_z 0
		.amdhsa_system_sgpr_workgroup_info 0
		.amdhsa_system_vgpr_workitem_id 0
		.amdhsa_next_free_vgpr 35
		.amdhsa_next_free_sgpr 48
		.amdhsa_reserve_vcc 1
		.amdhsa_float_round_mode_32 0
		.amdhsa_float_round_mode_16_64 0
		.amdhsa_float_denorm_mode_32 3
		.amdhsa_float_denorm_mode_16_64 3
		.amdhsa_dx10_clamp 1
		.amdhsa_ieee_mode 1
		.amdhsa_fp16_overflow 0
		.amdhsa_workgroup_processor_mode 1
		.amdhsa_memory_ordered 1
		.amdhsa_forward_progress 0
		.amdhsa_shared_vgpr_count 0
		.amdhsa_exception_fp_ieee_invalid_op 0
		.amdhsa_exception_fp_denorm_src 0
		.amdhsa_exception_fp_ieee_div_zero 0
		.amdhsa_exception_fp_ieee_overflow 0
		.amdhsa_exception_fp_ieee_underflow 0
		.amdhsa_exception_fp_ieee_inexact 0
		.amdhsa_exception_int_div_zero 0
	.end_amdhsa_kernel
	.section	.text._ZN9rocsparseL26csrgemm_fill_block_per_rowILj1024ELj32ELj2048ELj137ELj64Eli21rocsparse_complex_numIdEEEvT5_PKS3_S5_NS_24const_host_device_scalarIT6_EEPKT4_S5_PKS7_SB_S5_SD_S8_SB_S5_SD_SB_PS3_PS7_21rocsparse_index_base_SG_SG_SG_bbb,"axG",@progbits,_ZN9rocsparseL26csrgemm_fill_block_per_rowILj1024ELj32ELj2048ELj137ELj64Eli21rocsparse_complex_numIdEEEvT5_PKS3_S5_NS_24const_host_device_scalarIT6_EEPKT4_S5_PKS7_SB_S5_SD_S8_SB_S5_SD_SB_PS3_PS7_21rocsparse_index_base_SG_SG_SG_bbb,comdat
.Lfunc_end248:
	.size	_ZN9rocsparseL26csrgemm_fill_block_per_rowILj1024ELj32ELj2048ELj137ELj64Eli21rocsparse_complex_numIdEEEvT5_PKS3_S5_NS_24const_host_device_scalarIT6_EEPKT4_S5_PKS7_SB_S5_SD_S8_SB_S5_SD_SB_PS3_PS7_21rocsparse_index_base_SG_SG_SG_bbb, .Lfunc_end248-_ZN9rocsparseL26csrgemm_fill_block_per_rowILj1024ELj32ELj2048ELj137ELj64Eli21rocsparse_complex_numIdEEEvT5_PKS3_S5_NS_24const_host_device_scalarIT6_EEPKT4_S5_PKS7_SB_S5_SD_S8_SB_S5_SD_SB_PS3_PS7_21rocsparse_index_base_SG_SG_SG_bbb
                                        ; -- End function
	.section	.AMDGPU.csdata,"",@progbits
; Kernel info:
; codeLenInByte = 4348
; NumSgprs: 50
; NumVgprs: 35
; ScratchSize: 40
; MemoryBound: 0
; FloatMode: 240
; IeeeMode: 1
; LDSByteSize: 0 bytes/workgroup (compile time only)
; SGPRBlocks: 6
; VGPRBlocks: 4
; NumSGPRsForWavesPerEU: 50
; NumVGPRsForWavesPerEU: 35
; Occupancy: 16
; WaveLimiterHint : 1
; COMPUTE_PGM_RSRC2:SCRATCH_EN: 1
; COMPUTE_PGM_RSRC2:USER_SGPR: 15
; COMPUTE_PGM_RSRC2:TRAP_HANDLER: 0
; COMPUTE_PGM_RSRC2:TGID_X_EN: 1
; COMPUTE_PGM_RSRC2:TGID_Y_EN: 0
; COMPUTE_PGM_RSRC2:TGID_Z_EN: 0
; COMPUTE_PGM_RSRC2:TIDIG_COMP_CNT: 0
	.section	.text._ZN9rocsparseL26csrgemm_fill_block_per_rowILj1024ELj64ELj4096ELj137ELj32Eli21rocsparse_complex_numIdEEEvT5_PKS3_S5_NS_24const_host_device_scalarIT6_EEPKT4_S5_PKS7_SB_S5_SD_S8_SB_S5_SD_SB_PS3_PS7_21rocsparse_index_base_SG_SG_SG_bbb,"axG",@progbits,_ZN9rocsparseL26csrgemm_fill_block_per_rowILj1024ELj64ELj4096ELj137ELj32Eli21rocsparse_complex_numIdEEEvT5_PKS3_S5_NS_24const_host_device_scalarIT6_EEPKT4_S5_PKS7_SB_S5_SD_S8_SB_S5_SD_SB_PS3_PS7_21rocsparse_index_base_SG_SG_SG_bbb,comdat
	.globl	_ZN9rocsparseL26csrgemm_fill_block_per_rowILj1024ELj64ELj4096ELj137ELj32Eli21rocsparse_complex_numIdEEEvT5_PKS3_S5_NS_24const_host_device_scalarIT6_EEPKT4_S5_PKS7_SB_S5_SD_S8_SB_S5_SD_SB_PS3_PS7_21rocsparse_index_base_SG_SG_SG_bbb ; -- Begin function _ZN9rocsparseL26csrgemm_fill_block_per_rowILj1024ELj64ELj4096ELj137ELj32Eli21rocsparse_complex_numIdEEEvT5_PKS3_S5_NS_24const_host_device_scalarIT6_EEPKT4_S5_PKS7_SB_S5_SD_S8_SB_S5_SD_SB_PS3_PS7_21rocsparse_index_base_SG_SG_SG_bbb
	.p2align	8
	.type	_ZN9rocsparseL26csrgemm_fill_block_per_rowILj1024ELj64ELj4096ELj137ELj32Eli21rocsparse_complex_numIdEEEvT5_PKS3_S5_NS_24const_host_device_scalarIT6_EEPKT4_S5_PKS7_SB_S5_SD_S8_SB_S5_SD_SB_PS3_PS7_21rocsparse_index_base_SG_SG_SG_bbb,@function
_ZN9rocsparseL26csrgemm_fill_block_per_rowILj1024ELj64ELj4096ELj137ELj32Eli21rocsparse_complex_numIdEEEvT5_PKS3_S5_NS_24const_host_device_scalarIT6_EEPKT4_S5_PKS7_SB_S5_SD_S8_SB_S5_SD_SB_PS3_PS7_21rocsparse_index_base_SG_SG_SG_bbb: ; @_ZN9rocsparseL26csrgemm_fill_block_per_rowILj1024ELj64ELj4096ELj137ELj32Eli21rocsparse_complex_numIdEEEvT5_PKS3_S5_NS_24const_host_device_scalarIT6_EEPKT4_S5_PKS7_SB_S5_SD_S8_SB_S5_SD_SB_PS3_PS7_21rocsparse_index_base_SG_SG_SG_bbb
; %bb.0:
	s_clause 0x3
	s_load_b32 s14, s[0:1], 0xa8
	s_load_b128 s[4:7], s[0:1], 0x18
	s_load_b128 s[20:23], s[0:1], 0x58
	;; [unrolled: 1-line block ×3, first 2 shown]
	v_mov_b32_e32 v1, 0
	v_mov_b32_e32 v2, 0
	s_waitcnt lgkmcnt(0)
	s_bitcmp1_b32 s14, 0
	v_mov_b32_e32 v3, s4
	s_cselect_b32 s12, -1, 0
	s_bitcmp1_b32 s14, 16
	v_dual_mov_b32 v6, v2 :: v_dual_mov_b32 v5, v1
	s_cselect_b32 s2, -1, 0
	v_mov_b32_e32 v4, s5
	s_xor_b32 s13, s2, -1
	v_dual_mov_b32 v9, s20 :: v_dual_mov_b32 v10, s21
	v_cndmask_b32_e64 v7, 0, 1, s13
	s_bitcmp0_b32 s14, 0
	s_clause 0x1
	scratch_store_b64 off, v[3:4], off offset:16
	scratch_store_b64 off, v[9:10], off offset:24
	v_cmp_ne_u32_e32 vcc_lo, 1, v7
	v_dual_mov_b32 v8, v2 :: v_dual_mov_b32 v7, v1
	s_cbranch_scc1 .LBB249_3
; %bb.1:
	s_mov_b64 s[8:9], src_private_base
	s_and_b32 s3, s2, exec_lo
	s_cselect_b32 s3, s9, s5
	s_delay_alu instid0(SALU_CYCLE_1) | instskip(SKIP_2) | instid1(VALU_DEP_2)
	v_dual_mov_b32 v3, 16 :: v_dual_mov_b32 v4, s3
	v_dual_mov_b32 v8, s7 :: v_dual_mov_b32 v7, s6
	s_and_b32 vcc_lo, exec_lo, vcc_lo
	v_cndmask_b32_e64 v3, s4, v3, s2
	flat_load_b64 v[5:6], v[3:4]
	s_cbranch_vccnz .LBB249_3
; %bb.2:
	v_dual_mov_b32 v3, s4 :: v_dual_mov_b32 v4, s5
	flat_load_b64 v[7:8], v[3:4] offset:8
.LBB249_3:
	s_clause 0x4
	s_load_b128 s[48:51], s[0:1], 0x88
	s_load_b256 s[36:43], s[0:1], 0x68
	s_load_b128 s[16:19], s[0:1], 0x48
	s_load_b128 s[24:27], s[0:1], 0x8
	s_load_b256 s[4:11], s[0:1], 0x28
	s_bitcmp1_b32 s14, 8
	v_dual_mov_b32 v4, v2 :: v_dual_mov_b32 v3, v1
	s_cselect_b32 s3, -1, 0
	s_bfe_u32 s14, s14, 0x10008
	s_delay_alu instid0(SALU_CYCLE_1)
	s_cmp_eq_u32 s14, 0
	s_cbranch_scc1 .LBB249_6
; %bb.4:
	s_mov_b64 s[28:29], src_private_base
	s_and_b32 s14, s2, exec_lo
	s_cselect_b32 s14, s29, s21
	s_delay_alu instid0(SALU_CYCLE_1) | instskip(SKIP_1) | instid1(VALU_DEP_1)
	v_dual_mov_b32 v1, 24 :: v_dual_mov_b32 v2, s14
	s_and_not1_b32 vcc_lo, exec_lo, s13
	v_cndmask_b32_e64 v1, s20, v1, s2
	flat_load_b64 v[3:4], v[1:2]
	v_dual_mov_b32 v1, s22 :: v_dual_mov_b32 v2, s23
	s_cbranch_vccnz .LBB249_6
; %bb.5:
	v_dual_mov_b32 v1, s20 :: v_dual_mov_b32 v2, s21
	flat_load_b64 v[1:2], v[1:2] offset:8
.LBB249_6:
	s_load_b32 s33, s[0:1], 0x0
	s_mov_b32 s0, 0
	v_or_b32_e32 v25, 0xfffffc00, v0
	s_mov_b32 s1, s0
	s_delay_alu instid0(SALU_CYCLE_1) | instskip(SKIP_3) | instid1(VALU_DEP_2)
	v_dual_mov_b32 v10, s1 :: v_dual_lshlrev_b32 v11, 4, v0
	v_lshl_add_u32 v26, v0, 2, 0
	s_mov_b32 s20, s0
	s_mov_b32 s21, s0
	v_add3_u32 v27, v11, 0, 0x4000
	v_dual_mov_b32 v11, s20 :: v_dual_mov_b32 v14, v25
	v_dual_mov_b32 v9, s0 :: v_dual_mov_b32 v12, s21
	s_delay_alu instid0(VALU_DEP_3)
	v_dual_mov_b32 v13, v26 :: v_dual_mov_b32 v16, v27
	s_waitcnt lgkmcnt(0)
	v_mov_b32_e32 v15, s33
.LBB249_7:                              ; =>This Inner Loop Header: Depth=1
	v_add_nc_u32_e32 v14, 0x400, v14
	ds_store_b32 v13, v15
	ds_store_2addr_b64 v16, v[9:10], v[11:12] offset1:1
	v_add_nc_u32_e32 v16, 0x4000, v16
	v_add_nc_u32_e32 v13, 0x1000, v13
	v_cmp_lt_u32_e32 vcc_lo, 0xbff, v14
	s_or_b32 s0, vcc_lo, s0
	s_delay_alu instid0(SALU_CYCLE_1)
	s_and_not1_b32 exec_lo, exec_lo, s0
	s_cbranch_execnz .LBB249_7
; %bb.8:
	s_or_b32 exec_lo, exec_lo, s0
	s_waitcnt vmcnt(0) lgkmcnt(0)
	s_waitcnt_vscnt null, 0x0
	s_barrier
	buffer_gl0_inv
	s_load_b32 s0, s[24:25], 0x0
	s_mov_b32 s1, 0
	s_waitcnt lgkmcnt(0)
	s_add_i32 s0, s0, s15
	s_delay_alu instid0(SALU_CYCLE_1) | instskip(NEXT) | instid1(SALU_CYCLE_1)
	s_lshl_b64 s[0:1], s[0:1], 2
	s_add_u32 s0, s26, s0
	s_addc_u32 s1, s27, s1
	s_and_b32 vcc_lo, exec_lo, s12
	s_load_b32 s34, s[0:1], 0x0
	s_cbranch_vccz .LBB249_36
; %bb.9:
	s_waitcnt lgkmcnt(0)
	s_ashr_i32 s35, s34, 31
	v_lshrrev_b32_e32 v9, 6, v0
	s_lshl_b64 s[0:1], s[34:35], 3
	s_mov_b32 s2, exec_lo
	s_add_u32 s0, s4, s0
	s_addc_u32 s1, s5, s1
	s_load_b128 s[12:15], s[0:1], 0x0
	v_sub_co_u32 v9, s0, v9, s44
	s_delay_alu instid0(VALU_DEP_1) | instskip(SKIP_1) | instid1(VALU_DEP_2)
	v_sub_co_ci_u32_e64 v10, null, 0, 0, s0
	s_waitcnt lgkmcnt(0)
	v_add_co_u32 v9, vcc_lo, s12, v9
	s_delay_alu instid0(VALU_DEP_2)
	v_add_co_ci_u32_e32 v10, vcc_lo, s13, v10, vcc_lo
	s_sub_u32 s0, s14, s44
	s_subb_u32 s1, s15, 0
	s_delay_alu instid0(VALU_DEP_1) | instid1(SALU_CYCLE_1)
	v_cmpx_gt_i64_e64 s[0:1], v[9:10]
	s_cbranch_execz .LBB249_35
; %bb.10:
	v_and_b32_e32 v11, 63, v0
	s_mov_b32 s5, s45
	s_delay_alu instid0(VALU_DEP_1) | instskip(NEXT) | instid1(VALU_DEP_1)
	v_sub_co_u32 v28, s4, v11, s45
	v_sub_co_ci_u32_e64 v29, null, 0, 0, s4
	s_mov_b32 s4, 0
	s_branch .LBB249_12
.LBB249_11:                             ;   in Loop: Header=BB249_12 Depth=1
	s_or_b32 exec_lo, exec_lo, s12
	v_add_co_u32 v9, vcc_lo, v9, 16
	v_add_co_ci_u32_e32 v10, vcc_lo, 0, v10, vcc_lo
	s_delay_alu instid0(VALU_DEP_1) | instskip(SKIP_1) | instid1(SALU_CYCLE_1)
	v_cmp_le_i64_e32 vcc_lo, s[0:1], v[9:10]
	s_or_b32 s4, vcc_lo, s4
	s_and_not1_b32 exec_lo, exec_lo, s4
	s_cbranch_execz .LBB249_35
.LBB249_12:                             ; =>This Loop Header: Depth=1
                                        ;     Child Loop BB249_15 Depth 2
                                        ;       Child Loop BB249_17 Depth 3
                                        ;         Child Loop BB249_23 Depth 4
                                        ;         Child Loop BB249_25 Depth 4
	;; [unrolled: 1-line block ×4, first 2 shown]
	v_lshlrev_b64 v[11:12], 2, v[9:10]
	s_mov_b32 s12, exec_lo
	s_delay_alu instid0(VALU_DEP_1) | instskip(NEXT) | instid1(VALU_DEP_2)
	v_add_co_u32 v11, vcc_lo, s6, v11
	v_add_co_ci_u32_e32 v12, vcc_lo, s7, v12, vcc_lo
	global_load_b32 v11, v[11:12], off
	s_waitcnt vmcnt(0)
	v_subrev_nc_u32_e32 v11, s44, v11
	s_delay_alu instid0(VALU_DEP_1) | instskip(NEXT) | instid1(VALU_DEP_1)
	v_ashrrev_i32_e32 v12, 31, v11
	v_lshlrev_b64 v[11:12], 3, v[11:12]
	s_delay_alu instid0(VALU_DEP_1) | instskip(NEXT) | instid1(VALU_DEP_2)
	v_add_co_u32 v11, vcc_lo, s10, v11
	v_add_co_ci_u32_e32 v12, vcc_lo, s11, v12, vcc_lo
	global_load_b128 v[13:16], v[11:12], off
	s_waitcnt vmcnt(0)
	v_sub_co_u32 v11, vcc_lo, v15, s5
	v_subrev_co_ci_u32_e32 v12, vcc_lo, 0, v16, vcc_lo
	v_add_co_u32 v13, vcc_lo, v13, v28
	v_add_co_ci_u32_e32 v14, vcc_lo, v14, v29, vcc_lo
	s_delay_alu instid0(VALU_DEP_1)
	v_cmpx_lt_i64_e64 v[13:14], v[11:12]
	s_cbranch_execz .LBB249_11
; %bb.13:                               ;   in Loop: Header=BB249_12 Depth=1
	v_lshlrev_b64 v[15:16], 4, v[9:10]
	s_mov_b32 s13, 0
	s_delay_alu instid0(VALU_DEP_1) | instskip(NEXT) | instid1(VALU_DEP_2)
	v_add_co_u32 v15, vcc_lo, s8, v15
	v_add_co_ci_u32_e32 v16, vcc_lo, s9, v16, vcc_lo
	global_load_b128 v[17:20], v[15:16], off
	s_waitcnt vmcnt(0)
	v_mul_f64 v[15:16], v[19:20], -v[7:8]
	v_mul_f64 v[19:20], v[5:6], v[19:20]
	s_delay_alu instid0(VALU_DEP_2) | instskip(NEXT) | instid1(VALU_DEP_2)
	v_fma_f64 v[15:16], v[5:6], v[17:18], v[15:16]
	v_fma_f64 v[17:18], v[7:8], v[17:18], v[19:20]
	s_branch .LBB249_15
.LBB249_14:                             ;   in Loop: Header=BB249_15 Depth=2
	s_or_b32 exec_lo, exec_lo, s14
	v_add_co_u32 v13, vcc_lo, v13, 64
	v_add_co_ci_u32_e32 v14, vcc_lo, 0, v14, vcc_lo
	s_delay_alu instid0(VALU_DEP_1) | instskip(SKIP_1) | instid1(SALU_CYCLE_1)
	v_cmp_ge_i64_e32 vcc_lo, v[13:14], v[11:12]
	s_or_b32 s13, vcc_lo, s13
	s_and_not1_b32 exec_lo, exec_lo, s13
	s_cbranch_execz .LBB249_11
.LBB249_15:                             ;   Parent Loop BB249_12 Depth=1
                                        ; =>  This Loop Header: Depth=2
                                        ;       Child Loop BB249_17 Depth 3
                                        ;         Child Loop BB249_23 Depth 4
                                        ;         Child Loop BB249_25 Depth 4
	;; [unrolled: 1-line block ×4, first 2 shown]
	v_lshlrev_b64 v[19:20], 4, v[13:14]
	s_mov_b32 s14, 0
	s_delay_alu instid0(VALU_DEP_1) | instskip(NEXT) | instid1(VALU_DEP_2)
	v_add_co_u32 v19, vcc_lo, s18, v19
	v_add_co_ci_u32_e32 v20, vcc_lo, s19, v20, vcc_lo
	global_load_b128 v[21:24], v[19:20], off
	v_lshlrev_b64 v[19:20], 2, v[13:14]
	s_delay_alu instid0(VALU_DEP_1) | instskip(NEXT) | instid1(VALU_DEP_2)
	v_add_co_u32 v19, vcc_lo, s16, v19
	v_add_co_ci_u32_e32 v20, vcc_lo, s17, v20, vcc_lo
	global_load_b32 v30, v[19:20], off
	s_waitcnt vmcnt(1)
	v_mul_f64 v[19:20], v[23:24], -v[17:18]
	v_mul_f64 v[23:24], v[15:16], v[23:24]
	s_waitcnt vmcnt(0)
	v_subrev_nc_u32_e32 v30, s45, v30
	s_delay_alu instid0(VALU_DEP_3) | instskip(NEXT) | instid1(VALU_DEP_3)
	v_fma_f64 v[19:20], v[15:16], v[21:22], v[19:20]
	v_fma_f64 v[21:22], v[17:18], v[21:22], v[23:24]
	s_delay_alu instid0(VALU_DEP_3) | instskip(NEXT) | instid1(VALU_DEP_1)
	v_mul_lo_u32 v23, 0x89, v30
	v_and_b32_e32 v31, 0xfff, v23
	s_branch .LBB249_17
.LBB249_16:                             ;   in Loop: Header=BB249_17 Depth=3
	s_or_b32 exec_lo, exec_lo, s15
	s_xor_b32 s15, s20, -1
	s_delay_alu instid0(SALU_CYCLE_1) | instskip(NEXT) | instid1(SALU_CYCLE_1)
	s_and_b32 s15, exec_lo, s15
	s_or_b32 s14, s15, s14
	s_delay_alu instid0(SALU_CYCLE_1)
	s_and_not1_b32 exec_lo, exec_lo, s14
	s_cbranch_execz .LBB249_14
.LBB249_17:                             ;   Parent Loop BB249_12 Depth=1
                                        ;     Parent Loop BB249_15 Depth=2
                                        ; =>    This Loop Header: Depth=3
                                        ;         Child Loop BB249_23 Depth 4
                                        ;         Child Loop BB249_25 Depth 4
	;; [unrolled: 1-line block ×4, first 2 shown]
	s_delay_alu instid0(VALU_DEP_1)
	v_lshl_add_u32 v23, v31, 2, 0
	s_mov_b32 s15, exec_lo
                                        ; implicit-def: $sgpr20
	ds_load_b32 v24, v23
	s_waitcnt lgkmcnt(0)
	v_cmpx_ne_u32_e64 v24, v30
	s_xor_b32 s15, exec_lo, s15
	s_cbranch_execz .LBB249_29
; %bb.18:                               ;   in Loop: Header=BB249_17 Depth=3
	s_mov_b32 s21, exec_lo
                                        ; implicit-def: $sgpr20
	v_cmpx_ne_u32_e64 s33, v24
	s_xor_b32 s21, exec_lo, s21
; %bb.19:                               ;   in Loop: Header=BB249_17 Depth=3
	v_add_nc_u32_e32 v23, 1, v31
	s_mov_b32 s20, -1
	s_delay_alu instid0(VALU_DEP_1)
	v_and_b32_e32 v31, 0xfff, v23
                                        ; implicit-def: $vgpr23
; %bb.20:                               ;   in Loop: Header=BB249_17 Depth=3
	s_and_not1_saveexec_b32 s21, s21
	s_cbranch_execz .LBB249_28
; %bb.21:                               ;   in Loop: Header=BB249_17 Depth=3
	v_mov_b32_e32 v24, s33
	s_mov_b32 s23, -1
	s_mov_b32 s22, exec_lo
	ds_cmpstore_rtn_b32 v24, v23, v30, v24
	s_waitcnt lgkmcnt(0)
	v_cmpx_eq_u32_e64 s33, v24
	s_cbranch_execz .LBB249_27
; %bb.22:                               ;   in Loop: Header=BB249_17 Depth=3
	v_mul_lo_u32 v24, v31, 12
	s_mov_b32 s23, 0
	s_delay_alu instid0(VALU_DEP_1)
	v_add_nc_u32_e32 v32, v23, v24
	ds_load_b64 v[23:24], v32 offset:16384
.LBB249_23:                             ;   Parent Loop BB249_12 Depth=1
                                        ;     Parent Loop BB249_15 Depth=2
                                        ;       Parent Loop BB249_17 Depth=3
                                        ; =>      This Inner Loop Header: Depth=4
	s_waitcnt lgkmcnt(0)
	v_add_f64 v[33:34], v[23:24], v[19:20]
	ds_cmpstore_rtn_b64 v[33:34], v32, v[33:34], v[23:24] offset:16384
	s_waitcnt lgkmcnt(0)
	v_cmp_eq_u64_e32 vcc_lo, v[33:34], v[23:24]
	v_dual_mov_b32 v23, v33 :: v_dual_mov_b32 v24, v34
	s_or_b32 s23, vcc_lo, s23
	s_delay_alu instid0(SALU_CYCLE_1)
	s_and_not1_b32 exec_lo, exec_lo, s23
	s_cbranch_execnz .LBB249_23
; %bb.24:                               ;   in Loop: Header=BB249_17 Depth=3
	s_or_b32 exec_lo, exec_lo, s23
	ds_load_b64 v[23:24], v32 offset:16392
	s_mov_b32 s23, 0
.LBB249_25:                             ;   Parent Loop BB249_12 Depth=1
                                        ;     Parent Loop BB249_15 Depth=2
                                        ;       Parent Loop BB249_17 Depth=3
                                        ; =>      This Inner Loop Header: Depth=4
	s_waitcnt lgkmcnt(0)
	v_add_f64 v[33:34], v[23:24], v[21:22]
	ds_cmpstore_rtn_b64 v[33:34], v32, v[33:34], v[23:24] offset:16392
	s_waitcnt lgkmcnt(0)
	v_cmp_eq_u64_e32 vcc_lo, v[33:34], v[23:24]
	v_dual_mov_b32 v23, v33 :: v_dual_mov_b32 v24, v34
	s_or_b32 s23, vcc_lo, s23
	s_delay_alu instid0(SALU_CYCLE_1)
	s_and_not1_b32 exec_lo, exec_lo, s23
	s_cbranch_execnz .LBB249_25
; %bb.26:                               ;   in Loop: Header=BB249_17 Depth=3
	s_or_b32 exec_lo, exec_lo, s23
	s_delay_alu instid0(SALU_CYCLE_1)
	s_xor_b32 s23, exec_lo, -1
.LBB249_27:                             ;   in Loop: Header=BB249_17 Depth=3
	s_or_b32 exec_lo, exec_lo, s22
	s_delay_alu instid0(SALU_CYCLE_1) | instskip(SKIP_1) | instid1(SALU_CYCLE_1)
	s_and_not1_b32 s20, s20, exec_lo
	s_and_b32 s22, s23, exec_lo
	s_or_b32 s20, s20, s22
.LBB249_28:                             ;   in Loop: Header=BB249_17 Depth=3
	s_or_b32 exec_lo, exec_lo, s21
	s_delay_alu instid0(SALU_CYCLE_1)
	s_and_b32 s20, s20, exec_lo
                                        ; implicit-def: $vgpr23
.LBB249_29:                             ;   in Loop: Header=BB249_17 Depth=3
	s_and_not1_saveexec_b32 s15, s15
	s_cbranch_execz .LBB249_16
; %bb.30:                               ;   in Loop: Header=BB249_17 Depth=3
	v_mul_lo_u32 v24, v31, 12
	s_mov_b32 s21, 0
	s_delay_alu instid0(VALU_DEP_1)
	v_add_nc_u32_e32 v32, v23, v24
	ds_load_b64 v[23:24], v32 offset:16384
.LBB249_31:                             ;   Parent Loop BB249_12 Depth=1
                                        ;     Parent Loop BB249_15 Depth=2
                                        ;       Parent Loop BB249_17 Depth=3
                                        ; =>      This Inner Loop Header: Depth=4
	s_waitcnt lgkmcnt(0)
	v_add_f64 v[33:34], v[23:24], v[19:20]
	ds_cmpstore_rtn_b64 v[33:34], v32, v[33:34], v[23:24] offset:16384
	s_waitcnt lgkmcnt(0)
	v_cmp_eq_u64_e32 vcc_lo, v[33:34], v[23:24]
	v_dual_mov_b32 v23, v33 :: v_dual_mov_b32 v24, v34
	s_or_b32 s21, vcc_lo, s21
	s_delay_alu instid0(SALU_CYCLE_1)
	s_and_not1_b32 exec_lo, exec_lo, s21
	s_cbranch_execnz .LBB249_31
; %bb.32:                               ;   in Loop: Header=BB249_17 Depth=3
	s_or_b32 exec_lo, exec_lo, s21
	ds_load_b64 v[23:24], v32 offset:16392
	s_mov_b32 s21, 0
.LBB249_33:                             ;   Parent Loop BB249_12 Depth=1
                                        ;     Parent Loop BB249_15 Depth=2
                                        ;       Parent Loop BB249_17 Depth=3
                                        ; =>      This Inner Loop Header: Depth=4
	s_waitcnt lgkmcnt(0)
	v_add_f64 v[33:34], v[23:24], v[21:22]
	ds_cmpstore_rtn_b64 v[33:34], v32, v[33:34], v[23:24] offset:16392
	s_waitcnt lgkmcnt(0)
	v_cmp_eq_u64_e32 vcc_lo, v[33:34], v[23:24]
	v_dual_mov_b32 v23, v33 :: v_dual_mov_b32 v24, v34
	s_or_b32 s21, vcc_lo, s21
	s_delay_alu instid0(SALU_CYCLE_1)
	s_and_not1_b32 exec_lo, exec_lo, s21
	s_cbranch_execnz .LBB249_33
; %bb.34:                               ;   in Loop: Header=BB249_17 Depth=3
	s_or_b32 exec_lo, exec_lo, s21
	s_delay_alu instid0(SALU_CYCLE_1)
	s_and_not1_b32 s20, s20, exec_lo
	s_branch .LBB249_16
.LBB249_35:
	s_or_b32 exec_lo, exec_lo, s2
.LBB249_36:
	s_delay_alu instid0(SALU_CYCLE_1)
	s_and_not1_b32 vcc_lo, exec_lo, s3
	s_cbranch_vccnz .LBB249_39
; %bb.37:
	s_waitcnt lgkmcnt(0)
	s_ashr_i32 s35, s34, 31
	v_sub_co_u32 v5, s4, v0, s47
	s_lshl_b64 s[0:1], s[34:35], 3
	v_sub_co_ci_u32_e64 v6, null, 0, 0, s4
	s_add_u32 s0, s36, s0
	s_addc_u32 s1, s37, s1
	s_load_b128 s[0:3], s[0:1], 0x0
	s_waitcnt lgkmcnt(0)
	v_add_co_u32 v5, vcc_lo, s0, v5
	v_add_co_ci_u32_e32 v6, vcc_lo, s1, v6, vcc_lo
	s_sub_u32 s0, s2, s47
	s_subb_u32 s1, s3, 0
	s_mov_b32 s3, 0
	s_mov_b32 s2, exec_lo
	v_cmpx_gt_i64_e64 s[0:1], v[5:6]
	s_cbranch_execnz .LBB249_108
.LBB249_38:
	s_or_b32 exec_lo, exec_lo, s2
.LBB249_39:
	v_mbcnt_lo_u32_b32 v1, -1, 0
	v_lshrrev_b32_e32 v2, 3, v0
	s_add_i32 s70, 0, 0x1407c
	v_cmp_eq_u32_e32 vcc_lo, 0x3ff, v0
	v_cmp_lt_u32_e64 s0, 31, v0
	v_xor_b32_e32 v1, 63, v1
	v_dual_mov_b32 v4, s70 :: v_dual_and_b32 v3, 0x7c, v2
	v_cmp_lt_u32_e64 s1, 63, v0
	v_cmp_lt_u32_e64 s2, 0x5f, v0
	s_delay_alu instid0(VALU_DEP_4) | instskip(NEXT) | instid1(VALU_DEP_4)
	v_lshrrev_b64 v[1:2], v1, -1
	v_add3_u32 v2, 0, 0x14000, v3
	v_cmp_lt_u32_e64 s3, 0x7f, v0
	v_cmp_lt_u32_e64 s4, 0x9f, v0
	;; [unrolled: 1-line block ×28, first 2 shown]
	v_mov_b32_e32 v3, 0
	s_mov_b32 s35, 0
	s_add_i32 s36, 0, 0x14000
	s_add_i32 s37, 0, 0x14004
	;; [unrolled: 1-line block ×31, first 2 shown]
	s_waitcnt lgkmcnt(0)
	s_barrier
	buffer_gl0_inv
	s_branch .LBB249_41
.LBB249_40:                             ;   in Loop: Header=BB249_41 Depth=1
	s_or_b32 exec_lo, exec_lo, s31
	s_waitcnt lgkmcnt(0)
	s_barrier
	buffer_gl0_inv
	ds_load_b32 v5, v4
	v_add_nc_u32_e32 v25, 0x400, v25
	v_add_nc_u32_e32 v27, 0x4000, v27
	;; [unrolled: 1-line block ×3, first 2 shown]
	s_delay_alu instid0(VALU_DEP_3) | instskip(NEXT) | instid1(VALU_DEP_1)
	v_cmp_lt_u32_e64 s31, 0xbff, v25
	s_or_b32 s35, s31, s35
	s_waitcnt lgkmcnt(0)
	v_add_nc_u32_e32 v3, v5, v3
	s_and_not1_b32 exec_lo, exec_lo, s35
	s_cbranch_execz .LBB249_128
.LBB249_41:                             ; =>This Inner Loop Header: Depth=1
	ds_load_b32 v5, v26
	ds_load_2addr_b64 v[6:9], v27 offset1:1
	s_waitcnt lgkmcnt(1)
	v_cmp_gt_i32_e64 s31, s33, v5
	s_waitcnt lgkmcnt(0)
	scratch_store_b128 off, v[6:9], off
	s_waitcnt_vscnt null, 0x0
	s_barrier
	buffer_gl0_inv
	s_bcnt1_i32_b32 s75, s31
	s_delay_alu instid0(SALU_CYCLE_1) | instskip(NEXT) | instid1(VALU_DEP_1)
	v_dual_mov_b32 v7, s75 :: v_dual_and_b32 v6, s31, v1
	v_bcnt_u32_b32 v6, v6, 0
	ds_store_b32 v2, v7
	s_waitcnt lgkmcnt(0)
	s_barrier
	buffer_gl0_inv
	s_and_saveexec_b32 s75, s0
	s_cbranch_execnz .LBB249_74
; %bb.42:                               ;   in Loop: Header=BB249_41 Depth=1
	s_or_b32 exec_lo, exec_lo, s75
	s_and_saveexec_b32 s75, s1
	s_cbranch_execnz .LBB249_75
.LBB249_43:                             ;   in Loop: Header=BB249_41 Depth=1
	s_or_b32 exec_lo, exec_lo, s75
	s_and_saveexec_b32 s75, s2
	s_cbranch_execnz .LBB249_76
.LBB249_44:                             ;   in Loop: Header=BB249_41 Depth=1
	s_or_b32 exec_lo, exec_lo, s75
	s_and_saveexec_b32 s75, s3
	s_cbranch_execnz .LBB249_77
.LBB249_45:                             ;   in Loop: Header=BB249_41 Depth=1
	s_or_b32 exec_lo, exec_lo, s75
	s_and_saveexec_b32 s75, s4
	s_cbranch_execnz .LBB249_78
.LBB249_46:                             ;   in Loop: Header=BB249_41 Depth=1
	s_or_b32 exec_lo, exec_lo, s75
	s_and_saveexec_b32 s75, s5
	s_cbranch_execnz .LBB249_79
.LBB249_47:                             ;   in Loop: Header=BB249_41 Depth=1
	s_or_b32 exec_lo, exec_lo, s75
	s_and_saveexec_b32 s75, s6
	s_cbranch_execnz .LBB249_80
.LBB249_48:                             ;   in Loop: Header=BB249_41 Depth=1
	s_or_b32 exec_lo, exec_lo, s75
	s_and_saveexec_b32 s75, s7
	s_cbranch_execnz .LBB249_81
.LBB249_49:                             ;   in Loop: Header=BB249_41 Depth=1
	s_or_b32 exec_lo, exec_lo, s75
	s_and_saveexec_b32 s75, s8
	s_cbranch_execnz .LBB249_82
.LBB249_50:                             ;   in Loop: Header=BB249_41 Depth=1
	s_or_b32 exec_lo, exec_lo, s75
	s_and_saveexec_b32 s75, s9
	s_cbranch_execnz .LBB249_83
.LBB249_51:                             ;   in Loop: Header=BB249_41 Depth=1
	s_or_b32 exec_lo, exec_lo, s75
	s_and_saveexec_b32 s75, s10
	s_cbranch_execnz .LBB249_84
.LBB249_52:                             ;   in Loop: Header=BB249_41 Depth=1
	s_or_b32 exec_lo, exec_lo, s75
	s_and_saveexec_b32 s75, s11
	s_cbranch_execnz .LBB249_85
.LBB249_53:                             ;   in Loop: Header=BB249_41 Depth=1
	s_or_b32 exec_lo, exec_lo, s75
	s_and_saveexec_b32 s75, s12
	s_cbranch_execnz .LBB249_86
.LBB249_54:                             ;   in Loop: Header=BB249_41 Depth=1
	s_or_b32 exec_lo, exec_lo, s75
	s_and_saveexec_b32 s75, s13
	s_cbranch_execnz .LBB249_87
.LBB249_55:                             ;   in Loop: Header=BB249_41 Depth=1
	s_or_b32 exec_lo, exec_lo, s75
	s_and_saveexec_b32 s75, s14
	s_cbranch_execnz .LBB249_88
.LBB249_56:                             ;   in Loop: Header=BB249_41 Depth=1
	s_or_b32 exec_lo, exec_lo, s75
	s_and_saveexec_b32 s75, s15
	s_cbranch_execnz .LBB249_89
.LBB249_57:                             ;   in Loop: Header=BB249_41 Depth=1
	s_or_b32 exec_lo, exec_lo, s75
	s_and_saveexec_b32 s75, s16
	s_cbranch_execnz .LBB249_90
.LBB249_58:                             ;   in Loop: Header=BB249_41 Depth=1
	s_or_b32 exec_lo, exec_lo, s75
	s_and_saveexec_b32 s75, s17
	s_cbranch_execnz .LBB249_91
.LBB249_59:                             ;   in Loop: Header=BB249_41 Depth=1
	s_or_b32 exec_lo, exec_lo, s75
	s_and_saveexec_b32 s75, s18
	s_cbranch_execnz .LBB249_92
.LBB249_60:                             ;   in Loop: Header=BB249_41 Depth=1
	s_or_b32 exec_lo, exec_lo, s75
	s_and_saveexec_b32 s75, s19
	s_cbranch_execnz .LBB249_93
.LBB249_61:                             ;   in Loop: Header=BB249_41 Depth=1
	s_or_b32 exec_lo, exec_lo, s75
	s_and_saveexec_b32 s75, s20
	s_cbranch_execnz .LBB249_94
.LBB249_62:                             ;   in Loop: Header=BB249_41 Depth=1
	s_or_b32 exec_lo, exec_lo, s75
	s_and_saveexec_b32 s75, s21
	s_cbranch_execnz .LBB249_95
.LBB249_63:                             ;   in Loop: Header=BB249_41 Depth=1
	s_or_b32 exec_lo, exec_lo, s75
	s_and_saveexec_b32 s75, s22
	s_cbranch_execnz .LBB249_96
.LBB249_64:                             ;   in Loop: Header=BB249_41 Depth=1
	s_or_b32 exec_lo, exec_lo, s75
	s_and_saveexec_b32 s75, s23
	s_cbranch_execnz .LBB249_97
.LBB249_65:                             ;   in Loop: Header=BB249_41 Depth=1
	s_or_b32 exec_lo, exec_lo, s75
	s_and_saveexec_b32 s75, s24
	s_cbranch_execnz .LBB249_98
.LBB249_66:                             ;   in Loop: Header=BB249_41 Depth=1
	s_or_b32 exec_lo, exec_lo, s75
	s_and_saveexec_b32 s75, s25
	s_cbranch_execnz .LBB249_99
.LBB249_67:                             ;   in Loop: Header=BB249_41 Depth=1
	s_or_b32 exec_lo, exec_lo, s75
	s_and_saveexec_b32 s75, s26
	s_cbranch_execnz .LBB249_100
.LBB249_68:                             ;   in Loop: Header=BB249_41 Depth=1
	s_or_b32 exec_lo, exec_lo, s75
	s_and_saveexec_b32 s75, s27
	s_cbranch_execnz .LBB249_101
.LBB249_69:                             ;   in Loop: Header=BB249_41 Depth=1
	s_or_b32 exec_lo, exec_lo, s75
	s_and_saveexec_b32 s75, s28
	s_cbranch_execnz .LBB249_102
.LBB249_70:                             ;   in Loop: Header=BB249_41 Depth=1
	s_or_b32 exec_lo, exec_lo, s75
	s_and_saveexec_b32 s75, s29
	s_cbranch_execnz .LBB249_103
.LBB249_71:                             ;   in Loop: Header=BB249_41 Depth=1
	s_or_b32 exec_lo, exec_lo, s75
	s_and_saveexec_b32 s75, s30
	s_cbranch_execnz .LBB249_104
.LBB249_72:                             ;   in Loop: Header=BB249_41 Depth=1
	s_or_b32 exec_lo, exec_lo, s75
	s_and_saveexec_b32 s75, s31
	s_cbranch_execnz .LBB249_105
.LBB249_73:                             ;   in Loop: Header=BB249_41 Depth=1
	s_or_b32 exec_lo, exec_lo, s75
	s_and_saveexec_b32 s31, vcc_lo
	s_cbranch_execz .LBB249_40
	s_branch .LBB249_106
.LBB249_74:                             ;   in Loop: Header=BB249_41 Depth=1
	v_mov_b32_e32 v7, s36
	ds_load_b32 v7, v7
	s_waitcnt lgkmcnt(0)
	v_add_nc_u32_e32 v6, v7, v6
	s_or_b32 exec_lo, exec_lo, s75
	s_and_saveexec_b32 s75, s1
	s_cbranch_execz .LBB249_43
.LBB249_75:                             ;   in Loop: Header=BB249_41 Depth=1
	v_mov_b32_e32 v7, s37
	ds_load_b32 v7, v7
	s_waitcnt lgkmcnt(0)
	v_add_nc_u32_e32 v6, v7, v6
	s_or_b32 exec_lo, exec_lo, s75
	s_and_saveexec_b32 s75, s2
	s_cbranch_execz .LBB249_44
.LBB249_76:                             ;   in Loop: Header=BB249_41 Depth=1
	v_mov_b32_e32 v7, s38
	ds_load_b32 v7, v7
	s_waitcnt lgkmcnt(0)
	v_add_nc_u32_e32 v6, v7, v6
	s_or_b32 exec_lo, exec_lo, s75
	s_and_saveexec_b32 s75, s3
	s_cbranch_execz .LBB249_45
.LBB249_77:                             ;   in Loop: Header=BB249_41 Depth=1
	v_mov_b32_e32 v7, s39
	ds_load_b32 v7, v7
	s_waitcnt lgkmcnt(0)
	v_add_nc_u32_e32 v6, v7, v6
	s_or_b32 exec_lo, exec_lo, s75
	s_and_saveexec_b32 s75, s4
	s_cbranch_execz .LBB249_46
.LBB249_78:                             ;   in Loop: Header=BB249_41 Depth=1
	v_mov_b32_e32 v7, s40
	ds_load_b32 v7, v7
	s_waitcnt lgkmcnt(0)
	v_add_nc_u32_e32 v6, v7, v6
	s_or_b32 exec_lo, exec_lo, s75
	s_and_saveexec_b32 s75, s5
	s_cbranch_execz .LBB249_47
.LBB249_79:                             ;   in Loop: Header=BB249_41 Depth=1
	v_mov_b32_e32 v7, s41
	ds_load_b32 v7, v7
	s_waitcnt lgkmcnt(0)
	v_add_nc_u32_e32 v6, v7, v6
	s_or_b32 exec_lo, exec_lo, s75
	s_and_saveexec_b32 s75, s6
	s_cbranch_execz .LBB249_48
.LBB249_80:                             ;   in Loop: Header=BB249_41 Depth=1
	v_mov_b32_e32 v7, s44
	ds_load_b32 v7, v7
	s_waitcnt lgkmcnt(0)
	v_add_nc_u32_e32 v6, v7, v6
	s_or_b32 exec_lo, exec_lo, s75
	s_and_saveexec_b32 s75, s7
	s_cbranch_execz .LBB249_49
.LBB249_81:                             ;   in Loop: Header=BB249_41 Depth=1
	v_mov_b32_e32 v7, s45
	ds_load_b32 v7, v7
	s_waitcnt lgkmcnt(0)
	v_add_nc_u32_e32 v6, v7, v6
	s_or_b32 exec_lo, exec_lo, s75
	s_and_saveexec_b32 s75, s8
	s_cbranch_execz .LBB249_50
.LBB249_82:                             ;   in Loop: Header=BB249_41 Depth=1
	v_mov_b32_e32 v7, s47
	ds_load_b32 v7, v7
	s_waitcnt lgkmcnt(0)
	v_add_nc_u32_e32 v6, v7, v6
	s_or_b32 exec_lo, exec_lo, s75
	s_and_saveexec_b32 s75, s9
	s_cbranch_execz .LBB249_51
.LBB249_83:                             ;   in Loop: Header=BB249_41 Depth=1
	v_mov_b32_e32 v7, s52
	ds_load_b32 v7, v7
	s_waitcnt lgkmcnt(0)
	v_add_nc_u32_e32 v6, v7, v6
	s_or_b32 exec_lo, exec_lo, s75
	s_and_saveexec_b32 s75, s10
	s_cbranch_execz .LBB249_52
.LBB249_84:                             ;   in Loop: Header=BB249_41 Depth=1
	v_mov_b32_e32 v7, s53
	ds_load_b32 v7, v7
	s_waitcnt lgkmcnt(0)
	v_add_nc_u32_e32 v6, v7, v6
	s_or_b32 exec_lo, exec_lo, s75
	s_and_saveexec_b32 s75, s11
	s_cbranch_execz .LBB249_53
.LBB249_85:                             ;   in Loop: Header=BB249_41 Depth=1
	v_mov_b32_e32 v7, s54
	ds_load_b32 v7, v7
	s_waitcnt lgkmcnt(0)
	v_add_nc_u32_e32 v6, v7, v6
	s_or_b32 exec_lo, exec_lo, s75
	s_and_saveexec_b32 s75, s12
	s_cbranch_execz .LBB249_54
.LBB249_86:                             ;   in Loop: Header=BB249_41 Depth=1
	v_mov_b32_e32 v7, s55
	ds_load_b32 v7, v7
	s_waitcnt lgkmcnt(0)
	v_add_nc_u32_e32 v6, v7, v6
	s_or_b32 exec_lo, exec_lo, s75
	s_and_saveexec_b32 s75, s13
	s_cbranch_execz .LBB249_55
.LBB249_87:                             ;   in Loop: Header=BB249_41 Depth=1
	v_mov_b32_e32 v7, s56
	ds_load_b32 v7, v7
	s_waitcnt lgkmcnt(0)
	v_add_nc_u32_e32 v6, v7, v6
	s_or_b32 exec_lo, exec_lo, s75
	s_and_saveexec_b32 s75, s14
	s_cbranch_execz .LBB249_56
.LBB249_88:                             ;   in Loop: Header=BB249_41 Depth=1
	v_mov_b32_e32 v7, s57
	ds_load_b32 v7, v7
	s_waitcnt lgkmcnt(0)
	v_add_nc_u32_e32 v6, v7, v6
	s_or_b32 exec_lo, exec_lo, s75
	s_and_saveexec_b32 s75, s15
	s_cbranch_execz .LBB249_57
.LBB249_89:                             ;   in Loop: Header=BB249_41 Depth=1
	v_mov_b32_e32 v7, s58
	ds_load_b32 v7, v7
	s_waitcnt lgkmcnt(0)
	v_add_nc_u32_e32 v6, v7, v6
	s_or_b32 exec_lo, exec_lo, s75
	s_and_saveexec_b32 s75, s16
	s_cbranch_execz .LBB249_58
.LBB249_90:                             ;   in Loop: Header=BB249_41 Depth=1
	v_mov_b32_e32 v7, s59
	ds_load_b32 v7, v7
	s_waitcnt lgkmcnt(0)
	v_add_nc_u32_e32 v6, v7, v6
	s_or_b32 exec_lo, exec_lo, s75
	s_and_saveexec_b32 s75, s17
	s_cbranch_execz .LBB249_59
.LBB249_91:                             ;   in Loop: Header=BB249_41 Depth=1
	v_mov_b32_e32 v7, s60
	ds_load_b32 v7, v7
	s_waitcnt lgkmcnt(0)
	v_add_nc_u32_e32 v6, v7, v6
	s_or_b32 exec_lo, exec_lo, s75
	s_and_saveexec_b32 s75, s18
	s_cbranch_execz .LBB249_60
.LBB249_92:                             ;   in Loop: Header=BB249_41 Depth=1
	v_mov_b32_e32 v7, s61
	ds_load_b32 v7, v7
	s_waitcnt lgkmcnt(0)
	v_add_nc_u32_e32 v6, v7, v6
	s_or_b32 exec_lo, exec_lo, s75
	s_and_saveexec_b32 s75, s19
	s_cbranch_execz .LBB249_61
.LBB249_93:                             ;   in Loop: Header=BB249_41 Depth=1
	v_mov_b32_e32 v7, s62
	ds_load_b32 v7, v7
	s_waitcnt lgkmcnt(0)
	v_add_nc_u32_e32 v6, v7, v6
	s_or_b32 exec_lo, exec_lo, s75
	s_and_saveexec_b32 s75, s20
	s_cbranch_execz .LBB249_62
.LBB249_94:                             ;   in Loop: Header=BB249_41 Depth=1
	v_mov_b32_e32 v7, s63
	ds_load_b32 v7, v7
	s_waitcnt lgkmcnt(0)
	v_add_nc_u32_e32 v6, v7, v6
	s_or_b32 exec_lo, exec_lo, s75
	s_and_saveexec_b32 s75, s21
	s_cbranch_execz .LBB249_63
.LBB249_95:                             ;   in Loop: Header=BB249_41 Depth=1
	v_mov_b32_e32 v7, s64
	ds_load_b32 v7, v7
	s_waitcnt lgkmcnt(0)
	v_add_nc_u32_e32 v6, v7, v6
	s_or_b32 exec_lo, exec_lo, s75
	s_and_saveexec_b32 s75, s22
	s_cbranch_execz .LBB249_64
.LBB249_96:                             ;   in Loop: Header=BB249_41 Depth=1
	v_mov_b32_e32 v7, s65
	ds_load_b32 v7, v7
	s_waitcnt lgkmcnt(0)
	v_add_nc_u32_e32 v6, v7, v6
	s_or_b32 exec_lo, exec_lo, s75
	s_and_saveexec_b32 s75, s23
	s_cbranch_execz .LBB249_65
.LBB249_97:                             ;   in Loop: Header=BB249_41 Depth=1
	v_mov_b32_e32 v7, s66
	ds_load_b32 v7, v7
	s_waitcnt lgkmcnt(0)
	v_add_nc_u32_e32 v6, v7, v6
	s_or_b32 exec_lo, exec_lo, s75
	s_and_saveexec_b32 s75, s24
	s_cbranch_execz .LBB249_66
.LBB249_98:                             ;   in Loop: Header=BB249_41 Depth=1
	v_mov_b32_e32 v7, s67
	ds_load_b32 v7, v7
	s_waitcnt lgkmcnt(0)
	v_add_nc_u32_e32 v6, v7, v6
	s_or_b32 exec_lo, exec_lo, s75
	s_and_saveexec_b32 s75, s25
	s_cbranch_execz .LBB249_67
.LBB249_99:                             ;   in Loop: Header=BB249_41 Depth=1
	v_mov_b32_e32 v7, s68
	ds_load_b32 v7, v7
	s_waitcnt lgkmcnt(0)
	v_add_nc_u32_e32 v6, v7, v6
	s_or_b32 exec_lo, exec_lo, s75
	s_and_saveexec_b32 s75, s26
	s_cbranch_execz .LBB249_68
.LBB249_100:                            ;   in Loop: Header=BB249_41 Depth=1
	v_mov_b32_e32 v7, s69
	ds_load_b32 v7, v7
	s_waitcnt lgkmcnt(0)
	v_add_nc_u32_e32 v6, v7, v6
	s_or_b32 exec_lo, exec_lo, s75
	s_and_saveexec_b32 s75, s27
	s_cbranch_execz .LBB249_69
.LBB249_101:                            ;   in Loop: Header=BB249_41 Depth=1
	v_mov_b32_e32 v7, s71
	ds_load_b32 v7, v7
	s_waitcnt lgkmcnt(0)
	v_add_nc_u32_e32 v6, v7, v6
	s_or_b32 exec_lo, exec_lo, s75
	s_and_saveexec_b32 s75, s28
	s_cbranch_execz .LBB249_70
.LBB249_102:                            ;   in Loop: Header=BB249_41 Depth=1
	v_mov_b32_e32 v7, s72
	ds_load_b32 v7, v7
	s_waitcnt lgkmcnt(0)
	v_add_nc_u32_e32 v6, v7, v6
	s_or_b32 exec_lo, exec_lo, s75
	s_and_saveexec_b32 s75, s29
	s_cbranch_execz .LBB249_71
.LBB249_103:                            ;   in Loop: Header=BB249_41 Depth=1
	v_mov_b32_e32 v7, s73
	ds_load_b32 v7, v7
	s_waitcnt lgkmcnt(0)
	v_add_nc_u32_e32 v6, v7, v6
	s_or_b32 exec_lo, exec_lo, s75
	s_and_saveexec_b32 s75, s30
	s_cbranch_execz .LBB249_72
.LBB249_104:                            ;   in Loop: Header=BB249_41 Depth=1
	v_mov_b32_e32 v7, s74
	ds_load_b32 v7, v7
	s_waitcnt lgkmcnt(0)
	v_add_nc_u32_e32 v6, v7, v6
	s_or_b32 exec_lo, exec_lo, s75
	s_and_saveexec_b32 s75, s31
	s_cbranch_execz .LBB249_73
.LBB249_105:                            ;   in Loop: Header=BB249_41 Depth=1
	scratch_load_b128 v[7:10], off, off
	v_add3_u32 v11, v3, -1, v6
	s_delay_alu instid0(VALU_DEP_1) | instskip(SKIP_1) | instid1(VALU_DEP_2)
	v_lshlrev_b32_e32 v12, 4, v11
	v_lshl_add_u32 v11, v11, 2, 0
	v_add3_u32 v12, 0, v12, 0x4000
	ds_store_b32 v11, v5
	s_waitcnt vmcnt(0)
	ds_store_2addr_b64 v12, v[7:8], v[9:10] offset1:1
	s_or_b32 exec_lo, exec_lo, s75
	s_and_saveexec_b32 s31, vcc_lo
	s_cbranch_execz .LBB249_40
.LBB249_106:                            ;   in Loop: Header=BB249_41 Depth=1
	v_mov_b32_e32 v5, s70
	ds_store_b32 v5, v6
	s_branch .LBB249_40
.LBB249_107:                            ;   in Loop: Header=BB249_108 Depth=1
	s_or_b32 exec_lo, exec_lo, s4
	v_add_co_u32 v5, vcc_lo, 0x400, v5
	v_add_co_ci_u32_e32 v6, vcc_lo, 0, v6, vcc_lo
	s_delay_alu instid0(VALU_DEP_1) | instskip(SKIP_1) | instid1(SALU_CYCLE_1)
	v_cmp_le_i64_e32 vcc_lo, s[0:1], v[5:6]
	s_or_b32 s3, vcc_lo, s3
	s_and_not1_b32 exec_lo, exec_lo, s3
	s_cbranch_execz .LBB249_38
.LBB249_108:                            ; =>This Loop Header: Depth=1
                                        ;     Child Loop BB249_110 Depth 2
                                        ;       Child Loop BB249_116 Depth 3
                                        ;       Child Loop BB249_118 Depth 3
	;; [unrolled: 1-line block ×4, first 2 shown]
	v_lshlrev_b64 v[7:8], 4, v[5:6]
	s_mov_b32 s4, 0
	s_delay_alu instid0(VALU_DEP_1) | instskip(NEXT) | instid1(VALU_DEP_2)
	v_add_co_u32 v7, vcc_lo, s40, v7
	v_add_co_ci_u32_e32 v8, vcc_lo, s41, v8, vcc_lo
	global_load_b128 v[9:12], v[7:8], off
	v_lshlrev_b64 v[7:8], 2, v[5:6]
	s_delay_alu instid0(VALU_DEP_1) | instskip(NEXT) | instid1(VALU_DEP_2)
	v_add_co_u32 v7, vcc_lo, s38, v7
	v_add_co_ci_u32_e32 v8, vcc_lo, s39, v8, vcc_lo
	global_load_b32 v13, v[7:8], off
	s_waitcnt vmcnt(1)
	v_mul_f64 v[7:8], v[11:12], -v[1:2]
	v_mul_f64 v[11:12], v[3:4], v[11:12]
	s_waitcnt vmcnt(0)
	v_subrev_nc_u32_e32 v13, s47, v13
	s_delay_alu instid0(VALU_DEP_3) | instskip(NEXT) | instid1(VALU_DEP_3)
	v_fma_f64 v[7:8], v[3:4], v[9:10], v[7:8]
	v_fma_f64 v[9:10], v[1:2], v[9:10], v[11:12]
	s_delay_alu instid0(VALU_DEP_3) | instskip(NEXT) | instid1(VALU_DEP_1)
	v_mul_lo_u32 v11, 0x89, v13
	v_and_b32_e32 v14, 0xfff, v11
	s_branch .LBB249_110
.LBB249_109:                            ;   in Loop: Header=BB249_110 Depth=2
	s_or_b32 exec_lo, exec_lo, s5
	s_xor_b32 s5, s6, -1
	s_delay_alu instid0(SALU_CYCLE_1) | instskip(NEXT) | instid1(SALU_CYCLE_1)
	s_and_b32 s5, exec_lo, s5
	s_or_b32 s4, s5, s4
	s_delay_alu instid0(SALU_CYCLE_1)
	s_and_not1_b32 exec_lo, exec_lo, s4
	s_cbranch_execz .LBB249_107
.LBB249_110:                            ;   Parent Loop BB249_108 Depth=1
                                        ; =>  This Loop Header: Depth=2
                                        ;       Child Loop BB249_116 Depth 3
                                        ;       Child Loop BB249_118 Depth 3
	;; [unrolled: 1-line block ×4, first 2 shown]
	s_delay_alu instid0(VALU_DEP_1)
	v_lshl_add_u32 v11, v14, 2, 0
	s_mov_b32 s5, exec_lo
                                        ; implicit-def: $sgpr6
	ds_load_b32 v12, v11
	s_waitcnt lgkmcnt(0)
	v_cmpx_ne_u32_e64 v12, v13
	s_xor_b32 s5, exec_lo, s5
	s_cbranch_execz .LBB249_122
; %bb.111:                              ;   in Loop: Header=BB249_110 Depth=2
	s_mov_b32 s7, exec_lo
                                        ; implicit-def: $sgpr6
	v_cmpx_ne_u32_e64 s33, v12
	s_xor_b32 s7, exec_lo, s7
; %bb.112:                              ;   in Loop: Header=BB249_110 Depth=2
	v_add_nc_u32_e32 v11, 1, v14
	s_mov_b32 s6, -1
	s_delay_alu instid0(VALU_DEP_1)
	v_and_b32_e32 v14, 0xfff, v11
                                        ; implicit-def: $vgpr11
; %bb.113:                              ;   in Loop: Header=BB249_110 Depth=2
	s_and_not1_saveexec_b32 s7, s7
	s_cbranch_execz .LBB249_121
; %bb.114:                              ;   in Loop: Header=BB249_110 Depth=2
	v_mov_b32_e32 v12, s33
	s_mov_b32 s9, -1
	s_mov_b32 s8, exec_lo
	ds_cmpstore_rtn_b32 v12, v11, v13, v12
	s_waitcnt lgkmcnt(0)
	v_cmpx_eq_u32_e64 s33, v12
	s_cbranch_execz .LBB249_120
; %bb.115:                              ;   in Loop: Header=BB249_110 Depth=2
	v_mul_lo_u32 v12, v14, 12
	s_mov_b32 s9, 0
	s_delay_alu instid0(VALU_DEP_1)
	v_add_nc_u32_e32 v15, v11, v12
	ds_load_b64 v[11:12], v15 offset:16384
.LBB249_116:                            ;   Parent Loop BB249_108 Depth=1
                                        ;     Parent Loop BB249_110 Depth=2
                                        ; =>    This Inner Loop Header: Depth=3
	s_waitcnt lgkmcnt(0)
	v_add_f64 v[16:17], v[11:12], v[7:8]
	ds_cmpstore_rtn_b64 v[16:17], v15, v[16:17], v[11:12] offset:16384
	s_waitcnt lgkmcnt(0)
	v_cmp_eq_u64_e32 vcc_lo, v[16:17], v[11:12]
	v_dual_mov_b32 v11, v16 :: v_dual_mov_b32 v12, v17
	s_or_b32 s9, vcc_lo, s9
	s_delay_alu instid0(SALU_CYCLE_1)
	s_and_not1_b32 exec_lo, exec_lo, s9
	s_cbranch_execnz .LBB249_116
; %bb.117:                              ;   in Loop: Header=BB249_110 Depth=2
	s_or_b32 exec_lo, exec_lo, s9
	ds_load_b64 v[11:12], v15 offset:16392
	s_mov_b32 s9, 0
.LBB249_118:                            ;   Parent Loop BB249_108 Depth=1
                                        ;     Parent Loop BB249_110 Depth=2
                                        ; =>    This Inner Loop Header: Depth=3
	s_waitcnt lgkmcnt(0)
	v_add_f64 v[16:17], v[11:12], v[9:10]
	ds_cmpstore_rtn_b64 v[16:17], v15, v[16:17], v[11:12] offset:16392
	s_waitcnt lgkmcnt(0)
	v_cmp_eq_u64_e32 vcc_lo, v[16:17], v[11:12]
	v_dual_mov_b32 v11, v16 :: v_dual_mov_b32 v12, v17
	s_or_b32 s9, vcc_lo, s9
	s_delay_alu instid0(SALU_CYCLE_1)
	s_and_not1_b32 exec_lo, exec_lo, s9
	s_cbranch_execnz .LBB249_118
; %bb.119:                              ;   in Loop: Header=BB249_110 Depth=2
	s_or_b32 exec_lo, exec_lo, s9
	s_delay_alu instid0(SALU_CYCLE_1)
	s_xor_b32 s9, exec_lo, -1
.LBB249_120:                            ;   in Loop: Header=BB249_110 Depth=2
	s_or_b32 exec_lo, exec_lo, s8
	s_delay_alu instid0(SALU_CYCLE_1) | instskip(SKIP_1) | instid1(SALU_CYCLE_1)
	s_and_not1_b32 s6, s6, exec_lo
	s_and_b32 s8, s9, exec_lo
	s_or_b32 s6, s6, s8
.LBB249_121:                            ;   in Loop: Header=BB249_110 Depth=2
	s_or_b32 exec_lo, exec_lo, s7
	s_delay_alu instid0(SALU_CYCLE_1)
	s_and_b32 s6, s6, exec_lo
                                        ; implicit-def: $vgpr11
.LBB249_122:                            ;   in Loop: Header=BB249_110 Depth=2
	s_and_not1_saveexec_b32 s5, s5
	s_cbranch_execz .LBB249_109
; %bb.123:                              ;   in Loop: Header=BB249_110 Depth=2
	v_mul_lo_u32 v12, v14, 12
	s_mov_b32 s7, 0
	s_delay_alu instid0(VALU_DEP_1)
	v_add_nc_u32_e32 v15, v11, v12
	ds_load_b64 v[11:12], v15 offset:16384
.LBB249_124:                            ;   Parent Loop BB249_108 Depth=1
                                        ;     Parent Loop BB249_110 Depth=2
                                        ; =>    This Inner Loop Header: Depth=3
	s_waitcnt lgkmcnt(0)
	v_add_f64 v[16:17], v[11:12], v[7:8]
	ds_cmpstore_rtn_b64 v[16:17], v15, v[16:17], v[11:12] offset:16384
	s_waitcnt lgkmcnt(0)
	v_cmp_eq_u64_e32 vcc_lo, v[16:17], v[11:12]
	v_dual_mov_b32 v11, v16 :: v_dual_mov_b32 v12, v17
	s_or_b32 s7, vcc_lo, s7
	s_delay_alu instid0(SALU_CYCLE_1)
	s_and_not1_b32 exec_lo, exec_lo, s7
	s_cbranch_execnz .LBB249_124
; %bb.125:                              ;   in Loop: Header=BB249_110 Depth=2
	s_or_b32 exec_lo, exec_lo, s7
	ds_load_b64 v[11:12], v15 offset:16392
	s_mov_b32 s7, 0
.LBB249_126:                            ;   Parent Loop BB249_108 Depth=1
                                        ;     Parent Loop BB249_110 Depth=2
                                        ; =>    This Inner Loop Header: Depth=3
	s_waitcnt lgkmcnt(0)
	v_add_f64 v[16:17], v[11:12], v[9:10]
	ds_cmpstore_rtn_b64 v[16:17], v15, v[16:17], v[11:12] offset:16392
	s_waitcnt lgkmcnt(0)
	v_cmp_eq_u64_e32 vcc_lo, v[16:17], v[11:12]
	v_dual_mov_b32 v11, v16 :: v_dual_mov_b32 v12, v17
	s_or_b32 s7, vcc_lo, s7
	s_delay_alu instid0(SALU_CYCLE_1)
	s_and_not1_b32 exec_lo, exec_lo, s7
	s_cbranch_execnz .LBB249_126
; %bb.127:                              ;   in Loop: Header=BB249_110 Depth=2
	s_or_b32 exec_lo, exec_lo, s7
	s_delay_alu instid0(SALU_CYCLE_1)
	s_and_not1_b32 s6, s6, exec_lo
	s_branch .LBB249_109
.LBB249_128:
	s_or_b32 exec_lo, exec_lo, s35
	s_ashr_i32 s35, s34, 31
	s_mov_b32 s4, exec_lo
	s_lshl_b64 s[0:1], s[34:35], 3
	s_delay_alu instid0(SALU_CYCLE_1) | instskip(SKIP_4) | instid1(SALU_CYCLE_1)
	s_add_u32 s0, s42, s0
	s_addc_u32 s1, s43, s1
	s_load_b128 s[0:3], s[0:1], 0x0
	s_waitcnt lgkmcnt(0)
	s_sub_i32 s3, s2, s0
	v_cmpx_gt_i32_e64 s3, v0
	s_cbranch_execz .LBB249_138
; %bb.129:
	s_sub_u32 s4, s0, s46
	s_subb_u32 s5, s1, 0
	s_sub_i32 s0, s0, s2
	s_and_b32 s1, s3, 7
	s_cmp_lt_u32 s0, -7
	s_mov_b32 s8, 0
	s_cselect_b32 s2, -1, 0
	s_and_b32 s6, s3, -8
	s_cmp_lg_u32 s1, 0
	s_cselect_b32 s7, -1, 0
	s_branch .LBB249_131
.LBB249_130:                            ;   in Loop: Header=BB249_131 Depth=1
	v_mul_lo_u32 v5, v0, 12
	s_delay_alu instid0(VALU_DEP_2) | instskip(SKIP_4) | instid1(VALU_DEP_4)
	v_lshlrev_b64 v[8:9], 2, v[1:2]
	v_lshlrev_b64 v[1:2], 4, v[1:2]
	v_add_nc_u32_e32 v0, 0x400, v0
	s_waitcnt lgkmcnt(0)
	v_add_nc_u32_e32 v3, s46, v3
	v_add_co_u32 v8, vcc_lo, s48, v8
	v_add3_u32 v4, v4, v5, 0x4000
	v_add_co_ci_u32_e32 v9, vcc_lo, s49, v9, vcc_lo
	v_cmp_le_i32_e32 vcc_lo, s3, v0
	v_add_co_u32 v1, s0, s50, v1
	ds_load_2addr_b64 v[4:7], v4 offset1:1
	v_add_co_ci_u32_e64 v2, s0, s51, v2, s0
	s_or_b32 s8, vcc_lo, s8
	global_store_b32 v[8:9], v3, off
	s_waitcnt lgkmcnt(0)
	global_store_b128 v[1:2], v[4:7], off
	s_and_not1_b32 exec_lo, exec_lo, s8
	s_cbranch_execz .LBB249_138
.LBB249_131:                            ; =>This Loop Header: Depth=1
                                        ;     Child Loop BB249_133 Depth 2
                                        ;     Child Loop BB249_137 Depth 2
	v_lshl_add_u32 v4, v0, 2, 0
	v_dual_mov_b32 v1, s4 :: v_dual_mov_b32 v2, s5
	s_and_not1_b32 vcc_lo, exec_lo, s2
	s_mov_b32 s0, 0
	ds_load_b32 v3, v4
	s_cbranch_vccnz .LBB249_135
; %bb.132:                              ;   in Loop: Header=BB249_131 Depth=1
	v_dual_mov_b32 v1, s4 :: v_dual_mov_b32 v2, s5
	s_mov_b32 s9, 0
	s_mov_b32 s10, 0
.LBB249_133:                            ;   Parent Loop BB249_131 Depth=1
                                        ; =>  This Inner Loop Header: Depth=2
	s_delay_alu instid0(SALU_CYCLE_1)
	v_mov_b32_e32 v11, s10
	s_add_i32 s9, s9, 8
	s_add_i32 s10, s10, 32
	s_cmp_eq_u32 s6, s9
	ds_load_2addr_b32 v[5:6], v11 offset1:1
	ds_load_2addr_b32 v[7:8], v11 offset0:2 offset1:3
	ds_load_2addr_b32 v[9:10], v11 offset0:4 offset1:5
	;; [unrolled: 1-line block ×3, first 2 shown]
	s_waitcnt lgkmcnt(3)
	v_cmp_gt_i32_e32 vcc_lo, v3, v5
	v_cndmask_b32_e64 v5, 0, 1, vcc_lo
	v_cmp_gt_i32_e32 vcc_lo, v3, v6
	v_cndmask_b32_e64 v6, 0, 1, vcc_lo
	s_waitcnt lgkmcnt(2)
	v_cmp_gt_i32_e32 vcc_lo, v3, v7
	v_cndmask_b32_e64 v7, 0, 1, vcc_lo
	v_cmp_gt_i32_e32 vcc_lo, v3, v8
	v_cndmask_b32_e64 v8, 0, 1, vcc_lo
	s_waitcnt lgkmcnt(1)
	v_cmp_gt_i32_e32 vcc_lo, v3, v9
	v_cndmask_b32_e64 v9, 0, 1, vcc_lo
	v_add_co_u32 v1, vcc_lo, v1, v5
	v_add_co_ci_u32_e32 v2, vcc_lo, 0, v2, vcc_lo
	v_cmp_gt_i32_e32 vcc_lo, v3, v10
	s_delay_alu instid0(VALU_DEP_3) | instskip(NEXT) | instid1(VALU_DEP_1)
	v_add_co_u32 v1, s0, v1, v6
	v_add_co_ci_u32_e64 v2, s0, 0, v2, s0
	v_cndmask_b32_e64 v5, 0, 1, vcc_lo
	s_delay_alu instid0(VALU_DEP_3) | instskip(NEXT) | instid1(VALU_DEP_3)
	v_add_co_u32 v1, vcc_lo, v1, v7
	v_add_co_ci_u32_e32 v2, vcc_lo, 0, v2, vcc_lo
	s_waitcnt lgkmcnt(0)
	v_cmp_gt_i32_e32 vcc_lo, v3, v11
	s_delay_alu instid0(VALU_DEP_3) | instskip(NEXT) | instid1(VALU_DEP_1)
	v_add_co_u32 v1, s0, v1, v8
	v_add_co_ci_u32_e64 v2, s0, 0, v2, s0
	v_cndmask_b32_e64 v6, 0, 1, vcc_lo
	s_delay_alu instid0(VALU_DEP_3) | instskip(NEXT) | instid1(VALU_DEP_3)
	v_add_co_u32 v1, vcc_lo, v1, v9
	v_add_co_ci_u32_e32 v2, vcc_lo, 0, v2, vcc_lo
	v_cmp_gt_i32_e32 vcc_lo, v3, v12
	s_delay_alu instid0(VALU_DEP_3) | instskip(NEXT) | instid1(VALU_DEP_1)
	v_add_co_u32 v1, s0, v1, v5
	v_add_co_ci_u32_e64 v2, s0, 0, v2, s0
	v_cndmask_b32_e64 v5, 0, 1, vcc_lo
	s_delay_alu instid0(VALU_DEP_3) | instskip(NEXT) | instid1(VALU_DEP_3)
	v_add_co_u32 v1, vcc_lo, v1, v6
	v_add_co_ci_u32_e32 v2, vcc_lo, 0, v2, vcc_lo
	s_delay_alu instid0(VALU_DEP_2) | instskip(NEXT) | instid1(VALU_DEP_2)
	v_add_co_u32 v1, vcc_lo, v1, v5
	v_add_co_ci_u32_e32 v2, vcc_lo, 0, v2, vcc_lo
	s_cbranch_scc0 .LBB249_133
; %bb.134:                              ;   in Loop: Header=BB249_131 Depth=1
	s_mov_b32 s0, s6
.LBB249_135:                            ;   in Loop: Header=BB249_131 Depth=1
	s_and_not1_b32 vcc_lo, exec_lo, s7
	s_cbranch_vccnz .LBB249_130
; %bb.136:                              ;   in Loop: Header=BB249_131 Depth=1
	s_lshl_b32 s0, s0, 2
	s_mov_b32 s9, s1
	s_add_i32 s0, s0, 0
.LBB249_137:                            ;   Parent Loop BB249_131 Depth=1
                                        ; =>  This Inner Loop Header: Depth=2
	s_delay_alu instid0(SALU_CYCLE_1)
	v_mov_b32_e32 v5, s0
	s_add_i32 s9, s9, -1
	s_add_i32 s0, s0, 4
	s_cmp_lg_u32 s9, 0
	ds_load_b32 v5, v5
	s_waitcnt lgkmcnt(0)
	v_cmp_gt_i32_e32 vcc_lo, v3, v5
	v_cndmask_b32_e64 v5, 0, 1, vcc_lo
	s_delay_alu instid0(VALU_DEP_1)
	v_add_co_u32 v1, vcc_lo, v1, v5
	v_add_co_ci_u32_e32 v2, vcc_lo, 0, v2, vcc_lo
	s_cbranch_scc1 .LBB249_137
	s_branch .LBB249_130
.LBB249_138:
	s_nop 0
	s_sendmsg sendmsg(MSG_DEALLOC_VGPRS)
	s_endpgm
	.section	.rodata,"a",@progbits
	.p2align	6, 0x0
	.amdhsa_kernel _ZN9rocsparseL26csrgemm_fill_block_per_rowILj1024ELj64ELj4096ELj137ELj32Eli21rocsparse_complex_numIdEEEvT5_PKS3_S5_NS_24const_host_device_scalarIT6_EEPKT4_S5_PKS7_SB_S5_SD_S8_SB_S5_SD_SB_PS3_PS7_21rocsparse_index_base_SG_SG_SG_bbb
		.amdhsa_group_segment_fixed_size 0
		.amdhsa_private_segment_fixed_size 40
		.amdhsa_kernarg_size 172
		.amdhsa_user_sgpr_count 15
		.amdhsa_user_sgpr_dispatch_ptr 0
		.amdhsa_user_sgpr_queue_ptr 0
		.amdhsa_user_sgpr_kernarg_segment_ptr 1
		.amdhsa_user_sgpr_dispatch_id 0
		.amdhsa_user_sgpr_private_segment_size 0
		.amdhsa_wavefront_size32 1
		.amdhsa_uses_dynamic_stack 0
		.amdhsa_enable_private_segment 1
		.amdhsa_system_sgpr_workgroup_id_x 1
		.amdhsa_system_sgpr_workgroup_id_y 0
		.amdhsa_system_sgpr_workgroup_id_z 0
		.amdhsa_system_sgpr_workgroup_info 0
		.amdhsa_system_vgpr_workitem_id 0
		.amdhsa_next_free_vgpr 35
		.amdhsa_next_free_sgpr 76
		.amdhsa_reserve_vcc 1
		.amdhsa_float_round_mode_32 0
		.amdhsa_float_round_mode_16_64 0
		.amdhsa_float_denorm_mode_32 3
		.amdhsa_float_denorm_mode_16_64 3
		.amdhsa_dx10_clamp 1
		.amdhsa_ieee_mode 1
		.amdhsa_fp16_overflow 0
		.amdhsa_workgroup_processor_mode 1
		.amdhsa_memory_ordered 1
		.amdhsa_forward_progress 0
		.amdhsa_shared_vgpr_count 0
		.amdhsa_exception_fp_ieee_invalid_op 0
		.amdhsa_exception_fp_denorm_src 0
		.amdhsa_exception_fp_ieee_div_zero 0
		.amdhsa_exception_fp_ieee_overflow 0
		.amdhsa_exception_fp_ieee_underflow 0
		.amdhsa_exception_fp_ieee_inexact 0
		.amdhsa_exception_int_div_zero 0
	.end_amdhsa_kernel
	.section	.text._ZN9rocsparseL26csrgemm_fill_block_per_rowILj1024ELj64ELj4096ELj137ELj32Eli21rocsparse_complex_numIdEEEvT5_PKS3_S5_NS_24const_host_device_scalarIT6_EEPKT4_S5_PKS7_SB_S5_SD_S8_SB_S5_SD_SB_PS3_PS7_21rocsparse_index_base_SG_SG_SG_bbb,"axG",@progbits,_ZN9rocsparseL26csrgemm_fill_block_per_rowILj1024ELj64ELj4096ELj137ELj32Eli21rocsparse_complex_numIdEEEvT5_PKS3_S5_NS_24const_host_device_scalarIT6_EEPKT4_S5_PKS7_SB_S5_SD_S8_SB_S5_SD_SB_PS3_PS7_21rocsparse_index_base_SG_SG_SG_bbb,comdat
.Lfunc_end249:
	.size	_ZN9rocsparseL26csrgemm_fill_block_per_rowILj1024ELj64ELj4096ELj137ELj32Eli21rocsparse_complex_numIdEEEvT5_PKS3_S5_NS_24const_host_device_scalarIT6_EEPKT4_S5_PKS7_SB_S5_SD_S8_SB_S5_SD_SB_PS3_PS7_21rocsparse_index_base_SG_SG_SG_bbb, .Lfunc_end249-_ZN9rocsparseL26csrgemm_fill_block_per_rowILj1024ELj64ELj4096ELj137ELj32Eli21rocsparse_complex_numIdEEEvT5_PKS3_S5_NS_24const_host_device_scalarIT6_EEPKT4_S5_PKS7_SB_S5_SD_S8_SB_S5_SD_SB_PS3_PS7_21rocsparse_index_base_SG_SG_SG_bbb
                                        ; -- End function
	.section	.AMDGPU.csdata,"",@progbits
; Kernel info:
; codeLenInByte = 5564
; NumSgprs: 78
; NumVgprs: 35
; ScratchSize: 40
; MemoryBound: 0
; FloatMode: 240
; IeeeMode: 1
; LDSByteSize: 0 bytes/workgroup (compile time only)
; SGPRBlocks: 9
; VGPRBlocks: 4
; NumSGPRsForWavesPerEU: 78
; NumVGPRsForWavesPerEU: 35
; Occupancy: 16
; WaveLimiterHint : 1
; COMPUTE_PGM_RSRC2:SCRATCH_EN: 1
; COMPUTE_PGM_RSRC2:USER_SGPR: 15
; COMPUTE_PGM_RSRC2:TRAP_HANDLER: 0
; COMPUTE_PGM_RSRC2:TGID_X_EN: 1
; COMPUTE_PGM_RSRC2:TGID_Y_EN: 0
; COMPUTE_PGM_RSRC2:TGID_Z_EN: 0
; COMPUTE_PGM_RSRC2:TIDIG_COMP_CNT: 0
	.section	.text._ZN9rocsparseL26csrgemm_fill_block_per_rowILj1024ELj64ELj4096ELj137ELj64Eli21rocsparse_complex_numIdEEEvT5_PKS3_S5_NS_24const_host_device_scalarIT6_EEPKT4_S5_PKS7_SB_S5_SD_S8_SB_S5_SD_SB_PS3_PS7_21rocsparse_index_base_SG_SG_SG_bbb,"axG",@progbits,_ZN9rocsparseL26csrgemm_fill_block_per_rowILj1024ELj64ELj4096ELj137ELj64Eli21rocsparse_complex_numIdEEEvT5_PKS3_S5_NS_24const_host_device_scalarIT6_EEPKT4_S5_PKS7_SB_S5_SD_S8_SB_S5_SD_SB_PS3_PS7_21rocsparse_index_base_SG_SG_SG_bbb,comdat
	.globl	_ZN9rocsparseL26csrgemm_fill_block_per_rowILj1024ELj64ELj4096ELj137ELj64Eli21rocsparse_complex_numIdEEEvT5_PKS3_S5_NS_24const_host_device_scalarIT6_EEPKT4_S5_PKS7_SB_S5_SD_S8_SB_S5_SD_SB_PS3_PS7_21rocsparse_index_base_SG_SG_SG_bbb ; -- Begin function _ZN9rocsparseL26csrgemm_fill_block_per_rowILj1024ELj64ELj4096ELj137ELj64Eli21rocsparse_complex_numIdEEEvT5_PKS3_S5_NS_24const_host_device_scalarIT6_EEPKT4_S5_PKS7_SB_S5_SD_S8_SB_S5_SD_SB_PS3_PS7_21rocsparse_index_base_SG_SG_SG_bbb
	.p2align	8
	.type	_ZN9rocsparseL26csrgemm_fill_block_per_rowILj1024ELj64ELj4096ELj137ELj64Eli21rocsparse_complex_numIdEEEvT5_PKS3_S5_NS_24const_host_device_scalarIT6_EEPKT4_S5_PKS7_SB_S5_SD_S8_SB_S5_SD_SB_PS3_PS7_21rocsparse_index_base_SG_SG_SG_bbb,@function
_ZN9rocsparseL26csrgemm_fill_block_per_rowILj1024ELj64ELj4096ELj137ELj64Eli21rocsparse_complex_numIdEEEvT5_PKS3_S5_NS_24const_host_device_scalarIT6_EEPKT4_S5_PKS7_SB_S5_SD_S8_SB_S5_SD_SB_PS3_PS7_21rocsparse_index_base_SG_SG_SG_bbb: ; @_ZN9rocsparseL26csrgemm_fill_block_per_rowILj1024ELj64ELj4096ELj137ELj64Eli21rocsparse_complex_numIdEEEvT5_PKS3_S5_NS_24const_host_device_scalarIT6_EEPKT4_S5_PKS7_SB_S5_SD_S8_SB_S5_SD_SB_PS3_PS7_21rocsparse_index_base_SG_SG_SG_bbb
; %bb.0:
	s_clause 0x3
	s_load_b32 s14, s[0:1], 0xa8
	s_load_b128 s[4:7], s[0:1], 0x18
	s_load_b128 s[40:43], s[0:1], 0x58
	;; [unrolled: 1-line block ×3, first 2 shown]
	v_mov_b32_e32 v1, 0
	v_mov_b32_e32 v2, 0
	s_waitcnt lgkmcnt(0)
	s_bitcmp1_b32 s14, 0
	v_mov_b32_e32 v3, s4
	s_cselect_b32 s12, -1, 0
	s_bitcmp1_b32 s14, 16
	v_dual_mov_b32 v6, v2 :: v_dual_mov_b32 v5, v1
	s_cselect_b32 s2, -1, 0
	v_mov_b32_e32 v4, s5
	s_xor_b32 s13, s2, -1
	v_dual_mov_b32 v9, s40 :: v_dual_mov_b32 v10, s41
	v_cndmask_b32_e64 v7, 0, 1, s13
	s_bitcmp0_b32 s14, 0
	s_clause 0x1
	scratch_store_b64 off, v[3:4], off offset:16
	scratch_store_b64 off, v[9:10], off offset:24
	v_cmp_ne_u32_e32 vcc_lo, 1, v7
	v_dual_mov_b32 v8, v2 :: v_dual_mov_b32 v7, v1
	s_cbranch_scc1 .LBB250_3
; %bb.1:
	s_mov_b64 s[8:9], src_private_base
	s_and_b32 s3, s2, exec_lo
	s_cselect_b32 s3, s9, s5
	s_delay_alu instid0(SALU_CYCLE_1) | instskip(SKIP_2) | instid1(VALU_DEP_2)
	v_dual_mov_b32 v3, 16 :: v_dual_mov_b32 v4, s3
	v_dual_mov_b32 v8, s7 :: v_dual_mov_b32 v7, s6
	s_and_b32 vcc_lo, exec_lo, vcc_lo
	v_cndmask_b32_e64 v3, s4, v3, s2
	flat_load_b64 v[5:6], v[3:4]
	s_cbranch_vccnz .LBB250_3
; %bb.2:
	v_dual_mov_b32 v3, s4 :: v_dual_mov_b32 v4, s5
	flat_load_b64 v[7:8], v[3:4] offset:8
.LBB250_3:
	s_clause 0x4
	s_load_b128 s[28:31], s[0:1], 0x88
	s_load_b256 s[16:23], s[0:1], 0x68
	s_load_b128 s[36:39], s[0:1], 0x48
	s_load_b128 s[44:47], s[0:1], 0x8
	s_load_b256 s[4:11], s[0:1], 0x28
	s_bitcmp1_b32 s14, 8
	v_dual_mov_b32 v4, v2 :: v_dual_mov_b32 v3, v1
	s_cselect_b32 s3, -1, 0
	s_bfe_u32 s14, s14, 0x10008
	s_delay_alu instid0(SALU_CYCLE_1)
	s_cmp_eq_u32 s14, 0
	s_cbranch_scc1 .LBB250_6
; %bb.4:
	s_mov_b64 s[34:35], src_private_base
	s_and_b32 s14, s2, exec_lo
	s_cselect_b32 s14, s35, s41
	s_delay_alu instid0(SALU_CYCLE_1) | instskip(SKIP_1) | instid1(VALU_DEP_1)
	v_dual_mov_b32 v1, 24 :: v_dual_mov_b32 v2, s14
	s_and_not1_b32 vcc_lo, exec_lo, s13
	v_cndmask_b32_e64 v1, s40, v1, s2
	flat_load_b64 v[3:4], v[1:2]
	v_dual_mov_b32 v1, s42 :: v_dual_mov_b32 v2, s43
	s_cbranch_vccnz .LBB250_6
; %bb.5:
	v_dual_mov_b32 v1, s40 :: v_dual_mov_b32 v2, s41
	flat_load_b64 v[1:2], v[1:2] offset:8
.LBB250_6:
	s_load_b32 s33, s[0:1], 0x0
	s_mov_b32 s0, 0
	v_or_b32_e32 v25, 0xfffffc00, v0
	s_mov_b32 s1, s0
	s_delay_alu instid0(SALU_CYCLE_1) | instskip(SKIP_3) | instid1(VALU_DEP_2)
	v_dual_mov_b32 v10, s1 :: v_dual_lshlrev_b32 v11, 4, v0
	v_lshl_add_u32 v26, v0, 2, 0
	s_mov_b32 s34, s0
	s_mov_b32 s35, s0
	v_add3_u32 v27, v11, 0, 0x4000
	v_dual_mov_b32 v11, s34 :: v_dual_mov_b32 v14, v25
	v_dual_mov_b32 v9, s0 :: v_dual_mov_b32 v12, s35
	s_delay_alu instid0(VALU_DEP_3)
	v_dual_mov_b32 v13, v26 :: v_dual_mov_b32 v16, v27
	s_waitcnt lgkmcnt(0)
	v_mov_b32_e32 v15, s33
.LBB250_7:                              ; =>This Inner Loop Header: Depth=1
	v_add_nc_u32_e32 v14, 0x400, v14
	ds_store_b32 v13, v15
	ds_store_2addr_b64 v16, v[9:10], v[11:12] offset1:1
	v_add_nc_u32_e32 v16, 0x4000, v16
	v_add_nc_u32_e32 v13, 0x1000, v13
	v_cmp_lt_u32_e32 vcc_lo, 0xbff, v14
	s_or_b32 s0, vcc_lo, s0
	s_delay_alu instid0(SALU_CYCLE_1)
	s_and_not1_b32 exec_lo, exec_lo, s0
	s_cbranch_execnz .LBB250_7
; %bb.8:
	s_or_b32 exec_lo, exec_lo, s0
	s_waitcnt vmcnt(0) lgkmcnt(0)
	s_waitcnt_vscnt null, 0x0
	s_barrier
	buffer_gl0_inv
	s_load_b32 s0, s[44:45], 0x0
	s_mov_b32 s1, 0
	v_lshrrev_b32_e32 v28, 6, v0
	s_waitcnt lgkmcnt(0)
	s_add_i32 s0, s0, s15
	s_delay_alu instid0(SALU_CYCLE_1) | instskip(NEXT) | instid1(SALU_CYCLE_1)
	s_lshl_b64 s[0:1], s[0:1], 2
	s_add_u32 s0, s46, s0
	s_addc_u32 s1, s47, s1
	s_and_b32 vcc_lo, exec_lo, s12
	s_load_b32 s34, s[0:1], 0x0
	s_cbranch_vccz .LBB250_36
; %bb.9:
	s_waitcnt lgkmcnt(0)
	s_ashr_i32 s35, s34, 31
	s_mov_b32 s2, exec_lo
	s_lshl_b64 s[0:1], s[34:35], 3
	s_delay_alu instid0(SALU_CYCLE_1) | instskip(SKIP_3) | instid1(VALU_DEP_1)
	s_add_u32 s0, s4, s0
	s_addc_u32 s1, s5, s1
	s_load_b128 s[12:15], s[0:1], 0x0
	v_sub_co_u32 v9, s0, v28, s24
	v_sub_co_ci_u32_e64 v10, null, 0, 0, s0
	s_waitcnt lgkmcnt(0)
	s_delay_alu instid0(VALU_DEP_2) | instskip(NEXT) | instid1(VALU_DEP_2)
	v_add_co_u32 v9, vcc_lo, s12, v9
	v_add_co_ci_u32_e32 v10, vcc_lo, s13, v10, vcc_lo
	s_sub_u32 s0, s14, s24
	s_subb_u32 s1, s15, 0
	s_delay_alu instid0(VALU_DEP_1) | instid1(SALU_CYCLE_1)
	v_cmpx_gt_i64_e64 s[0:1], v[9:10]
	s_cbranch_execz .LBB250_35
; %bb.10:
	v_and_b32_e32 v11, 63, v0
	s_mov_b32 s5, s25
	s_delay_alu instid0(VALU_DEP_1) | instskip(NEXT) | instid1(VALU_DEP_1)
	v_sub_co_u32 v29, s4, v11, s25
	v_sub_co_ci_u32_e64 v30, null, 0, 0, s4
	s_mov_b32 s4, 0
	s_branch .LBB250_12
.LBB250_11:                             ;   in Loop: Header=BB250_12 Depth=1
	s_or_b32 exec_lo, exec_lo, s12
	v_add_co_u32 v9, vcc_lo, v9, 16
	v_add_co_ci_u32_e32 v10, vcc_lo, 0, v10, vcc_lo
	s_delay_alu instid0(VALU_DEP_1) | instskip(SKIP_1) | instid1(SALU_CYCLE_1)
	v_cmp_le_i64_e32 vcc_lo, s[0:1], v[9:10]
	s_or_b32 s4, vcc_lo, s4
	s_and_not1_b32 exec_lo, exec_lo, s4
	s_cbranch_execz .LBB250_35
.LBB250_12:                             ; =>This Loop Header: Depth=1
                                        ;     Child Loop BB250_15 Depth 2
                                        ;       Child Loop BB250_17 Depth 3
                                        ;         Child Loop BB250_23 Depth 4
                                        ;         Child Loop BB250_25 Depth 4
                                        ;         Child Loop BB250_31 Depth 4
                                        ;         Child Loop BB250_33 Depth 4
	v_lshlrev_b64 v[11:12], 2, v[9:10]
	s_mov_b32 s12, exec_lo
	s_delay_alu instid0(VALU_DEP_1) | instskip(NEXT) | instid1(VALU_DEP_2)
	v_add_co_u32 v11, vcc_lo, s6, v11
	v_add_co_ci_u32_e32 v12, vcc_lo, s7, v12, vcc_lo
	global_load_b32 v11, v[11:12], off
	s_waitcnt vmcnt(0)
	v_subrev_nc_u32_e32 v11, s24, v11
	s_delay_alu instid0(VALU_DEP_1) | instskip(NEXT) | instid1(VALU_DEP_1)
	v_ashrrev_i32_e32 v12, 31, v11
	v_lshlrev_b64 v[11:12], 3, v[11:12]
	s_delay_alu instid0(VALU_DEP_1) | instskip(NEXT) | instid1(VALU_DEP_2)
	v_add_co_u32 v11, vcc_lo, s10, v11
	v_add_co_ci_u32_e32 v12, vcc_lo, s11, v12, vcc_lo
	global_load_b128 v[13:16], v[11:12], off
	s_waitcnt vmcnt(0)
	v_sub_co_u32 v11, vcc_lo, v15, s5
	v_subrev_co_ci_u32_e32 v12, vcc_lo, 0, v16, vcc_lo
	v_add_co_u32 v13, vcc_lo, v13, v29
	v_add_co_ci_u32_e32 v14, vcc_lo, v14, v30, vcc_lo
	s_delay_alu instid0(VALU_DEP_1)
	v_cmpx_lt_i64_e64 v[13:14], v[11:12]
	s_cbranch_execz .LBB250_11
; %bb.13:                               ;   in Loop: Header=BB250_12 Depth=1
	v_lshlrev_b64 v[15:16], 4, v[9:10]
	s_mov_b32 s13, 0
	s_delay_alu instid0(VALU_DEP_1) | instskip(NEXT) | instid1(VALU_DEP_2)
	v_add_co_u32 v15, vcc_lo, s8, v15
	v_add_co_ci_u32_e32 v16, vcc_lo, s9, v16, vcc_lo
	global_load_b128 v[17:20], v[15:16], off
	s_waitcnt vmcnt(0)
	v_mul_f64 v[15:16], v[19:20], -v[7:8]
	v_mul_f64 v[19:20], v[5:6], v[19:20]
	s_delay_alu instid0(VALU_DEP_2) | instskip(NEXT) | instid1(VALU_DEP_2)
	v_fma_f64 v[15:16], v[5:6], v[17:18], v[15:16]
	v_fma_f64 v[17:18], v[7:8], v[17:18], v[19:20]
	s_branch .LBB250_15
.LBB250_14:                             ;   in Loop: Header=BB250_15 Depth=2
	s_or_b32 exec_lo, exec_lo, s14
	v_add_co_u32 v13, vcc_lo, v13, 64
	v_add_co_ci_u32_e32 v14, vcc_lo, 0, v14, vcc_lo
	s_delay_alu instid0(VALU_DEP_1) | instskip(SKIP_1) | instid1(SALU_CYCLE_1)
	v_cmp_ge_i64_e32 vcc_lo, v[13:14], v[11:12]
	s_or_b32 s13, vcc_lo, s13
	s_and_not1_b32 exec_lo, exec_lo, s13
	s_cbranch_execz .LBB250_11
.LBB250_15:                             ;   Parent Loop BB250_12 Depth=1
                                        ; =>  This Loop Header: Depth=2
                                        ;       Child Loop BB250_17 Depth 3
                                        ;         Child Loop BB250_23 Depth 4
                                        ;         Child Loop BB250_25 Depth 4
	;; [unrolled: 1-line block ×4, first 2 shown]
	v_lshlrev_b64 v[19:20], 4, v[13:14]
	s_mov_b32 s14, 0
	s_delay_alu instid0(VALU_DEP_1) | instskip(NEXT) | instid1(VALU_DEP_2)
	v_add_co_u32 v19, vcc_lo, s38, v19
	v_add_co_ci_u32_e32 v20, vcc_lo, s39, v20, vcc_lo
	global_load_b128 v[21:24], v[19:20], off
	v_lshlrev_b64 v[19:20], 2, v[13:14]
	s_delay_alu instid0(VALU_DEP_1) | instskip(NEXT) | instid1(VALU_DEP_2)
	v_add_co_u32 v19, vcc_lo, s36, v19
	v_add_co_ci_u32_e32 v20, vcc_lo, s37, v20, vcc_lo
	global_load_b32 v31, v[19:20], off
	s_waitcnt vmcnt(1)
	v_mul_f64 v[19:20], v[23:24], -v[17:18]
	v_mul_f64 v[23:24], v[15:16], v[23:24]
	s_waitcnt vmcnt(0)
	v_subrev_nc_u32_e32 v31, s25, v31
	s_delay_alu instid0(VALU_DEP_3) | instskip(NEXT) | instid1(VALU_DEP_3)
	v_fma_f64 v[19:20], v[15:16], v[21:22], v[19:20]
	v_fma_f64 v[21:22], v[17:18], v[21:22], v[23:24]
	s_delay_alu instid0(VALU_DEP_3) | instskip(NEXT) | instid1(VALU_DEP_1)
	v_mul_lo_u32 v23, 0x89, v31
	v_and_b32_e32 v32, 0xfff, v23
	s_branch .LBB250_17
.LBB250_16:                             ;   in Loop: Header=BB250_17 Depth=3
	s_or_b32 exec_lo, exec_lo, s15
	s_xor_b32 s15, s35, -1
	s_delay_alu instid0(SALU_CYCLE_1) | instskip(NEXT) | instid1(SALU_CYCLE_1)
	s_and_b32 s15, exec_lo, s15
	s_or_b32 s14, s15, s14
	s_delay_alu instid0(SALU_CYCLE_1)
	s_and_not1_b32 exec_lo, exec_lo, s14
	s_cbranch_execz .LBB250_14
.LBB250_17:                             ;   Parent Loop BB250_12 Depth=1
                                        ;     Parent Loop BB250_15 Depth=2
                                        ; =>    This Loop Header: Depth=3
                                        ;         Child Loop BB250_23 Depth 4
                                        ;         Child Loop BB250_25 Depth 4
	;; [unrolled: 1-line block ×4, first 2 shown]
	s_delay_alu instid0(VALU_DEP_1)
	v_lshl_add_u32 v23, v32, 2, 0
	s_mov_b32 s15, exec_lo
                                        ; implicit-def: $sgpr35
	ds_load_b32 v24, v23
	s_waitcnt lgkmcnt(0)
	v_cmpx_ne_u32_e64 v24, v31
	s_xor_b32 s15, exec_lo, s15
	s_cbranch_execz .LBB250_29
; %bb.18:                               ;   in Loop: Header=BB250_17 Depth=3
	s_mov_b32 s40, exec_lo
                                        ; implicit-def: $sgpr35
	v_cmpx_ne_u32_e64 s33, v24
	s_xor_b32 s40, exec_lo, s40
; %bb.19:                               ;   in Loop: Header=BB250_17 Depth=3
	v_add_nc_u32_e32 v23, 1, v32
	s_mov_b32 s35, -1
	s_delay_alu instid0(VALU_DEP_1)
	v_and_b32_e32 v32, 0xfff, v23
                                        ; implicit-def: $vgpr23
; %bb.20:                               ;   in Loop: Header=BB250_17 Depth=3
	s_and_not1_saveexec_b32 s40, s40
	s_cbranch_execz .LBB250_28
; %bb.21:                               ;   in Loop: Header=BB250_17 Depth=3
	v_mov_b32_e32 v24, s33
	s_mov_b32 s42, -1
	s_mov_b32 s41, exec_lo
	ds_cmpstore_rtn_b32 v24, v23, v31, v24
	s_waitcnt lgkmcnt(0)
	v_cmpx_eq_u32_e64 s33, v24
	s_cbranch_execz .LBB250_27
; %bb.22:                               ;   in Loop: Header=BB250_17 Depth=3
	v_mul_lo_u32 v24, v32, 12
	s_mov_b32 s42, 0
	s_delay_alu instid0(VALU_DEP_1)
	v_add_nc_u32_e32 v33, v23, v24
	ds_load_b64 v[23:24], v33 offset:16384
.LBB250_23:                             ;   Parent Loop BB250_12 Depth=1
                                        ;     Parent Loop BB250_15 Depth=2
                                        ;       Parent Loop BB250_17 Depth=3
                                        ; =>      This Inner Loop Header: Depth=4
	s_waitcnt lgkmcnt(0)
	v_add_f64 v[34:35], v[23:24], v[19:20]
	ds_cmpstore_rtn_b64 v[34:35], v33, v[34:35], v[23:24] offset:16384
	s_waitcnt lgkmcnt(0)
	v_cmp_eq_u64_e32 vcc_lo, v[34:35], v[23:24]
	v_dual_mov_b32 v23, v34 :: v_dual_mov_b32 v24, v35
	s_or_b32 s42, vcc_lo, s42
	s_delay_alu instid0(SALU_CYCLE_1)
	s_and_not1_b32 exec_lo, exec_lo, s42
	s_cbranch_execnz .LBB250_23
; %bb.24:                               ;   in Loop: Header=BB250_17 Depth=3
	s_or_b32 exec_lo, exec_lo, s42
	ds_load_b64 v[23:24], v33 offset:16392
	s_mov_b32 s42, 0
.LBB250_25:                             ;   Parent Loop BB250_12 Depth=1
                                        ;     Parent Loop BB250_15 Depth=2
                                        ;       Parent Loop BB250_17 Depth=3
                                        ; =>      This Inner Loop Header: Depth=4
	s_waitcnt lgkmcnt(0)
	v_add_f64 v[34:35], v[23:24], v[21:22]
	ds_cmpstore_rtn_b64 v[34:35], v33, v[34:35], v[23:24] offset:16392
	s_waitcnt lgkmcnt(0)
	v_cmp_eq_u64_e32 vcc_lo, v[34:35], v[23:24]
	v_dual_mov_b32 v23, v34 :: v_dual_mov_b32 v24, v35
	s_or_b32 s42, vcc_lo, s42
	s_delay_alu instid0(SALU_CYCLE_1)
	s_and_not1_b32 exec_lo, exec_lo, s42
	s_cbranch_execnz .LBB250_25
; %bb.26:                               ;   in Loop: Header=BB250_17 Depth=3
	s_or_b32 exec_lo, exec_lo, s42
	s_delay_alu instid0(SALU_CYCLE_1)
	s_xor_b32 s42, exec_lo, -1
.LBB250_27:                             ;   in Loop: Header=BB250_17 Depth=3
	s_or_b32 exec_lo, exec_lo, s41
	s_delay_alu instid0(SALU_CYCLE_1) | instskip(SKIP_1) | instid1(SALU_CYCLE_1)
	s_and_not1_b32 s35, s35, exec_lo
	s_and_b32 s41, s42, exec_lo
	s_or_b32 s35, s35, s41
.LBB250_28:                             ;   in Loop: Header=BB250_17 Depth=3
	s_or_b32 exec_lo, exec_lo, s40
	s_delay_alu instid0(SALU_CYCLE_1)
	s_and_b32 s35, s35, exec_lo
                                        ; implicit-def: $vgpr23
.LBB250_29:                             ;   in Loop: Header=BB250_17 Depth=3
	s_and_not1_saveexec_b32 s15, s15
	s_cbranch_execz .LBB250_16
; %bb.30:                               ;   in Loop: Header=BB250_17 Depth=3
	v_mul_lo_u32 v24, v32, 12
	s_mov_b32 s40, 0
	s_delay_alu instid0(VALU_DEP_1)
	v_add_nc_u32_e32 v33, v23, v24
	ds_load_b64 v[23:24], v33 offset:16384
.LBB250_31:                             ;   Parent Loop BB250_12 Depth=1
                                        ;     Parent Loop BB250_15 Depth=2
                                        ;       Parent Loop BB250_17 Depth=3
                                        ; =>      This Inner Loop Header: Depth=4
	s_waitcnt lgkmcnt(0)
	v_add_f64 v[34:35], v[23:24], v[19:20]
	ds_cmpstore_rtn_b64 v[34:35], v33, v[34:35], v[23:24] offset:16384
	s_waitcnt lgkmcnt(0)
	v_cmp_eq_u64_e32 vcc_lo, v[34:35], v[23:24]
	v_dual_mov_b32 v23, v34 :: v_dual_mov_b32 v24, v35
	s_or_b32 s40, vcc_lo, s40
	s_delay_alu instid0(SALU_CYCLE_1)
	s_and_not1_b32 exec_lo, exec_lo, s40
	s_cbranch_execnz .LBB250_31
; %bb.32:                               ;   in Loop: Header=BB250_17 Depth=3
	s_or_b32 exec_lo, exec_lo, s40
	ds_load_b64 v[23:24], v33 offset:16392
	s_mov_b32 s40, 0
.LBB250_33:                             ;   Parent Loop BB250_12 Depth=1
                                        ;     Parent Loop BB250_15 Depth=2
                                        ;       Parent Loop BB250_17 Depth=3
                                        ; =>      This Inner Loop Header: Depth=4
	s_waitcnt lgkmcnt(0)
	v_add_f64 v[34:35], v[23:24], v[21:22]
	ds_cmpstore_rtn_b64 v[34:35], v33, v[34:35], v[23:24] offset:16392
	s_waitcnt lgkmcnt(0)
	v_cmp_eq_u64_e32 vcc_lo, v[34:35], v[23:24]
	v_dual_mov_b32 v23, v34 :: v_dual_mov_b32 v24, v35
	s_or_b32 s40, vcc_lo, s40
	s_delay_alu instid0(SALU_CYCLE_1)
	s_and_not1_b32 exec_lo, exec_lo, s40
	s_cbranch_execnz .LBB250_33
; %bb.34:                               ;   in Loop: Header=BB250_17 Depth=3
	s_or_b32 exec_lo, exec_lo, s40
	s_delay_alu instid0(SALU_CYCLE_1)
	s_and_not1_b32 s35, s35, exec_lo
	s_branch .LBB250_16
.LBB250_35:
	s_or_b32 exec_lo, exec_lo, s2
.LBB250_36:
	s_delay_alu instid0(SALU_CYCLE_1)
	s_and_not1_b32 vcc_lo, exec_lo, s3
	s_cbranch_vccnz .LBB250_39
; %bb.37:
	s_waitcnt lgkmcnt(0)
	s_ashr_i32 s35, s34, 31
	v_sub_co_u32 v5, s4, v0, s27
	s_lshl_b64 s[0:1], s[34:35], 3
	v_sub_co_ci_u32_e64 v6, null, 0, 0, s4
	s_add_u32 s0, s16, s0
	s_addc_u32 s1, s17, s1
	s_load_b128 s[0:3], s[0:1], 0x0
	s_waitcnt lgkmcnt(0)
	v_add_co_u32 v5, vcc_lo, s0, v5
	v_add_co_ci_u32_e32 v6, vcc_lo, s1, v6, vcc_lo
	s_sub_u32 s0, s2, s27
	s_subb_u32 s1, s3, 0
	s_mov_b32 s3, 0
	s_mov_b32 s2, exec_lo
	v_cmpx_gt_i64_e64 s[0:1], v[5:6]
	s_cbranch_execnz .LBB250_76
.LBB250_38:
	s_or_b32 exec_lo, exec_lo, s2
.LBB250_39:
	v_mbcnt_lo_u32_b32 v1, -1, 0
	v_lshlrev_b32_e32 v2, 2, v28
	s_add_i32 s38, 0, 0x1403c
	v_cmp_eq_u32_e32 vcc_lo, 0x3ff, v0
	v_cmp_lt_u32_e64 s0, 63, v0
	v_xor_b32_e32 v1, 63, v1
	v_add3_u32 v3, 0, 0x14000, v2
	v_cmp_lt_u32_e64 s1, 0x7f, v0
	v_cmp_lt_u32_e64 s2, 0xbf, v0
	v_cmp_lt_u32_e64 s3, 0xff, v0
	v_lshrrev_b64 v[1:2], v1, -1
	v_cmp_lt_u32_e64 s4, 0x13f, v0
	v_cmp_lt_u32_e64 s5, 0x17f, v0
	;; [unrolled: 1-line block ×11, first 2 shown]
	v_mov_b32_e32 v2, 0
	v_mov_b32_e32 v4, s38
	s_mov_b32 s16, 0
	s_add_i32 s17, 0, 0x14000
	s_add_i32 s18, 0, 0x14004
	;; [unrolled: 1-line block ×15, first 2 shown]
	s_waitcnt lgkmcnt(0)
	s_barrier
	buffer_gl0_inv
	s_branch .LBB250_41
.LBB250_40:                             ;   in Loop: Header=BB250_41 Depth=1
	s_or_b32 exec_lo, exec_lo, s15
	s_waitcnt lgkmcnt(0)
	s_barrier
	buffer_gl0_inv
	ds_load_b32 v5, v4
	v_add_nc_u32_e32 v25, 0x400, v25
	v_add_nc_u32_e32 v27, 0x4000, v27
	;; [unrolled: 1-line block ×3, first 2 shown]
	s_delay_alu instid0(VALU_DEP_3) | instskip(NEXT) | instid1(VALU_DEP_1)
	v_cmp_lt_u32_e64 s15, 0xbff, v25
	s_or_b32 s16, s15, s16
	s_waitcnt lgkmcnt(0)
	v_add_nc_u32_e32 v2, v5, v2
	s_and_not1_b32 exec_lo, exec_lo, s16
	s_cbranch_execz .LBB250_96
.LBB250_41:                             ; =>This Inner Loop Header: Depth=1
	ds_load_b32 v5, v26
	ds_load_2addr_b64 v[6:9], v27 offset1:1
	s_waitcnt lgkmcnt(1)
	v_cmp_gt_i32_e64 s15, s33, v5
	s_waitcnt lgkmcnt(0)
	scratch_store_b128 off, v[6:9], off
	s_waitcnt_vscnt null, 0x0
	s_barrier
	buffer_gl0_inv
	s_bcnt1_i32_b32 s43, s15
	s_delay_alu instid0(SALU_CYCLE_1) | instskip(NEXT) | instid1(VALU_DEP_1)
	v_dual_mov_b32 v7, s43 :: v_dual_and_b32 v6, s15, v1
	v_bcnt_u32_b32 v6, v6, 0
	ds_store_b32 v3, v7
	s_waitcnt lgkmcnt(0)
	s_barrier
	buffer_gl0_inv
	s_and_saveexec_b32 s43, s0
	s_cbranch_execnz .LBB250_58
; %bb.42:                               ;   in Loop: Header=BB250_41 Depth=1
	s_or_b32 exec_lo, exec_lo, s43
	s_and_saveexec_b32 s43, s1
	s_cbranch_execnz .LBB250_59
.LBB250_43:                             ;   in Loop: Header=BB250_41 Depth=1
	s_or_b32 exec_lo, exec_lo, s43
	s_and_saveexec_b32 s43, s2
	s_cbranch_execnz .LBB250_60
.LBB250_44:                             ;   in Loop: Header=BB250_41 Depth=1
	s_or_b32 exec_lo, exec_lo, s43
	s_and_saveexec_b32 s43, s3
	s_cbranch_execnz .LBB250_61
.LBB250_45:                             ;   in Loop: Header=BB250_41 Depth=1
	s_or_b32 exec_lo, exec_lo, s43
	s_and_saveexec_b32 s43, s4
	s_cbranch_execnz .LBB250_62
.LBB250_46:                             ;   in Loop: Header=BB250_41 Depth=1
	s_or_b32 exec_lo, exec_lo, s43
	s_and_saveexec_b32 s43, s5
	s_cbranch_execnz .LBB250_63
.LBB250_47:                             ;   in Loop: Header=BB250_41 Depth=1
	s_or_b32 exec_lo, exec_lo, s43
	s_and_saveexec_b32 s43, s6
	s_cbranch_execnz .LBB250_64
.LBB250_48:                             ;   in Loop: Header=BB250_41 Depth=1
	s_or_b32 exec_lo, exec_lo, s43
	s_and_saveexec_b32 s43, s7
	s_cbranch_execnz .LBB250_65
.LBB250_49:                             ;   in Loop: Header=BB250_41 Depth=1
	s_or_b32 exec_lo, exec_lo, s43
	s_and_saveexec_b32 s43, s8
	s_cbranch_execnz .LBB250_66
.LBB250_50:                             ;   in Loop: Header=BB250_41 Depth=1
	s_or_b32 exec_lo, exec_lo, s43
	s_and_saveexec_b32 s43, s9
	s_cbranch_execnz .LBB250_67
.LBB250_51:                             ;   in Loop: Header=BB250_41 Depth=1
	s_or_b32 exec_lo, exec_lo, s43
	s_and_saveexec_b32 s43, s10
	s_cbranch_execnz .LBB250_68
.LBB250_52:                             ;   in Loop: Header=BB250_41 Depth=1
	s_or_b32 exec_lo, exec_lo, s43
	s_and_saveexec_b32 s43, s11
	s_cbranch_execnz .LBB250_69
.LBB250_53:                             ;   in Loop: Header=BB250_41 Depth=1
	s_or_b32 exec_lo, exec_lo, s43
	s_and_saveexec_b32 s43, s12
	s_cbranch_execnz .LBB250_70
.LBB250_54:                             ;   in Loop: Header=BB250_41 Depth=1
	s_or_b32 exec_lo, exec_lo, s43
	s_and_saveexec_b32 s43, s13
	s_cbranch_execnz .LBB250_71
.LBB250_55:                             ;   in Loop: Header=BB250_41 Depth=1
	s_or_b32 exec_lo, exec_lo, s43
	s_and_saveexec_b32 s43, s14
	s_cbranch_execnz .LBB250_72
.LBB250_56:                             ;   in Loop: Header=BB250_41 Depth=1
	s_or_b32 exec_lo, exec_lo, s43
	s_and_saveexec_b32 s43, s15
	s_cbranch_execnz .LBB250_73
.LBB250_57:                             ;   in Loop: Header=BB250_41 Depth=1
	s_or_b32 exec_lo, exec_lo, s43
	s_and_saveexec_b32 s15, vcc_lo
	s_cbranch_execz .LBB250_40
	s_branch .LBB250_74
.LBB250_58:                             ;   in Loop: Header=BB250_41 Depth=1
	v_mov_b32_e32 v7, s17
	ds_load_b32 v7, v7
	s_waitcnt lgkmcnt(0)
	v_add_nc_u32_e32 v6, v7, v6
	s_or_b32 exec_lo, exec_lo, s43
	s_and_saveexec_b32 s43, s1
	s_cbranch_execz .LBB250_43
.LBB250_59:                             ;   in Loop: Header=BB250_41 Depth=1
	v_mov_b32_e32 v7, s18
	ds_load_b32 v7, v7
	s_waitcnt lgkmcnt(0)
	v_add_nc_u32_e32 v6, v7, v6
	s_or_b32 exec_lo, exec_lo, s43
	s_and_saveexec_b32 s43, s2
	s_cbranch_execz .LBB250_44
.LBB250_60:                             ;   in Loop: Header=BB250_41 Depth=1
	v_mov_b32_e32 v7, s19
	ds_load_b32 v7, v7
	s_waitcnt lgkmcnt(0)
	v_add_nc_u32_e32 v6, v7, v6
	s_or_b32 exec_lo, exec_lo, s43
	s_and_saveexec_b32 s43, s3
	s_cbranch_execz .LBB250_45
.LBB250_61:                             ;   in Loop: Header=BB250_41 Depth=1
	v_mov_b32_e32 v7, s20
	ds_load_b32 v7, v7
	s_waitcnt lgkmcnt(0)
	v_add_nc_u32_e32 v6, v7, v6
	s_or_b32 exec_lo, exec_lo, s43
	s_and_saveexec_b32 s43, s4
	s_cbranch_execz .LBB250_46
.LBB250_62:                             ;   in Loop: Header=BB250_41 Depth=1
	v_mov_b32_e32 v7, s21
	ds_load_b32 v7, v7
	s_waitcnt lgkmcnt(0)
	v_add_nc_u32_e32 v6, v7, v6
	s_or_b32 exec_lo, exec_lo, s43
	s_and_saveexec_b32 s43, s5
	s_cbranch_execz .LBB250_47
.LBB250_63:                             ;   in Loop: Header=BB250_41 Depth=1
	v_mov_b32_e32 v7, s24
	ds_load_b32 v7, v7
	s_waitcnt lgkmcnt(0)
	v_add_nc_u32_e32 v6, v7, v6
	s_or_b32 exec_lo, exec_lo, s43
	s_and_saveexec_b32 s43, s6
	s_cbranch_execz .LBB250_48
.LBB250_64:                             ;   in Loop: Header=BB250_41 Depth=1
	v_mov_b32_e32 v7, s25
	ds_load_b32 v7, v7
	s_waitcnt lgkmcnt(0)
	v_add_nc_u32_e32 v6, v7, v6
	s_or_b32 exec_lo, exec_lo, s43
	s_and_saveexec_b32 s43, s7
	s_cbranch_execz .LBB250_49
.LBB250_65:                             ;   in Loop: Header=BB250_41 Depth=1
	v_mov_b32_e32 v7, s27
	ds_load_b32 v7, v7
	s_waitcnt lgkmcnt(0)
	v_add_nc_u32_e32 v6, v7, v6
	s_or_b32 exec_lo, exec_lo, s43
	s_and_saveexec_b32 s43, s8
	s_cbranch_execz .LBB250_50
.LBB250_66:                             ;   in Loop: Header=BB250_41 Depth=1
	v_mov_b32_e32 v7, s35
	ds_load_b32 v7, v7
	s_waitcnt lgkmcnt(0)
	v_add_nc_u32_e32 v6, v7, v6
	s_or_b32 exec_lo, exec_lo, s43
	s_and_saveexec_b32 s43, s9
	s_cbranch_execz .LBB250_51
.LBB250_67:                             ;   in Loop: Header=BB250_41 Depth=1
	v_mov_b32_e32 v7, s36
	ds_load_b32 v7, v7
	s_waitcnt lgkmcnt(0)
	v_add_nc_u32_e32 v6, v7, v6
	s_or_b32 exec_lo, exec_lo, s43
	s_and_saveexec_b32 s43, s10
	s_cbranch_execz .LBB250_52
.LBB250_68:                             ;   in Loop: Header=BB250_41 Depth=1
	v_mov_b32_e32 v7, s37
	ds_load_b32 v7, v7
	s_waitcnt lgkmcnt(0)
	v_add_nc_u32_e32 v6, v7, v6
	s_or_b32 exec_lo, exec_lo, s43
	s_and_saveexec_b32 s43, s11
	s_cbranch_execz .LBB250_53
.LBB250_69:                             ;   in Loop: Header=BB250_41 Depth=1
	v_mov_b32_e32 v7, s39
	ds_load_b32 v7, v7
	s_waitcnt lgkmcnt(0)
	v_add_nc_u32_e32 v6, v7, v6
	s_or_b32 exec_lo, exec_lo, s43
	s_and_saveexec_b32 s43, s12
	s_cbranch_execz .LBB250_54
.LBB250_70:                             ;   in Loop: Header=BB250_41 Depth=1
	v_mov_b32_e32 v7, s40
	ds_load_b32 v7, v7
	s_waitcnt lgkmcnt(0)
	v_add_nc_u32_e32 v6, v7, v6
	s_or_b32 exec_lo, exec_lo, s43
	s_and_saveexec_b32 s43, s13
	s_cbranch_execz .LBB250_55
.LBB250_71:                             ;   in Loop: Header=BB250_41 Depth=1
	v_mov_b32_e32 v7, s41
	ds_load_b32 v7, v7
	s_waitcnt lgkmcnt(0)
	v_add_nc_u32_e32 v6, v7, v6
	s_or_b32 exec_lo, exec_lo, s43
	s_and_saveexec_b32 s43, s14
	s_cbranch_execz .LBB250_56
.LBB250_72:                             ;   in Loop: Header=BB250_41 Depth=1
	v_mov_b32_e32 v7, s42
	ds_load_b32 v7, v7
	s_waitcnt lgkmcnt(0)
	v_add_nc_u32_e32 v6, v7, v6
	s_or_b32 exec_lo, exec_lo, s43
	s_and_saveexec_b32 s43, s15
	s_cbranch_execz .LBB250_57
.LBB250_73:                             ;   in Loop: Header=BB250_41 Depth=1
	scratch_load_b128 v[7:10], off, off
	v_add3_u32 v11, v2, -1, v6
	s_delay_alu instid0(VALU_DEP_1) | instskip(SKIP_1) | instid1(VALU_DEP_2)
	v_lshlrev_b32_e32 v12, 4, v11
	v_lshl_add_u32 v11, v11, 2, 0
	v_add3_u32 v12, 0, v12, 0x4000
	ds_store_b32 v11, v5
	s_waitcnt vmcnt(0)
	ds_store_2addr_b64 v12, v[7:8], v[9:10] offset1:1
	s_or_b32 exec_lo, exec_lo, s43
	s_and_saveexec_b32 s15, vcc_lo
	s_cbranch_execz .LBB250_40
.LBB250_74:                             ;   in Loop: Header=BB250_41 Depth=1
	v_mov_b32_e32 v5, s38
	ds_store_b32 v5, v6
	s_branch .LBB250_40
.LBB250_75:                             ;   in Loop: Header=BB250_76 Depth=1
	s_or_b32 exec_lo, exec_lo, s4
	v_add_co_u32 v5, vcc_lo, 0x400, v5
	v_add_co_ci_u32_e32 v6, vcc_lo, 0, v6, vcc_lo
	s_delay_alu instid0(VALU_DEP_1) | instskip(SKIP_1) | instid1(SALU_CYCLE_1)
	v_cmp_le_i64_e32 vcc_lo, s[0:1], v[5:6]
	s_or_b32 s3, vcc_lo, s3
	s_and_not1_b32 exec_lo, exec_lo, s3
	s_cbranch_execz .LBB250_38
.LBB250_76:                             ; =>This Loop Header: Depth=1
                                        ;     Child Loop BB250_78 Depth 2
                                        ;       Child Loop BB250_84 Depth 3
                                        ;       Child Loop BB250_86 Depth 3
                                        ;       Child Loop BB250_92 Depth 3
                                        ;       Child Loop BB250_94 Depth 3
	v_lshlrev_b64 v[7:8], 4, v[5:6]
	s_mov_b32 s4, 0
	s_delay_alu instid0(VALU_DEP_1) | instskip(NEXT) | instid1(VALU_DEP_2)
	v_add_co_u32 v7, vcc_lo, s20, v7
	v_add_co_ci_u32_e32 v8, vcc_lo, s21, v8, vcc_lo
	global_load_b128 v[9:12], v[7:8], off
	v_lshlrev_b64 v[7:8], 2, v[5:6]
	s_delay_alu instid0(VALU_DEP_1) | instskip(NEXT) | instid1(VALU_DEP_2)
	v_add_co_u32 v7, vcc_lo, s18, v7
	v_add_co_ci_u32_e32 v8, vcc_lo, s19, v8, vcc_lo
	global_load_b32 v13, v[7:8], off
	s_waitcnt vmcnt(1)
	v_mul_f64 v[7:8], v[11:12], -v[1:2]
	v_mul_f64 v[11:12], v[3:4], v[11:12]
	s_waitcnt vmcnt(0)
	v_subrev_nc_u32_e32 v13, s27, v13
	s_delay_alu instid0(VALU_DEP_3) | instskip(NEXT) | instid1(VALU_DEP_3)
	v_fma_f64 v[7:8], v[3:4], v[9:10], v[7:8]
	v_fma_f64 v[9:10], v[1:2], v[9:10], v[11:12]
	s_delay_alu instid0(VALU_DEP_3) | instskip(NEXT) | instid1(VALU_DEP_1)
	v_mul_lo_u32 v11, 0x89, v13
	v_and_b32_e32 v14, 0xfff, v11
	s_branch .LBB250_78
.LBB250_77:                             ;   in Loop: Header=BB250_78 Depth=2
	s_or_b32 exec_lo, exec_lo, s5
	s_xor_b32 s5, s6, -1
	s_delay_alu instid0(SALU_CYCLE_1) | instskip(NEXT) | instid1(SALU_CYCLE_1)
	s_and_b32 s5, exec_lo, s5
	s_or_b32 s4, s5, s4
	s_delay_alu instid0(SALU_CYCLE_1)
	s_and_not1_b32 exec_lo, exec_lo, s4
	s_cbranch_execz .LBB250_75
.LBB250_78:                             ;   Parent Loop BB250_76 Depth=1
                                        ; =>  This Loop Header: Depth=2
                                        ;       Child Loop BB250_84 Depth 3
                                        ;       Child Loop BB250_86 Depth 3
	;; [unrolled: 1-line block ×4, first 2 shown]
	s_delay_alu instid0(VALU_DEP_1)
	v_lshl_add_u32 v11, v14, 2, 0
	s_mov_b32 s5, exec_lo
                                        ; implicit-def: $sgpr6
	ds_load_b32 v12, v11
	s_waitcnt lgkmcnt(0)
	v_cmpx_ne_u32_e64 v12, v13
	s_xor_b32 s5, exec_lo, s5
	s_cbranch_execz .LBB250_90
; %bb.79:                               ;   in Loop: Header=BB250_78 Depth=2
	s_mov_b32 s7, exec_lo
                                        ; implicit-def: $sgpr6
	v_cmpx_ne_u32_e64 s33, v12
	s_xor_b32 s7, exec_lo, s7
; %bb.80:                               ;   in Loop: Header=BB250_78 Depth=2
	v_add_nc_u32_e32 v11, 1, v14
	s_mov_b32 s6, -1
	s_delay_alu instid0(VALU_DEP_1)
	v_and_b32_e32 v14, 0xfff, v11
                                        ; implicit-def: $vgpr11
; %bb.81:                               ;   in Loop: Header=BB250_78 Depth=2
	s_and_not1_saveexec_b32 s7, s7
	s_cbranch_execz .LBB250_89
; %bb.82:                               ;   in Loop: Header=BB250_78 Depth=2
	v_mov_b32_e32 v12, s33
	s_mov_b32 s9, -1
	s_mov_b32 s8, exec_lo
	ds_cmpstore_rtn_b32 v12, v11, v13, v12
	s_waitcnt lgkmcnt(0)
	v_cmpx_eq_u32_e64 s33, v12
	s_cbranch_execz .LBB250_88
; %bb.83:                               ;   in Loop: Header=BB250_78 Depth=2
	v_mul_lo_u32 v12, v14, 12
	s_mov_b32 s9, 0
	s_delay_alu instid0(VALU_DEP_1)
	v_add_nc_u32_e32 v15, v11, v12
	ds_load_b64 v[11:12], v15 offset:16384
.LBB250_84:                             ;   Parent Loop BB250_76 Depth=1
                                        ;     Parent Loop BB250_78 Depth=2
                                        ; =>    This Inner Loop Header: Depth=3
	s_waitcnt lgkmcnt(0)
	v_add_f64 v[16:17], v[11:12], v[7:8]
	ds_cmpstore_rtn_b64 v[16:17], v15, v[16:17], v[11:12] offset:16384
	s_waitcnt lgkmcnt(0)
	v_cmp_eq_u64_e32 vcc_lo, v[16:17], v[11:12]
	v_dual_mov_b32 v11, v16 :: v_dual_mov_b32 v12, v17
	s_or_b32 s9, vcc_lo, s9
	s_delay_alu instid0(SALU_CYCLE_1)
	s_and_not1_b32 exec_lo, exec_lo, s9
	s_cbranch_execnz .LBB250_84
; %bb.85:                               ;   in Loop: Header=BB250_78 Depth=2
	s_or_b32 exec_lo, exec_lo, s9
	ds_load_b64 v[11:12], v15 offset:16392
	s_mov_b32 s9, 0
.LBB250_86:                             ;   Parent Loop BB250_76 Depth=1
                                        ;     Parent Loop BB250_78 Depth=2
                                        ; =>    This Inner Loop Header: Depth=3
	s_waitcnt lgkmcnt(0)
	v_add_f64 v[16:17], v[11:12], v[9:10]
	ds_cmpstore_rtn_b64 v[16:17], v15, v[16:17], v[11:12] offset:16392
	s_waitcnt lgkmcnt(0)
	v_cmp_eq_u64_e32 vcc_lo, v[16:17], v[11:12]
	v_dual_mov_b32 v11, v16 :: v_dual_mov_b32 v12, v17
	s_or_b32 s9, vcc_lo, s9
	s_delay_alu instid0(SALU_CYCLE_1)
	s_and_not1_b32 exec_lo, exec_lo, s9
	s_cbranch_execnz .LBB250_86
; %bb.87:                               ;   in Loop: Header=BB250_78 Depth=2
	s_or_b32 exec_lo, exec_lo, s9
	s_delay_alu instid0(SALU_CYCLE_1)
	s_xor_b32 s9, exec_lo, -1
.LBB250_88:                             ;   in Loop: Header=BB250_78 Depth=2
	s_or_b32 exec_lo, exec_lo, s8
	s_delay_alu instid0(SALU_CYCLE_1) | instskip(SKIP_1) | instid1(SALU_CYCLE_1)
	s_and_not1_b32 s6, s6, exec_lo
	s_and_b32 s8, s9, exec_lo
	s_or_b32 s6, s6, s8
.LBB250_89:                             ;   in Loop: Header=BB250_78 Depth=2
	s_or_b32 exec_lo, exec_lo, s7
	s_delay_alu instid0(SALU_CYCLE_1)
	s_and_b32 s6, s6, exec_lo
                                        ; implicit-def: $vgpr11
.LBB250_90:                             ;   in Loop: Header=BB250_78 Depth=2
	s_and_not1_saveexec_b32 s5, s5
	s_cbranch_execz .LBB250_77
; %bb.91:                               ;   in Loop: Header=BB250_78 Depth=2
	v_mul_lo_u32 v12, v14, 12
	s_mov_b32 s7, 0
	s_delay_alu instid0(VALU_DEP_1)
	v_add_nc_u32_e32 v15, v11, v12
	ds_load_b64 v[11:12], v15 offset:16384
.LBB250_92:                             ;   Parent Loop BB250_76 Depth=1
                                        ;     Parent Loop BB250_78 Depth=2
                                        ; =>    This Inner Loop Header: Depth=3
	s_waitcnt lgkmcnt(0)
	v_add_f64 v[16:17], v[11:12], v[7:8]
	ds_cmpstore_rtn_b64 v[16:17], v15, v[16:17], v[11:12] offset:16384
	s_waitcnt lgkmcnt(0)
	v_cmp_eq_u64_e32 vcc_lo, v[16:17], v[11:12]
	v_dual_mov_b32 v11, v16 :: v_dual_mov_b32 v12, v17
	s_or_b32 s7, vcc_lo, s7
	s_delay_alu instid0(SALU_CYCLE_1)
	s_and_not1_b32 exec_lo, exec_lo, s7
	s_cbranch_execnz .LBB250_92
; %bb.93:                               ;   in Loop: Header=BB250_78 Depth=2
	s_or_b32 exec_lo, exec_lo, s7
	ds_load_b64 v[11:12], v15 offset:16392
	s_mov_b32 s7, 0
.LBB250_94:                             ;   Parent Loop BB250_76 Depth=1
                                        ;     Parent Loop BB250_78 Depth=2
                                        ; =>    This Inner Loop Header: Depth=3
	s_waitcnt lgkmcnt(0)
	v_add_f64 v[16:17], v[11:12], v[9:10]
	ds_cmpstore_rtn_b64 v[16:17], v15, v[16:17], v[11:12] offset:16392
	s_waitcnt lgkmcnt(0)
	v_cmp_eq_u64_e32 vcc_lo, v[16:17], v[11:12]
	v_dual_mov_b32 v11, v16 :: v_dual_mov_b32 v12, v17
	s_or_b32 s7, vcc_lo, s7
	s_delay_alu instid0(SALU_CYCLE_1)
	s_and_not1_b32 exec_lo, exec_lo, s7
	s_cbranch_execnz .LBB250_94
; %bb.95:                               ;   in Loop: Header=BB250_78 Depth=2
	s_or_b32 exec_lo, exec_lo, s7
	s_delay_alu instid0(SALU_CYCLE_1)
	s_and_not1_b32 s6, s6, exec_lo
	s_branch .LBB250_77
.LBB250_96:
	s_or_b32 exec_lo, exec_lo, s16
	s_ashr_i32 s35, s34, 31
	s_mov_b32 s4, exec_lo
	s_lshl_b64 s[0:1], s[34:35], 3
	s_delay_alu instid0(SALU_CYCLE_1) | instskip(SKIP_4) | instid1(SALU_CYCLE_1)
	s_add_u32 s0, s22, s0
	s_addc_u32 s1, s23, s1
	s_load_b128 s[0:3], s[0:1], 0x0
	s_waitcnt lgkmcnt(0)
	s_sub_i32 s3, s2, s0
	v_cmpx_gt_i32_e64 s3, v0
	s_cbranch_execz .LBB250_106
; %bb.97:
	s_sub_u32 s4, s0, s26
	s_subb_u32 s5, s1, 0
	s_sub_i32 s0, s0, s2
	s_and_b32 s1, s3, 7
	s_cmp_lt_u32 s0, -7
	s_mov_b32 s8, 0
	s_cselect_b32 s2, -1, 0
	s_and_b32 s6, s3, -8
	s_cmp_lg_u32 s1, 0
	s_cselect_b32 s7, -1, 0
	s_branch .LBB250_99
.LBB250_98:                             ;   in Loop: Header=BB250_99 Depth=1
	v_mul_lo_u32 v5, v0, 12
	s_delay_alu instid0(VALU_DEP_2) | instskip(SKIP_4) | instid1(VALU_DEP_4)
	v_lshlrev_b64 v[8:9], 2, v[1:2]
	v_lshlrev_b64 v[1:2], 4, v[1:2]
	v_add_nc_u32_e32 v0, 0x400, v0
	s_waitcnt lgkmcnt(0)
	v_add_nc_u32_e32 v3, s26, v3
	v_add_co_u32 v8, vcc_lo, s28, v8
	v_add3_u32 v4, v4, v5, 0x4000
	v_add_co_ci_u32_e32 v9, vcc_lo, s29, v9, vcc_lo
	v_cmp_le_i32_e32 vcc_lo, s3, v0
	v_add_co_u32 v1, s0, s30, v1
	ds_load_2addr_b64 v[4:7], v4 offset1:1
	v_add_co_ci_u32_e64 v2, s0, s31, v2, s0
	s_or_b32 s8, vcc_lo, s8
	global_store_b32 v[8:9], v3, off
	s_waitcnt lgkmcnt(0)
	global_store_b128 v[1:2], v[4:7], off
	s_and_not1_b32 exec_lo, exec_lo, s8
	s_cbranch_execz .LBB250_106
.LBB250_99:                             ; =>This Loop Header: Depth=1
                                        ;     Child Loop BB250_101 Depth 2
                                        ;     Child Loop BB250_105 Depth 2
	v_lshl_add_u32 v4, v0, 2, 0
	v_dual_mov_b32 v1, s4 :: v_dual_mov_b32 v2, s5
	s_and_not1_b32 vcc_lo, exec_lo, s2
	s_mov_b32 s0, 0
	ds_load_b32 v3, v4
	s_cbranch_vccnz .LBB250_103
; %bb.100:                              ;   in Loop: Header=BB250_99 Depth=1
	v_dual_mov_b32 v1, s4 :: v_dual_mov_b32 v2, s5
	s_mov_b32 s9, 0
	s_mov_b32 s10, 0
.LBB250_101:                            ;   Parent Loop BB250_99 Depth=1
                                        ; =>  This Inner Loop Header: Depth=2
	s_delay_alu instid0(SALU_CYCLE_1)
	v_mov_b32_e32 v11, s10
	s_add_i32 s9, s9, 8
	s_add_i32 s10, s10, 32
	s_cmp_eq_u32 s6, s9
	ds_load_2addr_b32 v[5:6], v11 offset1:1
	ds_load_2addr_b32 v[7:8], v11 offset0:2 offset1:3
	ds_load_2addr_b32 v[9:10], v11 offset0:4 offset1:5
	;; [unrolled: 1-line block ×3, first 2 shown]
	s_waitcnt lgkmcnt(3)
	v_cmp_gt_i32_e32 vcc_lo, v3, v5
	v_cndmask_b32_e64 v5, 0, 1, vcc_lo
	v_cmp_gt_i32_e32 vcc_lo, v3, v6
	v_cndmask_b32_e64 v6, 0, 1, vcc_lo
	s_waitcnt lgkmcnt(2)
	v_cmp_gt_i32_e32 vcc_lo, v3, v7
	v_cndmask_b32_e64 v7, 0, 1, vcc_lo
	v_cmp_gt_i32_e32 vcc_lo, v3, v8
	v_cndmask_b32_e64 v8, 0, 1, vcc_lo
	s_waitcnt lgkmcnt(1)
	v_cmp_gt_i32_e32 vcc_lo, v3, v9
	v_cndmask_b32_e64 v9, 0, 1, vcc_lo
	v_add_co_u32 v1, vcc_lo, v1, v5
	v_add_co_ci_u32_e32 v2, vcc_lo, 0, v2, vcc_lo
	v_cmp_gt_i32_e32 vcc_lo, v3, v10
	s_delay_alu instid0(VALU_DEP_3) | instskip(NEXT) | instid1(VALU_DEP_1)
	v_add_co_u32 v1, s0, v1, v6
	v_add_co_ci_u32_e64 v2, s0, 0, v2, s0
	v_cndmask_b32_e64 v5, 0, 1, vcc_lo
	s_delay_alu instid0(VALU_DEP_3) | instskip(NEXT) | instid1(VALU_DEP_3)
	v_add_co_u32 v1, vcc_lo, v1, v7
	v_add_co_ci_u32_e32 v2, vcc_lo, 0, v2, vcc_lo
	s_waitcnt lgkmcnt(0)
	v_cmp_gt_i32_e32 vcc_lo, v3, v11
	s_delay_alu instid0(VALU_DEP_3) | instskip(NEXT) | instid1(VALU_DEP_1)
	v_add_co_u32 v1, s0, v1, v8
	v_add_co_ci_u32_e64 v2, s0, 0, v2, s0
	v_cndmask_b32_e64 v6, 0, 1, vcc_lo
	s_delay_alu instid0(VALU_DEP_3) | instskip(NEXT) | instid1(VALU_DEP_3)
	v_add_co_u32 v1, vcc_lo, v1, v9
	v_add_co_ci_u32_e32 v2, vcc_lo, 0, v2, vcc_lo
	v_cmp_gt_i32_e32 vcc_lo, v3, v12
	s_delay_alu instid0(VALU_DEP_3) | instskip(NEXT) | instid1(VALU_DEP_1)
	v_add_co_u32 v1, s0, v1, v5
	v_add_co_ci_u32_e64 v2, s0, 0, v2, s0
	v_cndmask_b32_e64 v5, 0, 1, vcc_lo
	s_delay_alu instid0(VALU_DEP_3) | instskip(NEXT) | instid1(VALU_DEP_3)
	v_add_co_u32 v1, vcc_lo, v1, v6
	v_add_co_ci_u32_e32 v2, vcc_lo, 0, v2, vcc_lo
	s_delay_alu instid0(VALU_DEP_2) | instskip(NEXT) | instid1(VALU_DEP_2)
	v_add_co_u32 v1, vcc_lo, v1, v5
	v_add_co_ci_u32_e32 v2, vcc_lo, 0, v2, vcc_lo
	s_cbranch_scc0 .LBB250_101
; %bb.102:                              ;   in Loop: Header=BB250_99 Depth=1
	s_mov_b32 s0, s6
.LBB250_103:                            ;   in Loop: Header=BB250_99 Depth=1
	s_and_not1_b32 vcc_lo, exec_lo, s7
	s_cbranch_vccnz .LBB250_98
; %bb.104:                              ;   in Loop: Header=BB250_99 Depth=1
	s_lshl_b32 s0, s0, 2
	s_mov_b32 s9, s1
	s_add_i32 s0, s0, 0
.LBB250_105:                            ;   Parent Loop BB250_99 Depth=1
                                        ; =>  This Inner Loop Header: Depth=2
	s_delay_alu instid0(SALU_CYCLE_1)
	v_mov_b32_e32 v5, s0
	s_add_i32 s9, s9, -1
	s_add_i32 s0, s0, 4
	s_cmp_lg_u32 s9, 0
	ds_load_b32 v5, v5
	s_waitcnt lgkmcnt(0)
	v_cmp_gt_i32_e32 vcc_lo, v3, v5
	v_cndmask_b32_e64 v5, 0, 1, vcc_lo
	s_delay_alu instid0(VALU_DEP_1)
	v_add_co_u32 v1, vcc_lo, v1, v5
	v_add_co_ci_u32_e32 v2, vcc_lo, 0, v2, vcc_lo
	s_cbranch_scc1 .LBB250_105
	s_branch .LBB250_98
.LBB250_106:
	s_nop 0
	s_sendmsg sendmsg(MSG_DEALLOC_VGPRS)
	s_endpgm
	.section	.rodata,"a",@progbits
	.p2align	6, 0x0
	.amdhsa_kernel _ZN9rocsparseL26csrgemm_fill_block_per_rowILj1024ELj64ELj4096ELj137ELj64Eli21rocsparse_complex_numIdEEEvT5_PKS3_S5_NS_24const_host_device_scalarIT6_EEPKT4_S5_PKS7_SB_S5_SD_S8_SB_S5_SD_SB_PS3_PS7_21rocsparse_index_base_SG_SG_SG_bbb
		.amdhsa_group_segment_fixed_size 0
		.amdhsa_private_segment_fixed_size 40
		.amdhsa_kernarg_size 172
		.amdhsa_user_sgpr_count 15
		.amdhsa_user_sgpr_dispatch_ptr 0
		.amdhsa_user_sgpr_queue_ptr 0
		.amdhsa_user_sgpr_kernarg_segment_ptr 1
		.amdhsa_user_sgpr_dispatch_id 0
		.amdhsa_user_sgpr_private_segment_size 0
		.amdhsa_wavefront_size32 1
		.amdhsa_uses_dynamic_stack 0
		.amdhsa_enable_private_segment 1
		.amdhsa_system_sgpr_workgroup_id_x 1
		.amdhsa_system_sgpr_workgroup_id_y 0
		.amdhsa_system_sgpr_workgroup_id_z 0
		.amdhsa_system_sgpr_workgroup_info 0
		.amdhsa_system_vgpr_workitem_id 0
		.amdhsa_next_free_vgpr 36
		.amdhsa_next_free_sgpr 48
		.amdhsa_reserve_vcc 1
		.amdhsa_float_round_mode_32 0
		.amdhsa_float_round_mode_16_64 0
		.amdhsa_float_denorm_mode_32 3
		.amdhsa_float_denorm_mode_16_64 3
		.amdhsa_dx10_clamp 1
		.amdhsa_ieee_mode 1
		.amdhsa_fp16_overflow 0
		.amdhsa_workgroup_processor_mode 1
		.amdhsa_memory_ordered 1
		.amdhsa_forward_progress 0
		.amdhsa_shared_vgpr_count 0
		.amdhsa_exception_fp_ieee_invalid_op 0
		.amdhsa_exception_fp_denorm_src 0
		.amdhsa_exception_fp_ieee_div_zero 0
		.amdhsa_exception_fp_ieee_overflow 0
		.amdhsa_exception_fp_ieee_underflow 0
		.amdhsa_exception_fp_ieee_inexact 0
		.amdhsa_exception_int_div_zero 0
	.end_amdhsa_kernel
	.section	.text._ZN9rocsparseL26csrgemm_fill_block_per_rowILj1024ELj64ELj4096ELj137ELj64Eli21rocsparse_complex_numIdEEEvT5_PKS3_S5_NS_24const_host_device_scalarIT6_EEPKT4_S5_PKS7_SB_S5_SD_S8_SB_S5_SD_SB_PS3_PS7_21rocsparse_index_base_SG_SG_SG_bbb,"axG",@progbits,_ZN9rocsparseL26csrgemm_fill_block_per_rowILj1024ELj64ELj4096ELj137ELj64Eli21rocsparse_complex_numIdEEEvT5_PKS3_S5_NS_24const_host_device_scalarIT6_EEPKT4_S5_PKS7_SB_S5_SD_S8_SB_S5_SD_SB_PS3_PS7_21rocsparse_index_base_SG_SG_SG_bbb,comdat
.Lfunc_end250:
	.size	_ZN9rocsparseL26csrgemm_fill_block_per_rowILj1024ELj64ELj4096ELj137ELj64Eli21rocsparse_complex_numIdEEEvT5_PKS3_S5_NS_24const_host_device_scalarIT6_EEPKT4_S5_PKS7_SB_S5_SD_S8_SB_S5_SD_SB_PS3_PS7_21rocsparse_index_base_SG_SG_SG_bbb, .Lfunc_end250-_ZN9rocsparseL26csrgemm_fill_block_per_rowILj1024ELj64ELj4096ELj137ELj64Eli21rocsparse_complex_numIdEEEvT5_PKS3_S5_NS_24const_host_device_scalarIT6_EEPKT4_S5_PKS7_SB_S5_SD_S8_SB_S5_SD_SB_PS3_PS7_21rocsparse_index_base_SG_SG_SG_bbb
                                        ; -- End function
	.section	.AMDGPU.csdata,"",@progbits
; Kernel info:
; codeLenInByte = 4532
; NumSgprs: 50
; NumVgprs: 36
; ScratchSize: 40
; MemoryBound: 0
; FloatMode: 240
; IeeeMode: 1
; LDSByteSize: 0 bytes/workgroup (compile time only)
; SGPRBlocks: 6
; VGPRBlocks: 4
; NumSGPRsForWavesPerEU: 50
; NumVGPRsForWavesPerEU: 36
; Occupancy: 16
; WaveLimiterHint : 1
; COMPUTE_PGM_RSRC2:SCRATCH_EN: 1
; COMPUTE_PGM_RSRC2:USER_SGPR: 15
; COMPUTE_PGM_RSRC2:TRAP_HANDLER: 0
; COMPUTE_PGM_RSRC2:TGID_X_EN: 1
; COMPUTE_PGM_RSRC2:TGID_Y_EN: 0
; COMPUTE_PGM_RSRC2:TGID_Z_EN: 0
; COMPUTE_PGM_RSRC2:TIDIG_COMP_CNT: 0
	.section	.text._ZN9rocsparseL26csrgemm_fill_block_per_rowILj1024ELj64ELj8192ELj137ELj32Eli21rocsparse_complex_numIdEEEvT5_PKS3_S5_NS_24const_host_device_scalarIT6_EEPKT4_S5_PKS7_SB_S5_SD_S8_SB_S5_SD_SB_PS3_PS7_21rocsparse_index_base_SG_SG_SG_bbb,"axG",@progbits,_ZN9rocsparseL26csrgemm_fill_block_per_rowILj1024ELj64ELj8192ELj137ELj32Eli21rocsparse_complex_numIdEEEvT5_PKS3_S5_NS_24const_host_device_scalarIT6_EEPKT4_S5_PKS7_SB_S5_SD_S8_SB_S5_SD_SB_PS3_PS7_21rocsparse_index_base_SG_SG_SG_bbb,comdat
	.globl	_ZN9rocsparseL26csrgemm_fill_block_per_rowILj1024ELj64ELj8192ELj137ELj32Eli21rocsparse_complex_numIdEEEvT5_PKS3_S5_NS_24const_host_device_scalarIT6_EEPKT4_S5_PKS7_SB_S5_SD_S8_SB_S5_SD_SB_PS3_PS7_21rocsparse_index_base_SG_SG_SG_bbb ; -- Begin function _ZN9rocsparseL26csrgemm_fill_block_per_rowILj1024ELj64ELj8192ELj137ELj32Eli21rocsparse_complex_numIdEEEvT5_PKS3_S5_NS_24const_host_device_scalarIT6_EEPKT4_S5_PKS7_SB_S5_SD_S8_SB_S5_SD_SB_PS3_PS7_21rocsparse_index_base_SG_SG_SG_bbb
	.p2align	8
	.type	_ZN9rocsparseL26csrgemm_fill_block_per_rowILj1024ELj64ELj8192ELj137ELj32Eli21rocsparse_complex_numIdEEEvT5_PKS3_S5_NS_24const_host_device_scalarIT6_EEPKT4_S5_PKS7_SB_S5_SD_S8_SB_S5_SD_SB_PS3_PS7_21rocsparse_index_base_SG_SG_SG_bbb,@function
_ZN9rocsparseL26csrgemm_fill_block_per_rowILj1024ELj64ELj8192ELj137ELj32Eli21rocsparse_complex_numIdEEEvT5_PKS3_S5_NS_24const_host_device_scalarIT6_EEPKT4_S5_PKS7_SB_S5_SD_S8_SB_S5_SD_SB_PS3_PS7_21rocsparse_index_base_SG_SG_SG_bbb: ; @_ZN9rocsparseL26csrgemm_fill_block_per_rowILj1024ELj64ELj8192ELj137ELj32Eli21rocsparse_complex_numIdEEEvT5_PKS3_S5_NS_24const_host_device_scalarIT6_EEPKT4_S5_PKS7_SB_S5_SD_S8_SB_S5_SD_SB_PS3_PS7_21rocsparse_index_base_SG_SG_SG_bbb
; %bb.0:
	s_clause 0x3
	s_load_b32 s13, s[0:1], 0xa8
	s_load_b256 s[4:11], s[0:1], 0x8
	s_load_b128 s[16:19], s[0:1], 0x58
	s_load_b128 s[36:39], s[0:1], 0x98
	v_mov_b32_e32 v1, 0
	v_mov_b32_e32 v2, 0
	s_waitcnt lgkmcnt(0)
	s_bitcmp1_b32 s13, 0
	v_mov_b32_e32 v3, s8
	s_cselect_b32 s3, -1, 0
	s_bitcmp1_b32 s13, 16
	v_dual_mov_b32 v6, v2 :: v_dual_mov_b32 v5, v1
	s_cselect_b32 s2, -1, 0
	v_mov_b32_e32 v4, s9
	s_xor_b32 s12, s2, -1
	v_dual_mov_b32 v9, s16 :: v_dual_mov_b32 v10, s17
	v_cndmask_b32_e64 v7, 0, 1, s12
	s_bitcmp0_b32 s13, 0
	s_clause 0x1
	scratch_store_b64 off, v[3:4], off offset:16
	scratch_store_b64 off, v[9:10], off offset:24
	v_cmp_ne_u32_e32 vcc_lo, 1, v7
	v_dual_mov_b32 v8, v2 :: v_dual_mov_b32 v7, v1
	s_cbranch_scc1 .LBB251_3
; %bb.1:
	s_mov_b64 s[20:21], src_private_base
	s_and_b32 s14, s2, exec_lo
	s_cselect_b32 s14, s21, s9
	s_delay_alu instid0(SALU_CYCLE_1) | instskip(SKIP_2) | instid1(VALU_DEP_2)
	v_dual_mov_b32 v3, 16 :: v_dual_mov_b32 v4, s14
	v_dual_mov_b32 v7, s10 :: v_dual_mov_b32 v8, s11
	s_and_b32 vcc_lo, exec_lo, vcc_lo
	v_cndmask_b32_e64 v3, s8, v3, s2
	flat_load_b64 v[5:6], v[3:4]
	s_cbranch_vccnz .LBB251_3
; %bb.2:
	v_dual_mov_b32 v3, s8 :: v_dual_mov_b32 v4, s9
	flat_load_b64 v[7:8], v[3:4] offset:8
.LBB251_3:
	s_bitcmp1_b32 s13, 8
	v_dual_mov_b32 v4, v2 :: v_dual_mov_b32 v3, v1
	s_cselect_b32 s14, -1, 0
	s_bfe_u32 s8, s13, 0x10008
	s_delay_alu instid0(SALU_CYCLE_1)
	s_cmp_eq_u32 s8, 0
	s_cbranch_scc1 .LBB251_6
; %bb.4:
	s_mov_b64 s[8:9], src_private_base
	s_and_b32 s8, s2, exec_lo
	s_cselect_b32 s8, s9, s17
	s_delay_alu instid0(SALU_CYCLE_1) | instskip(SKIP_1) | instid1(VALU_DEP_1)
	v_dual_mov_b32 v1, 24 :: v_dual_mov_b32 v2, s8
	s_and_not1_b32 vcc_lo, exec_lo, s12
	v_cndmask_b32_e64 v1, s16, v1, s2
	flat_load_b64 v[3:4], v[1:2]
	v_dual_mov_b32 v1, s18 :: v_dual_mov_b32 v2, s19
	s_cbranch_vccnz .LBB251_6
; %bb.5:
	v_dual_mov_b32 v1, s16 :: v_dual_mov_b32 v2, s17
	flat_load_b64 v[1:2], v[1:2] offset:8
.LBB251_6:
	s_load_b32 s33, s[0:1], 0x0
	s_mov_b32 s8, 0
	v_lshl_add_u32 v25, v0, 2, 0
	s_mov_b32 s9, s8
	v_lshlrev_b32_e32 v26, 4, v0
	s_mov_b32 s10, s8
	s_mov_b32 s11, s8
	v_dual_mov_b32 v10, s9 :: v_dual_mov_b32 v9, s8
	s_delay_alu instid0(VALU_DEP_2) | instskip(SKIP_2) | instid1(VALU_DEP_3)
	v_add3_u32 v14, 0, 0x8000, v26
	v_mad_u32_u24 v13, v0, 12, v25
	v_dual_mov_b32 v12, s11 :: v_dual_mov_b32 v11, s10
	v_add_nc_u32_e32 v17, 0x8000, v14
	s_delay_alu instid0(VALU_DEP_3)
	v_add_nc_u32_e32 v15, 0x8000, v13
	v_mad_i32_i24 v13, v0, -12, v13
	s_waitcnt lgkmcnt(0)
	v_dual_mov_b32 v19, s33 :: v_dual_add_nc_u32 v16, 0x4000, v14
	v_mov_b32_e32 v18, s33
	v_dual_mov_b32 v20, s33 :: v_dual_mov_b32 v21, s33
	v_dual_mov_b32 v22, s33 :: v_dual_mov_b32 v23, s33
	ds_store_b32 v25, v18
	ds_store_2addr_b64 v15, v[9:10], v[11:12] offset1:1
	ds_store_2addr_stride64_b32 v13, v19, v20 offset0:16 offset1:32
	ds_store_2addr_b64 v16, v[9:10], v[11:12] offset1:1
	ds_store_2addr_b64 v17, v[9:10], v[11:12] offset1:1
	v_add_nc_u32_e32 v15, 0xc000, v14
	v_dual_mov_b32 v17, s33 :: v_dual_add_nc_u32 v16, 0x10000, v14
	v_add_nc_u32_e32 v18, 0x14000, v14
	v_add_nc_u32_e32 v20, 0x18000, v14
	;; [unrolled: 1-line block ×3, first 2 shown]
	ds_store_2addr_stride64_b32 v13, v21, v22 offset0:48 offset1:64
	ds_store_2addr_b64 v15, v[9:10], v[11:12] offset1:1
	ds_store_2addr_b64 v16, v[9:10], v[11:12] offset1:1
	ds_store_2addr_stride64_b32 v13, v17, v19 offset0:80 offset1:96
	ds_store_2addr_b64 v18, v[9:10], v[11:12] offset1:1
	ds_store_2addr_b64 v20, v[9:10], v[11:12] offset1:1
	ds_store_b32 v13, v23 offset:28672
	ds_store_2addr_b64 v14, v[9:10], v[11:12] offset1:1
	s_waitcnt vmcnt(0) lgkmcnt(0)
	s_waitcnt_vscnt null, 0x0
	s_barrier
	buffer_gl0_inv
	s_load_b32 s2, s[4:5], 0x0
	s_mov_b32 s5, s8
	s_waitcnt lgkmcnt(0)
	s_add_i32 s4, s2, s15
	s_delay_alu instid0(SALU_CYCLE_1) | instskip(NEXT) | instid1(SALU_CYCLE_1)
	s_lshl_b64 s[4:5], s[4:5], 2
	s_add_u32 s4, s6, s4
	s_addc_u32 s5, s7, s5
	s_and_not1_b32 vcc_lo, exec_lo, s3
	s_load_b32 s34, s[4:5], 0x0
	s_cbranch_vccnz .LBB251_34
; %bb.7:
	s_load_b64 s[2:3], s[0:1], 0x28
	s_waitcnt lgkmcnt(0)
	s_ashr_i32 s35, s34, 31
	v_lshrrev_b32_e32 v9, 6, v0
	s_lshl_b64 s[4:5], s[34:35], 3
	s_mov_b32 s15, exec_lo
	s_add_u32 s2, s2, s4
	s_addc_u32 s3, s3, s5
	s_load_b128 s[4:7], s[2:3], 0x0
	v_sub_co_u32 v9, s2, v9, s36
	s_delay_alu instid0(VALU_DEP_1) | instskip(SKIP_1) | instid1(VALU_DEP_2)
	v_sub_co_ci_u32_e64 v10, null, 0, 0, s2
	s_waitcnt lgkmcnt(0)
	v_add_co_u32 v9, vcc_lo, s4, v9
	s_delay_alu instid0(VALU_DEP_2)
	v_add_co_ci_u32_e32 v10, vcc_lo, s5, v10, vcc_lo
	s_sub_u32 s2, s6, s36
	s_subb_u32 s3, s7, 0
	s_delay_alu instid0(VALU_DEP_1) | instid1(SALU_CYCLE_1)
	v_cmpx_gt_i64_e64 s[2:3], v[9:10]
	s_cbranch_execz .LBB251_33
; %bb.8:
	s_clause 0x1
	s_load_b64 s[12:13], s[0:1], 0x50
	s_load_b256 s[4:11], s[0:1], 0x30
	v_and_b32_e32 v11, 63, v0
	s_mov_b32 s17, s37
	s_delay_alu instid0(VALU_DEP_1) | instskip(NEXT) | instid1(VALU_DEP_1)
	v_sub_co_u32 v27, s16, v11, s37
	v_sub_co_ci_u32_e64 v28, null, 0, 0, s16
	s_mov_b32 s16, 0
	s_branch .LBB251_10
.LBB251_9:                              ;   in Loop: Header=BB251_10 Depth=1
	s_or_b32 exec_lo, exec_lo, s18
	v_add_co_u32 v9, vcc_lo, v9, 16
	v_add_co_ci_u32_e32 v10, vcc_lo, 0, v10, vcc_lo
	s_delay_alu instid0(VALU_DEP_1) | instskip(SKIP_1) | instid1(SALU_CYCLE_1)
	v_cmp_le_i64_e32 vcc_lo, s[2:3], v[9:10]
	s_or_b32 s16, vcc_lo, s16
	s_and_not1_b32 exec_lo, exec_lo, s16
	s_cbranch_execz .LBB251_33
.LBB251_10:                             ; =>This Loop Header: Depth=1
                                        ;     Child Loop BB251_13 Depth 2
                                        ;       Child Loop BB251_15 Depth 3
                                        ;         Child Loop BB251_21 Depth 4
                                        ;         Child Loop BB251_23 Depth 4
	;; [unrolled: 1-line block ×4, first 2 shown]
	v_lshlrev_b64 v[11:12], 2, v[9:10]
	s_mov_b32 s18, exec_lo
	s_waitcnt lgkmcnt(0)
	s_delay_alu instid0(VALU_DEP_1) | instskip(NEXT) | instid1(VALU_DEP_2)
	v_add_co_u32 v11, vcc_lo, s4, v11
	v_add_co_ci_u32_e32 v12, vcc_lo, s5, v12, vcc_lo
	global_load_b32 v11, v[11:12], off
	s_waitcnt vmcnt(0)
	v_subrev_nc_u32_e32 v11, s36, v11
	s_delay_alu instid0(VALU_DEP_1) | instskip(NEXT) | instid1(VALU_DEP_1)
	v_ashrrev_i32_e32 v12, 31, v11
	v_lshlrev_b64 v[11:12], 3, v[11:12]
	s_delay_alu instid0(VALU_DEP_1) | instskip(NEXT) | instid1(VALU_DEP_2)
	v_add_co_u32 v11, vcc_lo, s8, v11
	v_add_co_ci_u32_e32 v12, vcc_lo, s9, v12, vcc_lo
	global_load_b128 v[13:16], v[11:12], off
	s_waitcnt vmcnt(0)
	v_sub_co_u32 v11, vcc_lo, v15, s17
	v_subrev_co_ci_u32_e32 v12, vcc_lo, 0, v16, vcc_lo
	v_add_co_u32 v13, vcc_lo, v13, v27
	v_add_co_ci_u32_e32 v14, vcc_lo, v14, v28, vcc_lo
	s_delay_alu instid0(VALU_DEP_1)
	v_cmpx_lt_i64_e64 v[13:14], v[11:12]
	s_cbranch_execz .LBB251_9
; %bb.11:                               ;   in Loop: Header=BB251_10 Depth=1
	v_lshlrev_b64 v[15:16], 4, v[9:10]
	s_mov_b32 s19, 0
	s_delay_alu instid0(VALU_DEP_1) | instskip(NEXT) | instid1(VALU_DEP_2)
	v_add_co_u32 v15, vcc_lo, s6, v15
	v_add_co_ci_u32_e32 v16, vcc_lo, s7, v16, vcc_lo
	global_load_b128 v[17:20], v[15:16], off
	s_waitcnt vmcnt(0)
	v_mul_f64 v[15:16], v[19:20], -v[7:8]
	v_mul_f64 v[19:20], v[5:6], v[19:20]
	s_delay_alu instid0(VALU_DEP_2) | instskip(NEXT) | instid1(VALU_DEP_2)
	v_fma_f64 v[15:16], v[5:6], v[17:18], v[15:16]
	v_fma_f64 v[17:18], v[7:8], v[17:18], v[19:20]
	s_branch .LBB251_13
.LBB251_12:                             ;   in Loop: Header=BB251_13 Depth=2
	s_or_b32 exec_lo, exec_lo, s20
	v_add_co_u32 v13, vcc_lo, v13, 64
	v_add_co_ci_u32_e32 v14, vcc_lo, 0, v14, vcc_lo
	s_delay_alu instid0(VALU_DEP_1) | instskip(SKIP_1) | instid1(SALU_CYCLE_1)
	v_cmp_ge_i64_e32 vcc_lo, v[13:14], v[11:12]
	s_or_b32 s19, vcc_lo, s19
	s_and_not1_b32 exec_lo, exec_lo, s19
	s_cbranch_execz .LBB251_9
.LBB251_13:                             ;   Parent Loop BB251_10 Depth=1
                                        ; =>  This Loop Header: Depth=2
                                        ;       Child Loop BB251_15 Depth 3
                                        ;         Child Loop BB251_21 Depth 4
                                        ;         Child Loop BB251_23 Depth 4
	;; [unrolled: 1-line block ×4, first 2 shown]
	v_lshlrev_b64 v[19:20], 4, v[13:14]
	s_mov_b32 s20, 0
	s_delay_alu instid0(VALU_DEP_1) | instskip(NEXT) | instid1(VALU_DEP_2)
	v_add_co_u32 v19, vcc_lo, s12, v19
	v_add_co_ci_u32_e32 v20, vcc_lo, s13, v20, vcc_lo
	global_load_b128 v[21:24], v[19:20], off
	v_lshlrev_b64 v[19:20], 2, v[13:14]
	s_delay_alu instid0(VALU_DEP_1) | instskip(NEXT) | instid1(VALU_DEP_2)
	v_add_co_u32 v19, vcc_lo, s10, v19
	v_add_co_ci_u32_e32 v20, vcc_lo, s11, v20, vcc_lo
	global_load_b32 v29, v[19:20], off
	s_waitcnt vmcnt(1)
	v_mul_f64 v[19:20], v[23:24], -v[17:18]
	v_mul_f64 v[23:24], v[15:16], v[23:24]
	s_waitcnt vmcnt(0)
	v_subrev_nc_u32_e32 v29, s37, v29
	s_delay_alu instid0(VALU_DEP_3) | instskip(NEXT) | instid1(VALU_DEP_3)
	v_fma_f64 v[19:20], v[15:16], v[21:22], v[19:20]
	v_fma_f64 v[21:22], v[17:18], v[21:22], v[23:24]
	s_delay_alu instid0(VALU_DEP_3) | instskip(NEXT) | instid1(VALU_DEP_1)
	v_mul_lo_u32 v23, 0x89, v29
	v_and_b32_e32 v30, 0x1fff, v23
	s_branch .LBB251_15
.LBB251_14:                             ;   in Loop: Header=BB251_15 Depth=3
	s_or_b32 exec_lo, exec_lo, s21
	s_xor_b32 s21, s22, -1
	s_delay_alu instid0(SALU_CYCLE_1) | instskip(NEXT) | instid1(SALU_CYCLE_1)
	s_and_b32 s21, exec_lo, s21
	s_or_b32 s20, s21, s20
	s_delay_alu instid0(SALU_CYCLE_1)
	s_and_not1_b32 exec_lo, exec_lo, s20
	s_cbranch_execz .LBB251_12
.LBB251_15:                             ;   Parent Loop BB251_10 Depth=1
                                        ;     Parent Loop BB251_13 Depth=2
                                        ; =>    This Loop Header: Depth=3
                                        ;         Child Loop BB251_21 Depth 4
                                        ;         Child Loop BB251_23 Depth 4
	;; [unrolled: 1-line block ×4, first 2 shown]
	s_delay_alu instid0(VALU_DEP_1)
	v_lshl_add_u32 v23, v30, 2, 0
	s_mov_b32 s21, exec_lo
                                        ; implicit-def: $sgpr22
	ds_load_b32 v24, v23
	s_waitcnt lgkmcnt(0)
	v_cmpx_ne_u32_e64 v24, v29
	s_xor_b32 s21, exec_lo, s21
	s_cbranch_execz .LBB251_27
; %bb.16:                               ;   in Loop: Header=BB251_15 Depth=3
	s_mov_b32 s23, exec_lo
                                        ; implicit-def: $sgpr22
	v_cmpx_ne_u32_e64 s33, v24
	s_xor_b32 s23, exec_lo, s23
; %bb.17:                               ;   in Loop: Header=BB251_15 Depth=3
	v_add_nc_u32_e32 v23, 1, v30
	s_mov_b32 s22, -1
	s_delay_alu instid0(VALU_DEP_1)
	v_and_b32_e32 v30, 0x1fff, v23
                                        ; implicit-def: $vgpr23
; %bb.18:                               ;   in Loop: Header=BB251_15 Depth=3
	s_and_not1_saveexec_b32 s23, s23
	s_cbranch_execz .LBB251_26
; %bb.19:                               ;   in Loop: Header=BB251_15 Depth=3
	v_mov_b32_e32 v24, s33
	s_mov_b32 s25, -1
	s_mov_b32 s24, exec_lo
	ds_cmpstore_rtn_b32 v24, v23, v29, v24
	s_waitcnt lgkmcnt(0)
	v_cmpx_eq_u32_e64 s33, v24
	s_cbranch_execz .LBB251_25
; %bb.20:                               ;   in Loop: Header=BB251_15 Depth=3
	v_mul_lo_u32 v24, v30, 12
	s_mov_b32 s25, 0
	s_delay_alu instid0(VALU_DEP_1)
	v_add_nc_u32_e32 v31, v23, v24
	ds_load_b64 v[23:24], v31 offset:32768
.LBB251_21:                             ;   Parent Loop BB251_10 Depth=1
                                        ;     Parent Loop BB251_13 Depth=2
                                        ;       Parent Loop BB251_15 Depth=3
                                        ; =>      This Inner Loop Header: Depth=4
	s_waitcnt lgkmcnt(0)
	v_add_f64 v[32:33], v[23:24], v[19:20]
	ds_cmpstore_rtn_b64 v[32:33], v31, v[32:33], v[23:24] offset:32768
	s_waitcnt lgkmcnt(0)
	v_cmp_eq_u64_e32 vcc_lo, v[32:33], v[23:24]
	v_dual_mov_b32 v23, v32 :: v_dual_mov_b32 v24, v33
	s_or_b32 s25, vcc_lo, s25
	s_delay_alu instid0(SALU_CYCLE_1)
	s_and_not1_b32 exec_lo, exec_lo, s25
	s_cbranch_execnz .LBB251_21
; %bb.22:                               ;   in Loop: Header=BB251_15 Depth=3
	s_or_b32 exec_lo, exec_lo, s25
	ds_load_b64 v[23:24], v31 offset:32776
	s_mov_b32 s25, 0
.LBB251_23:                             ;   Parent Loop BB251_10 Depth=1
                                        ;     Parent Loop BB251_13 Depth=2
                                        ;       Parent Loop BB251_15 Depth=3
                                        ; =>      This Inner Loop Header: Depth=4
	s_waitcnt lgkmcnt(0)
	v_add_f64 v[32:33], v[23:24], v[21:22]
	ds_cmpstore_rtn_b64 v[32:33], v31, v[32:33], v[23:24] offset:32776
	s_waitcnt lgkmcnt(0)
	v_cmp_eq_u64_e32 vcc_lo, v[32:33], v[23:24]
	v_dual_mov_b32 v23, v32 :: v_dual_mov_b32 v24, v33
	s_or_b32 s25, vcc_lo, s25
	s_delay_alu instid0(SALU_CYCLE_1)
	s_and_not1_b32 exec_lo, exec_lo, s25
	s_cbranch_execnz .LBB251_23
; %bb.24:                               ;   in Loop: Header=BB251_15 Depth=3
	s_or_b32 exec_lo, exec_lo, s25
	s_delay_alu instid0(SALU_CYCLE_1)
	s_xor_b32 s25, exec_lo, -1
.LBB251_25:                             ;   in Loop: Header=BB251_15 Depth=3
	s_or_b32 exec_lo, exec_lo, s24
	s_delay_alu instid0(SALU_CYCLE_1) | instskip(SKIP_1) | instid1(SALU_CYCLE_1)
	s_and_not1_b32 s22, s22, exec_lo
	s_and_b32 s24, s25, exec_lo
	s_or_b32 s22, s22, s24
.LBB251_26:                             ;   in Loop: Header=BB251_15 Depth=3
	s_or_b32 exec_lo, exec_lo, s23
	s_delay_alu instid0(SALU_CYCLE_1)
	s_and_b32 s22, s22, exec_lo
                                        ; implicit-def: $vgpr23
.LBB251_27:                             ;   in Loop: Header=BB251_15 Depth=3
	s_and_not1_saveexec_b32 s21, s21
	s_cbranch_execz .LBB251_14
; %bb.28:                               ;   in Loop: Header=BB251_15 Depth=3
	v_mul_lo_u32 v24, v30, 12
	s_mov_b32 s23, 0
	s_delay_alu instid0(VALU_DEP_1)
	v_add_nc_u32_e32 v31, v23, v24
	ds_load_b64 v[23:24], v31 offset:32768
.LBB251_29:                             ;   Parent Loop BB251_10 Depth=1
                                        ;     Parent Loop BB251_13 Depth=2
                                        ;       Parent Loop BB251_15 Depth=3
                                        ; =>      This Inner Loop Header: Depth=4
	s_waitcnt lgkmcnt(0)
	v_add_f64 v[32:33], v[23:24], v[19:20]
	ds_cmpstore_rtn_b64 v[32:33], v31, v[32:33], v[23:24] offset:32768
	s_waitcnt lgkmcnt(0)
	v_cmp_eq_u64_e32 vcc_lo, v[32:33], v[23:24]
	v_dual_mov_b32 v23, v32 :: v_dual_mov_b32 v24, v33
	s_or_b32 s23, vcc_lo, s23
	s_delay_alu instid0(SALU_CYCLE_1)
	s_and_not1_b32 exec_lo, exec_lo, s23
	s_cbranch_execnz .LBB251_29
; %bb.30:                               ;   in Loop: Header=BB251_15 Depth=3
	s_or_b32 exec_lo, exec_lo, s23
	ds_load_b64 v[23:24], v31 offset:32776
	s_mov_b32 s23, 0
.LBB251_31:                             ;   Parent Loop BB251_10 Depth=1
                                        ;     Parent Loop BB251_13 Depth=2
                                        ;       Parent Loop BB251_15 Depth=3
                                        ; =>      This Inner Loop Header: Depth=4
	s_waitcnt lgkmcnt(0)
	v_add_f64 v[32:33], v[23:24], v[21:22]
	ds_cmpstore_rtn_b64 v[32:33], v31, v[32:33], v[23:24] offset:32776
	s_waitcnt lgkmcnt(0)
	v_cmp_eq_u64_e32 vcc_lo, v[32:33], v[23:24]
	v_dual_mov_b32 v23, v32 :: v_dual_mov_b32 v24, v33
	s_or_b32 s23, vcc_lo, s23
	s_delay_alu instid0(SALU_CYCLE_1)
	s_and_not1_b32 exec_lo, exec_lo, s23
	s_cbranch_execnz .LBB251_31
; %bb.32:                               ;   in Loop: Header=BB251_15 Depth=3
	s_or_b32 exec_lo, exec_lo, s23
	s_delay_alu instid0(SALU_CYCLE_1)
	s_and_not1_b32 s22, s22, exec_lo
	s_branch .LBB251_14
.LBB251_33:
	s_or_b32 exec_lo, exec_lo, s15
.LBB251_34:
	s_clause 0x1
	s_load_b64 s[36:37], s[0:1], 0x90
	s_load_b128 s[40:43], s[0:1], 0x80
	s_and_not1_b32 vcc_lo, exec_lo, s14
	s_cbranch_vccnz .LBB251_59
; %bb.35:
	s_load_b64 s[2:3], s[0:1], 0x68
	s_waitcnt lgkmcnt(0)
	s_ashr_i32 s35, s34, 31
	s_delay_alu instid0(SALU_CYCLE_1) | instskip(NEXT) | instid1(SALU_CYCLE_1)
	s_lshl_b64 s[4:5], s[34:35], 3
	s_add_u32 s2, s2, s4
	s_addc_u32 s3, s3, s5
	s_load_b128 s[4:7], s[2:3], 0x0
	v_sub_co_u32 v5, s2, v0, s39
	s_delay_alu instid0(VALU_DEP_1) | instskip(SKIP_1) | instid1(VALU_DEP_2)
	v_sub_co_ci_u32_e64 v6, null, 0, 0, s2
	s_waitcnt lgkmcnt(0)
	v_add_co_u32 v5, vcc_lo, s4, v5
	s_delay_alu instid0(VALU_DEP_2)
	v_add_co_ci_u32_e32 v6, vcc_lo, s5, v6, vcc_lo
	s_sub_u32 s4, s6, s39
	s_subb_u32 s5, s7, 0
	s_mov_b32 s7, 0
	s_mov_b32 s6, exec_lo
	v_cmpx_gt_i64_e64 s[4:5], v[5:6]
	s_cbranch_execz .LBB251_58
; %bb.36:
	s_load_b128 s[0:3], s[0:1], 0x70
	s_branch .LBB251_38
.LBB251_37:                             ;   in Loop: Header=BB251_38 Depth=1
	s_or_b32 exec_lo, exec_lo, s8
	v_add_co_u32 v5, vcc_lo, 0x400, v5
	v_add_co_ci_u32_e32 v6, vcc_lo, 0, v6, vcc_lo
	s_delay_alu instid0(VALU_DEP_1) | instskip(SKIP_1) | instid1(SALU_CYCLE_1)
	v_cmp_le_i64_e32 vcc_lo, s[4:5], v[5:6]
	s_or_b32 s7, vcc_lo, s7
	s_and_not1_b32 exec_lo, exec_lo, s7
	s_cbranch_execz .LBB251_58
.LBB251_38:                             ; =>This Loop Header: Depth=1
                                        ;     Child Loop BB251_40 Depth 2
                                        ;       Child Loop BB251_46 Depth 3
                                        ;       Child Loop BB251_48 Depth 3
	;; [unrolled: 1-line block ×4, first 2 shown]
	v_lshlrev_b64 v[7:8], 4, v[5:6]
	s_mov_b32 s8, 0
	s_waitcnt lgkmcnt(0)
	s_delay_alu instid0(VALU_DEP_1) | instskip(NEXT) | instid1(VALU_DEP_2)
	v_add_co_u32 v7, vcc_lo, s2, v7
	v_add_co_ci_u32_e32 v8, vcc_lo, s3, v8, vcc_lo
	global_load_b128 v[9:12], v[7:8], off
	v_lshlrev_b64 v[7:8], 2, v[5:6]
	s_delay_alu instid0(VALU_DEP_1) | instskip(NEXT) | instid1(VALU_DEP_2)
	v_add_co_u32 v7, vcc_lo, s0, v7
	v_add_co_ci_u32_e32 v8, vcc_lo, s1, v8, vcc_lo
	global_load_b32 v13, v[7:8], off
	s_waitcnt vmcnt(1)
	v_mul_f64 v[7:8], v[11:12], -v[1:2]
	v_mul_f64 v[11:12], v[3:4], v[11:12]
	s_waitcnt vmcnt(0)
	v_subrev_nc_u32_e32 v13, s39, v13
	s_delay_alu instid0(VALU_DEP_3) | instskip(NEXT) | instid1(VALU_DEP_3)
	v_fma_f64 v[7:8], v[3:4], v[9:10], v[7:8]
	v_fma_f64 v[9:10], v[1:2], v[9:10], v[11:12]
	s_delay_alu instid0(VALU_DEP_3) | instskip(NEXT) | instid1(VALU_DEP_1)
	v_mul_lo_u32 v11, 0x89, v13
	v_and_b32_e32 v14, 0x1fff, v11
	s_branch .LBB251_40
.LBB251_39:                             ;   in Loop: Header=BB251_40 Depth=2
	s_or_b32 exec_lo, exec_lo, s9
	s_xor_b32 s9, s10, -1
	s_delay_alu instid0(SALU_CYCLE_1) | instskip(NEXT) | instid1(SALU_CYCLE_1)
	s_and_b32 s9, exec_lo, s9
	s_or_b32 s8, s9, s8
	s_delay_alu instid0(SALU_CYCLE_1)
	s_and_not1_b32 exec_lo, exec_lo, s8
	s_cbranch_execz .LBB251_37
.LBB251_40:                             ;   Parent Loop BB251_38 Depth=1
                                        ; =>  This Loop Header: Depth=2
                                        ;       Child Loop BB251_46 Depth 3
                                        ;       Child Loop BB251_48 Depth 3
	;; [unrolled: 1-line block ×4, first 2 shown]
	s_delay_alu instid0(VALU_DEP_1)
	v_lshl_add_u32 v11, v14, 2, 0
	s_mov_b32 s9, exec_lo
                                        ; implicit-def: $sgpr10
	ds_load_b32 v12, v11
	s_waitcnt lgkmcnt(0)
	v_cmpx_ne_u32_e64 v12, v13
	s_xor_b32 s9, exec_lo, s9
	s_cbranch_execz .LBB251_52
; %bb.41:                               ;   in Loop: Header=BB251_40 Depth=2
	s_mov_b32 s11, exec_lo
                                        ; implicit-def: $sgpr10
	v_cmpx_ne_u32_e64 s33, v12
	s_xor_b32 s11, exec_lo, s11
; %bb.42:                               ;   in Loop: Header=BB251_40 Depth=2
	v_add_nc_u32_e32 v11, 1, v14
	s_mov_b32 s10, -1
	s_delay_alu instid0(VALU_DEP_1)
	v_and_b32_e32 v14, 0x1fff, v11
                                        ; implicit-def: $vgpr11
; %bb.43:                               ;   in Loop: Header=BB251_40 Depth=2
	s_and_not1_saveexec_b32 s11, s11
	s_cbranch_execz .LBB251_51
; %bb.44:                               ;   in Loop: Header=BB251_40 Depth=2
	v_mov_b32_e32 v12, s33
	s_mov_b32 s13, -1
	s_mov_b32 s12, exec_lo
	ds_cmpstore_rtn_b32 v12, v11, v13, v12
	s_waitcnt lgkmcnt(0)
	v_cmpx_eq_u32_e64 s33, v12
	s_cbranch_execz .LBB251_50
; %bb.45:                               ;   in Loop: Header=BB251_40 Depth=2
	v_mul_lo_u32 v12, v14, 12
	s_mov_b32 s13, 0
	s_delay_alu instid0(VALU_DEP_1)
	v_add_nc_u32_e32 v15, v11, v12
	ds_load_b64 v[11:12], v15 offset:32768
.LBB251_46:                             ;   Parent Loop BB251_38 Depth=1
                                        ;     Parent Loop BB251_40 Depth=2
                                        ; =>    This Inner Loop Header: Depth=3
	s_waitcnt lgkmcnt(0)
	v_add_f64 v[16:17], v[11:12], v[7:8]
	ds_cmpstore_rtn_b64 v[16:17], v15, v[16:17], v[11:12] offset:32768
	s_waitcnt lgkmcnt(0)
	v_cmp_eq_u64_e32 vcc_lo, v[16:17], v[11:12]
	v_dual_mov_b32 v11, v16 :: v_dual_mov_b32 v12, v17
	s_or_b32 s13, vcc_lo, s13
	s_delay_alu instid0(SALU_CYCLE_1)
	s_and_not1_b32 exec_lo, exec_lo, s13
	s_cbranch_execnz .LBB251_46
; %bb.47:                               ;   in Loop: Header=BB251_40 Depth=2
	s_or_b32 exec_lo, exec_lo, s13
	ds_load_b64 v[11:12], v15 offset:32776
	s_mov_b32 s13, 0
.LBB251_48:                             ;   Parent Loop BB251_38 Depth=1
                                        ;     Parent Loop BB251_40 Depth=2
                                        ; =>    This Inner Loop Header: Depth=3
	s_waitcnt lgkmcnt(0)
	v_add_f64 v[16:17], v[11:12], v[9:10]
	ds_cmpstore_rtn_b64 v[16:17], v15, v[16:17], v[11:12] offset:32776
	s_waitcnt lgkmcnt(0)
	v_cmp_eq_u64_e32 vcc_lo, v[16:17], v[11:12]
	v_dual_mov_b32 v11, v16 :: v_dual_mov_b32 v12, v17
	s_or_b32 s13, vcc_lo, s13
	s_delay_alu instid0(SALU_CYCLE_1)
	s_and_not1_b32 exec_lo, exec_lo, s13
	s_cbranch_execnz .LBB251_48
; %bb.49:                               ;   in Loop: Header=BB251_40 Depth=2
	s_or_b32 exec_lo, exec_lo, s13
	s_delay_alu instid0(SALU_CYCLE_1)
	s_xor_b32 s13, exec_lo, -1
.LBB251_50:                             ;   in Loop: Header=BB251_40 Depth=2
	s_or_b32 exec_lo, exec_lo, s12
	s_delay_alu instid0(SALU_CYCLE_1) | instskip(SKIP_1) | instid1(SALU_CYCLE_1)
	s_and_not1_b32 s10, s10, exec_lo
	s_and_b32 s12, s13, exec_lo
	s_or_b32 s10, s10, s12
.LBB251_51:                             ;   in Loop: Header=BB251_40 Depth=2
	s_or_b32 exec_lo, exec_lo, s11
	s_delay_alu instid0(SALU_CYCLE_1)
	s_and_b32 s10, s10, exec_lo
                                        ; implicit-def: $vgpr11
.LBB251_52:                             ;   in Loop: Header=BB251_40 Depth=2
	s_and_not1_saveexec_b32 s9, s9
	s_cbranch_execz .LBB251_39
; %bb.53:                               ;   in Loop: Header=BB251_40 Depth=2
	v_mul_lo_u32 v12, v14, 12
	s_mov_b32 s11, 0
	s_delay_alu instid0(VALU_DEP_1)
	v_add_nc_u32_e32 v15, v11, v12
	ds_load_b64 v[11:12], v15 offset:32768
.LBB251_54:                             ;   Parent Loop BB251_38 Depth=1
                                        ;     Parent Loop BB251_40 Depth=2
                                        ; =>    This Inner Loop Header: Depth=3
	s_waitcnt lgkmcnt(0)
	v_add_f64 v[16:17], v[11:12], v[7:8]
	ds_cmpstore_rtn_b64 v[16:17], v15, v[16:17], v[11:12] offset:32768
	s_waitcnt lgkmcnt(0)
	v_cmp_eq_u64_e32 vcc_lo, v[16:17], v[11:12]
	v_dual_mov_b32 v11, v16 :: v_dual_mov_b32 v12, v17
	s_or_b32 s11, vcc_lo, s11
	s_delay_alu instid0(SALU_CYCLE_1)
	s_and_not1_b32 exec_lo, exec_lo, s11
	s_cbranch_execnz .LBB251_54
; %bb.55:                               ;   in Loop: Header=BB251_40 Depth=2
	s_or_b32 exec_lo, exec_lo, s11
	ds_load_b64 v[11:12], v15 offset:32776
	s_mov_b32 s11, 0
.LBB251_56:                             ;   Parent Loop BB251_38 Depth=1
                                        ;     Parent Loop BB251_40 Depth=2
                                        ; =>    This Inner Loop Header: Depth=3
	s_waitcnt lgkmcnt(0)
	v_add_f64 v[16:17], v[11:12], v[9:10]
	ds_cmpstore_rtn_b64 v[16:17], v15, v[16:17], v[11:12] offset:32776
	s_waitcnt lgkmcnt(0)
	v_cmp_eq_u64_e32 vcc_lo, v[16:17], v[11:12]
	v_dual_mov_b32 v11, v16 :: v_dual_mov_b32 v12, v17
	s_or_b32 s11, vcc_lo, s11
	s_delay_alu instid0(SALU_CYCLE_1)
	s_and_not1_b32 exec_lo, exec_lo, s11
	s_cbranch_execnz .LBB251_56
; %bb.57:                               ;   in Loop: Header=BB251_40 Depth=2
	s_or_b32 exec_lo, exec_lo, s11
	s_delay_alu instid0(SALU_CYCLE_1)
	s_and_not1_b32 s10, s10, exec_lo
	s_branch .LBB251_39
.LBB251_58:
	s_or_b32 exec_lo, exec_lo, s6
.LBB251_59:
	v_mbcnt_lo_u32_b32 v1, -1, 0
	v_lshrrev_b32_e32 v2, 3, v0
	s_add_i32 s70, 0, 0x2807c
	v_cmp_eq_u32_e32 vcc_lo, 0x3ff, v0
	v_cmp_lt_u32_e64 s0, 31, v0
	v_xor_b32_e32 v1, 63, v1
	v_dual_mov_b32 v6, s70 :: v_dual_and_b32 v3, 0x7c, v2
	v_cmp_lt_u32_e64 s1, 63, v0
	v_cmp_lt_u32_e64 s2, 0x5f, v0
	s_delay_alu instid0(VALU_DEP_4) | instskip(NEXT) | instid1(VALU_DEP_4)
	v_lshrrev_b64 v[1:2], v1, -1
	v_add3_u32 v2, 0, 0x28000, v3
	v_cmp_lt_u32_e64 s3, 0x7f, v0
	v_cmp_lt_u32_e64 s4, 0x9f, v0
	;; [unrolled: 1-line block ×28, first 2 shown]
	v_add3_u32 v3, v26, 0, 0x8000
	v_or_b32_e32 v4, 0xfffffc00, v0
	v_mov_b32_e32 v5, 0
	s_mov_b32 s35, 0
	s_add_i32 s39, 0, 0x28000
	s_add_i32 s44, 0, 0x28004
	;; [unrolled: 1-line block ×31, first 2 shown]
	s_waitcnt lgkmcnt(0)
	s_barrier
	buffer_gl0_inv
	s_branch .LBB251_61
.LBB251_60:                             ;   in Loop: Header=BB251_61 Depth=1
	s_or_b32 exec_lo, exec_lo, s31
	s_waitcnt lgkmcnt(0)
	s_barrier
	buffer_gl0_inv
	ds_load_b32 v7, v6
	v_add_nc_u32_e32 v4, 0x400, v4
	v_add_nc_u32_e32 v3, 0x4000, v3
	;; [unrolled: 1-line block ×3, first 2 shown]
	s_delay_alu instid0(VALU_DEP_3) | instskip(NEXT) | instid1(VALU_DEP_1)
	v_cmp_lt_u32_e64 s31, 0x1bff, v4
	s_or_b32 s35, s31, s35
	s_waitcnt lgkmcnt(0)
	v_add_nc_u32_e32 v5, v7, v5
	s_and_not1_b32 exec_lo, exec_lo, s35
	s_cbranch_execz .LBB251_127
.LBB251_61:                             ; =>This Inner Loop Header: Depth=1
	ds_load_b32 v7, v25
	ds_load_2addr_b64 v[8:11], v3 offset1:1
	s_waitcnt lgkmcnt(1)
	v_cmp_gt_i32_e64 s31, s33, v7
	s_waitcnt lgkmcnt(0)
	scratch_store_b128 off, v[8:11], off
	s_waitcnt_vscnt null, 0x0
	s_barrier
	buffer_gl0_inv
	s_bcnt1_i32_b32 s75, s31
	s_delay_alu instid0(SALU_CYCLE_1) | instskip(NEXT) | instid1(VALU_DEP_1)
	v_dual_mov_b32 v9, s75 :: v_dual_and_b32 v8, s31, v1
	v_bcnt_u32_b32 v8, v8, 0
	ds_store_b32 v2, v9
	s_waitcnt lgkmcnt(0)
	s_barrier
	buffer_gl0_inv
	s_and_saveexec_b32 s75, s0
	s_cbranch_execnz .LBB251_94
; %bb.62:                               ;   in Loop: Header=BB251_61 Depth=1
	s_or_b32 exec_lo, exec_lo, s75
	s_and_saveexec_b32 s75, s1
	s_cbranch_execnz .LBB251_95
.LBB251_63:                             ;   in Loop: Header=BB251_61 Depth=1
	s_or_b32 exec_lo, exec_lo, s75
	s_and_saveexec_b32 s75, s2
	s_cbranch_execnz .LBB251_96
.LBB251_64:                             ;   in Loop: Header=BB251_61 Depth=1
	s_or_b32 exec_lo, exec_lo, s75
	s_and_saveexec_b32 s75, s3
	s_cbranch_execnz .LBB251_97
.LBB251_65:                             ;   in Loop: Header=BB251_61 Depth=1
	s_or_b32 exec_lo, exec_lo, s75
	s_and_saveexec_b32 s75, s4
	s_cbranch_execnz .LBB251_98
.LBB251_66:                             ;   in Loop: Header=BB251_61 Depth=1
	s_or_b32 exec_lo, exec_lo, s75
	s_and_saveexec_b32 s75, s5
	s_cbranch_execnz .LBB251_99
.LBB251_67:                             ;   in Loop: Header=BB251_61 Depth=1
	s_or_b32 exec_lo, exec_lo, s75
	s_and_saveexec_b32 s75, s6
	s_cbranch_execnz .LBB251_100
.LBB251_68:                             ;   in Loop: Header=BB251_61 Depth=1
	s_or_b32 exec_lo, exec_lo, s75
	s_and_saveexec_b32 s75, s7
	s_cbranch_execnz .LBB251_101
.LBB251_69:                             ;   in Loop: Header=BB251_61 Depth=1
	s_or_b32 exec_lo, exec_lo, s75
	s_and_saveexec_b32 s75, s8
	s_cbranch_execnz .LBB251_102
.LBB251_70:                             ;   in Loop: Header=BB251_61 Depth=1
	s_or_b32 exec_lo, exec_lo, s75
	s_and_saveexec_b32 s75, s9
	s_cbranch_execnz .LBB251_103
.LBB251_71:                             ;   in Loop: Header=BB251_61 Depth=1
	s_or_b32 exec_lo, exec_lo, s75
	s_and_saveexec_b32 s75, s10
	s_cbranch_execnz .LBB251_104
.LBB251_72:                             ;   in Loop: Header=BB251_61 Depth=1
	s_or_b32 exec_lo, exec_lo, s75
	s_and_saveexec_b32 s75, s11
	s_cbranch_execnz .LBB251_105
.LBB251_73:                             ;   in Loop: Header=BB251_61 Depth=1
	s_or_b32 exec_lo, exec_lo, s75
	s_and_saveexec_b32 s75, s12
	s_cbranch_execnz .LBB251_106
.LBB251_74:                             ;   in Loop: Header=BB251_61 Depth=1
	s_or_b32 exec_lo, exec_lo, s75
	s_and_saveexec_b32 s75, s13
	s_cbranch_execnz .LBB251_107
.LBB251_75:                             ;   in Loop: Header=BB251_61 Depth=1
	s_or_b32 exec_lo, exec_lo, s75
	s_and_saveexec_b32 s75, s14
	s_cbranch_execnz .LBB251_108
.LBB251_76:                             ;   in Loop: Header=BB251_61 Depth=1
	s_or_b32 exec_lo, exec_lo, s75
	s_and_saveexec_b32 s75, s15
	s_cbranch_execnz .LBB251_109
.LBB251_77:                             ;   in Loop: Header=BB251_61 Depth=1
	s_or_b32 exec_lo, exec_lo, s75
	s_and_saveexec_b32 s75, s16
	s_cbranch_execnz .LBB251_110
.LBB251_78:                             ;   in Loop: Header=BB251_61 Depth=1
	s_or_b32 exec_lo, exec_lo, s75
	s_and_saveexec_b32 s75, s17
	s_cbranch_execnz .LBB251_111
.LBB251_79:                             ;   in Loop: Header=BB251_61 Depth=1
	s_or_b32 exec_lo, exec_lo, s75
	s_and_saveexec_b32 s75, s18
	s_cbranch_execnz .LBB251_112
.LBB251_80:                             ;   in Loop: Header=BB251_61 Depth=1
	s_or_b32 exec_lo, exec_lo, s75
	s_and_saveexec_b32 s75, s19
	s_cbranch_execnz .LBB251_113
.LBB251_81:                             ;   in Loop: Header=BB251_61 Depth=1
	s_or_b32 exec_lo, exec_lo, s75
	s_and_saveexec_b32 s75, s20
	s_cbranch_execnz .LBB251_114
.LBB251_82:                             ;   in Loop: Header=BB251_61 Depth=1
	s_or_b32 exec_lo, exec_lo, s75
	s_and_saveexec_b32 s75, s21
	s_cbranch_execnz .LBB251_115
.LBB251_83:                             ;   in Loop: Header=BB251_61 Depth=1
	s_or_b32 exec_lo, exec_lo, s75
	s_and_saveexec_b32 s75, s22
	s_cbranch_execnz .LBB251_116
.LBB251_84:                             ;   in Loop: Header=BB251_61 Depth=1
	s_or_b32 exec_lo, exec_lo, s75
	s_and_saveexec_b32 s75, s23
	s_cbranch_execnz .LBB251_117
.LBB251_85:                             ;   in Loop: Header=BB251_61 Depth=1
	s_or_b32 exec_lo, exec_lo, s75
	s_and_saveexec_b32 s75, s24
	s_cbranch_execnz .LBB251_118
.LBB251_86:                             ;   in Loop: Header=BB251_61 Depth=1
	s_or_b32 exec_lo, exec_lo, s75
	s_and_saveexec_b32 s75, s25
	s_cbranch_execnz .LBB251_119
.LBB251_87:                             ;   in Loop: Header=BB251_61 Depth=1
	s_or_b32 exec_lo, exec_lo, s75
	s_and_saveexec_b32 s75, s26
	s_cbranch_execnz .LBB251_120
.LBB251_88:                             ;   in Loop: Header=BB251_61 Depth=1
	s_or_b32 exec_lo, exec_lo, s75
	s_and_saveexec_b32 s75, s27
	s_cbranch_execnz .LBB251_121
.LBB251_89:                             ;   in Loop: Header=BB251_61 Depth=1
	s_or_b32 exec_lo, exec_lo, s75
	s_and_saveexec_b32 s75, s28
	s_cbranch_execnz .LBB251_122
.LBB251_90:                             ;   in Loop: Header=BB251_61 Depth=1
	s_or_b32 exec_lo, exec_lo, s75
	s_and_saveexec_b32 s75, s29
	s_cbranch_execnz .LBB251_123
.LBB251_91:                             ;   in Loop: Header=BB251_61 Depth=1
	s_or_b32 exec_lo, exec_lo, s75
	s_and_saveexec_b32 s75, s30
	s_cbranch_execnz .LBB251_124
.LBB251_92:                             ;   in Loop: Header=BB251_61 Depth=1
	s_or_b32 exec_lo, exec_lo, s75
	s_and_saveexec_b32 s75, s31
	s_cbranch_execnz .LBB251_125
.LBB251_93:                             ;   in Loop: Header=BB251_61 Depth=1
	s_or_b32 exec_lo, exec_lo, s75
	s_and_saveexec_b32 s31, vcc_lo
	s_cbranch_execz .LBB251_60
	s_branch .LBB251_126
.LBB251_94:                             ;   in Loop: Header=BB251_61 Depth=1
	v_mov_b32_e32 v9, s39
	ds_load_b32 v9, v9
	s_waitcnt lgkmcnt(0)
	v_add_nc_u32_e32 v8, v9, v8
	s_or_b32 exec_lo, exec_lo, s75
	s_and_saveexec_b32 s75, s1
	s_cbranch_execz .LBB251_63
.LBB251_95:                             ;   in Loop: Header=BB251_61 Depth=1
	v_mov_b32_e32 v9, s44
	ds_load_b32 v9, v9
	s_waitcnt lgkmcnt(0)
	v_add_nc_u32_e32 v8, v9, v8
	s_or_b32 exec_lo, exec_lo, s75
	s_and_saveexec_b32 s75, s2
	s_cbranch_execz .LBB251_64
.LBB251_96:                             ;   in Loop: Header=BB251_61 Depth=1
	v_mov_b32_e32 v9, s45
	ds_load_b32 v9, v9
	s_waitcnt lgkmcnt(0)
	v_add_nc_u32_e32 v8, v9, v8
	s_or_b32 exec_lo, exec_lo, s75
	s_and_saveexec_b32 s75, s3
	s_cbranch_execz .LBB251_65
.LBB251_97:                             ;   in Loop: Header=BB251_61 Depth=1
	v_mov_b32_e32 v9, s46
	ds_load_b32 v9, v9
	s_waitcnt lgkmcnt(0)
	v_add_nc_u32_e32 v8, v9, v8
	s_or_b32 exec_lo, exec_lo, s75
	s_and_saveexec_b32 s75, s4
	s_cbranch_execz .LBB251_66
.LBB251_98:                             ;   in Loop: Header=BB251_61 Depth=1
	v_mov_b32_e32 v9, s47
	ds_load_b32 v9, v9
	s_waitcnt lgkmcnt(0)
	v_add_nc_u32_e32 v8, v9, v8
	s_or_b32 exec_lo, exec_lo, s75
	s_and_saveexec_b32 s75, s5
	s_cbranch_execz .LBB251_67
.LBB251_99:                             ;   in Loop: Header=BB251_61 Depth=1
	v_mov_b32_e32 v9, s48
	ds_load_b32 v9, v9
	s_waitcnt lgkmcnt(0)
	v_add_nc_u32_e32 v8, v9, v8
	s_or_b32 exec_lo, exec_lo, s75
	s_and_saveexec_b32 s75, s6
	s_cbranch_execz .LBB251_68
.LBB251_100:                            ;   in Loop: Header=BB251_61 Depth=1
	v_mov_b32_e32 v9, s49
	ds_load_b32 v9, v9
	s_waitcnt lgkmcnt(0)
	v_add_nc_u32_e32 v8, v9, v8
	s_or_b32 exec_lo, exec_lo, s75
	s_and_saveexec_b32 s75, s7
	s_cbranch_execz .LBB251_69
.LBB251_101:                            ;   in Loop: Header=BB251_61 Depth=1
	v_mov_b32_e32 v9, s50
	ds_load_b32 v9, v9
	s_waitcnt lgkmcnt(0)
	v_add_nc_u32_e32 v8, v9, v8
	s_or_b32 exec_lo, exec_lo, s75
	s_and_saveexec_b32 s75, s8
	s_cbranch_execz .LBB251_70
.LBB251_102:                            ;   in Loop: Header=BB251_61 Depth=1
	v_mov_b32_e32 v9, s51
	ds_load_b32 v9, v9
	s_waitcnt lgkmcnt(0)
	v_add_nc_u32_e32 v8, v9, v8
	s_or_b32 exec_lo, exec_lo, s75
	s_and_saveexec_b32 s75, s9
	s_cbranch_execz .LBB251_71
.LBB251_103:                            ;   in Loop: Header=BB251_61 Depth=1
	v_mov_b32_e32 v9, s52
	ds_load_b32 v9, v9
	s_waitcnt lgkmcnt(0)
	v_add_nc_u32_e32 v8, v9, v8
	s_or_b32 exec_lo, exec_lo, s75
	s_and_saveexec_b32 s75, s10
	s_cbranch_execz .LBB251_72
.LBB251_104:                            ;   in Loop: Header=BB251_61 Depth=1
	v_mov_b32_e32 v9, s53
	ds_load_b32 v9, v9
	s_waitcnt lgkmcnt(0)
	v_add_nc_u32_e32 v8, v9, v8
	s_or_b32 exec_lo, exec_lo, s75
	s_and_saveexec_b32 s75, s11
	s_cbranch_execz .LBB251_73
.LBB251_105:                            ;   in Loop: Header=BB251_61 Depth=1
	v_mov_b32_e32 v9, s54
	ds_load_b32 v9, v9
	s_waitcnt lgkmcnt(0)
	v_add_nc_u32_e32 v8, v9, v8
	s_or_b32 exec_lo, exec_lo, s75
	s_and_saveexec_b32 s75, s12
	s_cbranch_execz .LBB251_74
.LBB251_106:                            ;   in Loop: Header=BB251_61 Depth=1
	v_mov_b32_e32 v9, s55
	ds_load_b32 v9, v9
	s_waitcnt lgkmcnt(0)
	v_add_nc_u32_e32 v8, v9, v8
	s_or_b32 exec_lo, exec_lo, s75
	s_and_saveexec_b32 s75, s13
	s_cbranch_execz .LBB251_75
.LBB251_107:                            ;   in Loop: Header=BB251_61 Depth=1
	v_mov_b32_e32 v9, s56
	ds_load_b32 v9, v9
	s_waitcnt lgkmcnt(0)
	v_add_nc_u32_e32 v8, v9, v8
	s_or_b32 exec_lo, exec_lo, s75
	s_and_saveexec_b32 s75, s14
	s_cbranch_execz .LBB251_76
.LBB251_108:                            ;   in Loop: Header=BB251_61 Depth=1
	v_mov_b32_e32 v9, s57
	ds_load_b32 v9, v9
	s_waitcnt lgkmcnt(0)
	v_add_nc_u32_e32 v8, v9, v8
	s_or_b32 exec_lo, exec_lo, s75
	s_and_saveexec_b32 s75, s15
	s_cbranch_execz .LBB251_77
.LBB251_109:                            ;   in Loop: Header=BB251_61 Depth=1
	v_mov_b32_e32 v9, s58
	ds_load_b32 v9, v9
	s_waitcnt lgkmcnt(0)
	v_add_nc_u32_e32 v8, v9, v8
	s_or_b32 exec_lo, exec_lo, s75
	s_and_saveexec_b32 s75, s16
	s_cbranch_execz .LBB251_78
.LBB251_110:                            ;   in Loop: Header=BB251_61 Depth=1
	v_mov_b32_e32 v9, s59
	ds_load_b32 v9, v9
	s_waitcnt lgkmcnt(0)
	v_add_nc_u32_e32 v8, v9, v8
	s_or_b32 exec_lo, exec_lo, s75
	s_and_saveexec_b32 s75, s17
	s_cbranch_execz .LBB251_79
.LBB251_111:                            ;   in Loop: Header=BB251_61 Depth=1
	v_mov_b32_e32 v9, s60
	ds_load_b32 v9, v9
	s_waitcnt lgkmcnt(0)
	v_add_nc_u32_e32 v8, v9, v8
	s_or_b32 exec_lo, exec_lo, s75
	s_and_saveexec_b32 s75, s18
	s_cbranch_execz .LBB251_80
.LBB251_112:                            ;   in Loop: Header=BB251_61 Depth=1
	v_mov_b32_e32 v9, s61
	ds_load_b32 v9, v9
	s_waitcnt lgkmcnt(0)
	v_add_nc_u32_e32 v8, v9, v8
	s_or_b32 exec_lo, exec_lo, s75
	s_and_saveexec_b32 s75, s19
	s_cbranch_execz .LBB251_81
.LBB251_113:                            ;   in Loop: Header=BB251_61 Depth=1
	v_mov_b32_e32 v9, s62
	ds_load_b32 v9, v9
	s_waitcnt lgkmcnt(0)
	v_add_nc_u32_e32 v8, v9, v8
	s_or_b32 exec_lo, exec_lo, s75
	s_and_saveexec_b32 s75, s20
	s_cbranch_execz .LBB251_82
.LBB251_114:                            ;   in Loop: Header=BB251_61 Depth=1
	v_mov_b32_e32 v9, s63
	ds_load_b32 v9, v9
	s_waitcnt lgkmcnt(0)
	v_add_nc_u32_e32 v8, v9, v8
	s_or_b32 exec_lo, exec_lo, s75
	s_and_saveexec_b32 s75, s21
	s_cbranch_execz .LBB251_83
.LBB251_115:                            ;   in Loop: Header=BB251_61 Depth=1
	v_mov_b32_e32 v9, s64
	ds_load_b32 v9, v9
	s_waitcnt lgkmcnt(0)
	v_add_nc_u32_e32 v8, v9, v8
	s_or_b32 exec_lo, exec_lo, s75
	s_and_saveexec_b32 s75, s22
	s_cbranch_execz .LBB251_84
.LBB251_116:                            ;   in Loop: Header=BB251_61 Depth=1
	v_mov_b32_e32 v9, s65
	ds_load_b32 v9, v9
	s_waitcnt lgkmcnt(0)
	v_add_nc_u32_e32 v8, v9, v8
	s_or_b32 exec_lo, exec_lo, s75
	s_and_saveexec_b32 s75, s23
	s_cbranch_execz .LBB251_85
.LBB251_117:                            ;   in Loop: Header=BB251_61 Depth=1
	v_mov_b32_e32 v9, s66
	ds_load_b32 v9, v9
	s_waitcnt lgkmcnt(0)
	v_add_nc_u32_e32 v8, v9, v8
	s_or_b32 exec_lo, exec_lo, s75
	s_and_saveexec_b32 s75, s24
	s_cbranch_execz .LBB251_86
.LBB251_118:                            ;   in Loop: Header=BB251_61 Depth=1
	v_mov_b32_e32 v9, s67
	ds_load_b32 v9, v9
	s_waitcnt lgkmcnt(0)
	v_add_nc_u32_e32 v8, v9, v8
	s_or_b32 exec_lo, exec_lo, s75
	s_and_saveexec_b32 s75, s25
	s_cbranch_execz .LBB251_87
.LBB251_119:                            ;   in Loop: Header=BB251_61 Depth=1
	v_mov_b32_e32 v9, s68
	ds_load_b32 v9, v9
	s_waitcnt lgkmcnt(0)
	v_add_nc_u32_e32 v8, v9, v8
	s_or_b32 exec_lo, exec_lo, s75
	s_and_saveexec_b32 s75, s26
	s_cbranch_execz .LBB251_88
.LBB251_120:                            ;   in Loop: Header=BB251_61 Depth=1
	v_mov_b32_e32 v9, s69
	ds_load_b32 v9, v9
	s_waitcnt lgkmcnt(0)
	v_add_nc_u32_e32 v8, v9, v8
	s_or_b32 exec_lo, exec_lo, s75
	s_and_saveexec_b32 s75, s27
	s_cbranch_execz .LBB251_89
.LBB251_121:                            ;   in Loop: Header=BB251_61 Depth=1
	v_mov_b32_e32 v9, s71
	ds_load_b32 v9, v9
	s_waitcnt lgkmcnt(0)
	v_add_nc_u32_e32 v8, v9, v8
	s_or_b32 exec_lo, exec_lo, s75
	s_and_saveexec_b32 s75, s28
	s_cbranch_execz .LBB251_90
.LBB251_122:                            ;   in Loop: Header=BB251_61 Depth=1
	v_mov_b32_e32 v9, s72
	ds_load_b32 v9, v9
	s_waitcnt lgkmcnt(0)
	v_add_nc_u32_e32 v8, v9, v8
	s_or_b32 exec_lo, exec_lo, s75
	s_and_saveexec_b32 s75, s29
	s_cbranch_execz .LBB251_91
.LBB251_123:                            ;   in Loop: Header=BB251_61 Depth=1
	v_mov_b32_e32 v9, s73
	ds_load_b32 v9, v9
	s_waitcnt lgkmcnt(0)
	v_add_nc_u32_e32 v8, v9, v8
	s_or_b32 exec_lo, exec_lo, s75
	s_and_saveexec_b32 s75, s30
	s_cbranch_execz .LBB251_92
.LBB251_124:                            ;   in Loop: Header=BB251_61 Depth=1
	v_mov_b32_e32 v9, s74
	ds_load_b32 v9, v9
	s_waitcnt lgkmcnt(0)
	v_add_nc_u32_e32 v8, v9, v8
	s_or_b32 exec_lo, exec_lo, s75
	s_and_saveexec_b32 s75, s31
	s_cbranch_execz .LBB251_93
.LBB251_125:                            ;   in Loop: Header=BB251_61 Depth=1
	scratch_load_b128 v[9:12], off, off
	v_add3_u32 v13, v5, -1, v8
	s_delay_alu instid0(VALU_DEP_1) | instskip(SKIP_1) | instid1(VALU_DEP_2)
	v_lshlrev_b32_e32 v14, 4, v13
	v_lshl_add_u32 v13, v13, 2, 0
	v_add3_u32 v14, 0, v14, 0x8000
	ds_store_b32 v13, v7
	s_waitcnt vmcnt(0)
	ds_store_2addr_b64 v14, v[9:10], v[11:12] offset1:1
	s_or_b32 exec_lo, exec_lo, s75
	s_and_saveexec_b32 s31, vcc_lo
	s_cbranch_execz .LBB251_60
.LBB251_126:                            ;   in Loop: Header=BB251_61 Depth=1
	v_mov_b32_e32 v7, s70
	ds_store_b32 v7, v8
	s_branch .LBB251_60
.LBB251_127:
	s_or_b32 exec_lo, exec_lo, s35
	s_ashr_i32 s35, s34, 31
	s_mov_b32 s4, exec_lo
	s_lshl_b64 s[0:1], s[34:35], 3
	s_delay_alu instid0(SALU_CYCLE_1) | instskip(SKIP_4) | instid1(SALU_CYCLE_1)
	s_add_u32 s0, s40, s0
	s_addc_u32 s1, s41, s1
	s_load_b128 s[0:3], s[0:1], 0x0
	s_waitcnt lgkmcnt(0)
	s_sub_i32 s3, s2, s0
	v_cmpx_gt_i32_e64 s3, v0
	s_cbranch_execz .LBB251_137
; %bb.128:
	s_sub_u32 s4, s0, s38
	s_subb_u32 s5, s1, 0
	s_sub_i32 s0, s0, s2
	s_and_b32 s1, s3, 7
	s_cmp_lt_u32 s0, -7
	s_mov_b32 s8, 0
	s_cselect_b32 s2, -1, 0
	s_and_b32 s6, s3, -8
	s_cmp_lg_u32 s1, 0
	s_cselect_b32 s7, -1, 0
	s_branch .LBB251_130
.LBB251_129:                            ;   in Loop: Header=BB251_130 Depth=1
	v_mul_lo_u32 v5, v0, 12
	s_delay_alu instid0(VALU_DEP_2) | instskip(SKIP_4) | instid1(VALU_DEP_4)
	v_lshlrev_b64 v[8:9], 2, v[1:2]
	v_lshlrev_b64 v[1:2], 4, v[1:2]
	v_add_nc_u32_e32 v0, 0x400, v0
	s_waitcnt lgkmcnt(0)
	v_add_nc_u32_e32 v3, s38, v3
	v_add_co_u32 v8, vcc_lo, s42, v8
	v_add3_u32 v4, v4, v5, 0x8000
	v_add_co_ci_u32_e32 v9, vcc_lo, s43, v9, vcc_lo
	v_cmp_le_i32_e32 vcc_lo, s3, v0
	v_add_co_u32 v1, s0, s36, v1
	ds_load_2addr_b64 v[4:7], v4 offset1:1
	v_add_co_ci_u32_e64 v2, s0, s37, v2, s0
	s_or_b32 s8, vcc_lo, s8
	global_store_b32 v[8:9], v3, off
	s_waitcnt lgkmcnt(0)
	global_store_b128 v[1:2], v[4:7], off
	s_and_not1_b32 exec_lo, exec_lo, s8
	s_cbranch_execz .LBB251_137
.LBB251_130:                            ; =>This Loop Header: Depth=1
                                        ;     Child Loop BB251_132 Depth 2
                                        ;     Child Loop BB251_136 Depth 2
	v_lshl_add_u32 v4, v0, 2, 0
	v_dual_mov_b32 v1, s4 :: v_dual_mov_b32 v2, s5
	s_and_not1_b32 vcc_lo, exec_lo, s2
	s_mov_b32 s0, 0
	ds_load_b32 v3, v4
	s_cbranch_vccnz .LBB251_134
; %bb.131:                              ;   in Loop: Header=BB251_130 Depth=1
	v_dual_mov_b32 v1, s4 :: v_dual_mov_b32 v2, s5
	s_mov_b32 s9, 0
	s_mov_b32 s10, 0
.LBB251_132:                            ;   Parent Loop BB251_130 Depth=1
                                        ; =>  This Inner Loop Header: Depth=2
	s_delay_alu instid0(SALU_CYCLE_1)
	v_mov_b32_e32 v11, s10
	s_add_i32 s9, s9, 8
	s_add_i32 s10, s10, 32
	s_cmp_eq_u32 s6, s9
	ds_load_2addr_b32 v[5:6], v11 offset1:1
	ds_load_2addr_b32 v[7:8], v11 offset0:2 offset1:3
	ds_load_2addr_b32 v[9:10], v11 offset0:4 offset1:5
	;; [unrolled: 1-line block ×3, first 2 shown]
	s_waitcnt lgkmcnt(3)
	v_cmp_gt_i32_e32 vcc_lo, v3, v5
	v_cndmask_b32_e64 v5, 0, 1, vcc_lo
	v_cmp_gt_i32_e32 vcc_lo, v3, v6
	v_cndmask_b32_e64 v6, 0, 1, vcc_lo
	s_waitcnt lgkmcnt(2)
	v_cmp_gt_i32_e32 vcc_lo, v3, v7
	v_cndmask_b32_e64 v7, 0, 1, vcc_lo
	v_cmp_gt_i32_e32 vcc_lo, v3, v8
	v_cndmask_b32_e64 v8, 0, 1, vcc_lo
	s_waitcnt lgkmcnt(1)
	v_cmp_gt_i32_e32 vcc_lo, v3, v9
	v_cndmask_b32_e64 v9, 0, 1, vcc_lo
	v_add_co_u32 v1, vcc_lo, v1, v5
	v_add_co_ci_u32_e32 v2, vcc_lo, 0, v2, vcc_lo
	v_cmp_gt_i32_e32 vcc_lo, v3, v10
	s_delay_alu instid0(VALU_DEP_3) | instskip(NEXT) | instid1(VALU_DEP_1)
	v_add_co_u32 v1, s0, v1, v6
	v_add_co_ci_u32_e64 v2, s0, 0, v2, s0
	v_cndmask_b32_e64 v5, 0, 1, vcc_lo
	s_delay_alu instid0(VALU_DEP_3) | instskip(NEXT) | instid1(VALU_DEP_3)
	v_add_co_u32 v1, vcc_lo, v1, v7
	v_add_co_ci_u32_e32 v2, vcc_lo, 0, v2, vcc_lo
	s_waitcnt lgkmcnt(0)
	v_cmp_gt_i32_e32 vcc_lo, v3, v11
	s_delay_alu instid0(VALU_DEP_3) | instskip(NEXT) | instid1(VALU_DEP_1)
	v_add_co_u32 v1, s0, v1, v8
	v_add_co_ci_u32_e64 v2, s0, 0, v2, s0
	v_cndmask_b32_e64 v6, 0, 1, vcc_lo
	s_delay_alu instid0(VALU_DEP_3) | instskip(NEXT) | instid1(VALU_DEP_3)
	v_add_co_u32 v1, vcc_lo, v1, v9
	v_add_co_ci_u32_e32 v2, vcc_lo, 0, v2, vcc_lo
	v_cmp_gt_i32_e32 vcc_lo, v3, v12
	s_delay_alu instid0(VALU_DEP_3) | instskip(NEXT) | instid1(VALU_DEP_1)
	v_add_co_u32 v1, s0, v1, v5
	v_add_co_ci_u32_e64 v2, s0, 0, v2, s0
	v_cndmask_b32_e64 v5, 0, 1, vcc_lo
	s_delay_alu instid0(VALU_DEP_3) | instskip(NEXT) | instid1(VALU_DEP_3)
	v_add_co_u32 v1, vcc_lo, v1, v6
	v_add_co_ci_u32_e32 v2, vcc_lo, 0, v2, vcc_lo
	s_delay_alu instid0(VALU_DEP_2) | instskip(NEXT) | instid1(VALU_DEP_2)
	v_add_co_u32 v1, vcc_lo, v1, v5
	v_add_co_ci_u32_e32 v2, vcc_lo, 0, v2, vcc_lo
	s_cbranch_scc0 .LBB251_132
; %bb.133:                              ;   in Loop: Header=BB251_130 Depth=1
	s_mov_b32 s0, s6
.LBB251_134:                            ;   in Loop: Header=BB251_130 Depth=1
	s_and_not1_b32 vcc_lo, exec_lo, s7
	s_cbranch_vccnz .LBB251_129
; %bb.135:                              ;   in Loop: Header=BB251_130 Depth=1
	s_lshl_b32 s0, s0, 2
	s_mov_b32 s9, s1
	s_add_i32 s0, s0, 0
.LBB251_136:                            ;   Parent Loop BB251_130 Depth=1
                                        ; =>  This Inner Loop Header: Depth=2
	s_delay_alu instid0(SALU_CYCLE_1)
	v_mov_b32_e32 v5, s0
	s_add_i32 s9, s9, -1
	s_add_i32 s0, s0, 4
	s_cmp_lg_u32 s9, 0
	ds_load_b32 v5, v5
	s_waitcnt lgkmcnt(0)
	v_cmp_gt_i32_e32 vcc_lo, v3, v5
	v_cndmask_b32_e64 v5, 0, 1, vcc_lo
	s_delay_alu instid0(VALU_DEP_1)
	v_add_co_u32 v1, vcc_lo, v1, v5
	v_add_co_ci_u32_e32 v2, vcc_lo, 0, v2, vcc_lo
	s_cbranch_scc1 .LBB251_136
	s_branch .LBB251_129
.LBB251_137:
	s_nop 0
	s_sendmsg sendmsg(MSG_DEALLOC_VGPRS)
	s_endpgm
	.section	.rodata,"a",@progbits
	.p2align	6, 0x0
	.amdhsa_kernel _ZN9rocsparseL26csrgemm_fill_block_per_rowILj1024ELj64ELj8192ELj137ELj32Eli21rocsparse_complex_numIdEEEvT5_PKS3_S5_NS_24const_host_device_scalarIT6_EEPKT4_S5_PKS7_SB_S5_SD_S8_SB_S5_SD_SB_PS3_PS7_21rocsparse_index_base_SG_SG_SG_bbb
		.amdhsa_group_segment_fixed_size 0
		.amdhsa_private_segment_fixed_size 40
		.amdhsa_kernarg_size 172
		.amdhsa_user_sgpr_count 15
		.amdhsa_user_sgpr_dispatch_ptr 0
		.amdhsa_user_sgpr_queue_ptr 0
		.amdhsa_user_sgpr_kernarg_segment_ptr 1
		.amdhsa_user_sgpr_dispatch_id 0
		.amdhsa_user_sgpr_private_segment_size 0
		.amdhsa_wavefront_size32 1
		.amdhsa_uses_dynamic_stack 0
		.amdhsa_enable_private_segment 1
		.amdhsa_system_sgpr_workgroup_id_x 1
		.amdhsa_system_sgpr_workgroup_id_y 0
		.amdhsa_system_sgpr_workgroup_id_z 0
		.amdhsa_system_sgpr_workgroup_info 0
		.amdhsa_system_vgpr_workitem_id 0
		.amdhsa_next_free_vgpr 34
		.amdhsa_next_free_sgpr 76
		.amdhsa_reserve_vcc 1
		.amdhsa_float_round_mode_32 0
		.amdhsa_float_round_mode_16_64 0
		.amdhsa_float_denorm_mode_32 3
		.amdhsa_float_denorm_mode_16_64 3
		.amdhsa_dx10_clamp 1
		.amdhsa_ieee_mode 1
		.amdhsa_fp16_overflow 0
		.amdhsa_workgroup_processor_mode 1
		.amdhsa_memory_ordered 1
		.amdhsa_forward_progress 0
		.amdhsa_shared_vgpr_count 0
		.amdhsa_exception_fp_ieee_invalid_op 0
		.amdhsa_exception_fp_denorm_src 0
		.amdhsa_exception_fp_ieee_div_zero 0
		.amdhsa_exception_fp_ieee_overflow 0
		.amdhsa_exception_fp_ieee_underflow 0
		.amdhsa_exception_fp_ieee_inexact 0
		.amdhsa_exception_int_div_zero 0
	.end_amdhsa_kernel
	.section	.text._ZN9rocsparseL26csrgemm_fill_block_per_rowILj1024ELj64ELj8192ELj137ELj32Eli21rocsparse_complex_numIdEEEvT5_PKS3_S5_NS_24const_host_device_scalarIT6_EEPKT4_S5_PKS7_SB_S5_SD_S8_SB_S5_SD_SB_PS3_PS7_21rocsparse_index_base_SG_SG_SG_bbb,"axG",@progbits,_ZN9rocsparseL26csrgemm_fill_block_per_rowILj1024ELj64ELj8192ELj137ELj32Eli21rocsparse_complex_numIdEEEvT5_PKS3_S5_NS_24const_host_device_scalarIT6_EEPKT4_S5_PKS7_SB_S5_SD_S8_SB_S5_SD_SB_PS3_PS7_21rocsparse_index_base_SG_SG_SG_bbb,comdat
.Lfunc_end251:
	.size	_ZN9rocsparseL26csrgemm_fill_block_per_rowILj1024ELj64ELj8192ELj137ELj32Eli21rocsparse_complex_numIdEEEvT5_PKS3_S5_NS_24const_host_device_scalarIT6_EEPKT4_S5_PKS7_SB_S5_SD_S8_SB_S5_SD_SB_PS3_PS7_21rocsparse_index_base_SG_SG_SG_bbb, .Lfunc_end251-_ZN9rocsparseL26csrgemm_fill_block_per_rowILj1024ELj64ELj8192ELj137ELj32Eli21rocsparse_complex_numIdEEEvT5_PKS3_S5_NS_24const_host_device_scalarIT6_EEPKT4_S5_PKS7_SB_S5_SD_S8_SB_S5_SD_SB_PS3_PS7_21rocsparse_index_base_SG_SG_SG_bbb
                                        ; -- End function
	.section	.AMDGPU.csdata,"",@progbits
; Kernel info:
; codeLenInByte = 5744
; NumSgprs: 78
; NumVgprs: 34
; ScratchSize: 40
; MemoryBound: 0
; FloatMode: 240
; IeeeMode: 1
; LDSByteSize: 0 bytes/workgroup (compile time only)
; SGPRBlocks: 9
; VGPRBlocks: 4
; NumSGPRsForWavesPerEU: 78
; NumVGPRsForWavesPerEU: 34
; Occupancy: 16
; WaveLimiterHint : 1
; COMPUTE_PGM_RSRC2:SCRATCH_EN: 1
; COMPUTE_PGM_RSRC2:USER_SGPR: 15
; COMPUTE_PGM_RSRC2:TRAP_HANDLER: 0
; COMPUTE_PGM_RSRC2:TGID_X_EN: 1
; COMPUTE_PGM_RSRC2:TGID_Y_EN: 0
; COMPUTE_PGM_RSRC2:TGID_Z_EN: 0
; COMPUTE_PGM_RSRC2:TIDIG_COMP_CNT: 0
	.section	.text._ZN9rocsparseL26csrgemm_fill_block_per_rowILj1024ELj64ELj8192ELj137ELj64Eli21rocsparse_complex_numIdEEEvT5_PKS3_S5_NS_24const_host_device_scalarIT6_EEPKT4_S5_PKS7_SB_S5_SD_S8_SB_S5_SD_SB_PS3_PS7_21rocsparse_index_base_SG_SG_SG_bbb,"axG",@progbits,_ZN9rocsparseL26csrgemm_fill_block_per_rowILj1024ELj64ELj8192ELj137ELj64Eli21rocsparse_complex_numIdEEEvT5_PKS3_S5_NS_24const_host_device_scalarIT6_EEPKT4_S5_PKS7_SB_S5_SD_S8_SB_S5_SD_SB_PS3_PS7_21rocsparse_index_base_SG_SG_SG_bbb,comdat
	.globl	_ZN9rocsparseL26csrgemm_fill_block_per_rowILj1024ELj64ELj8192ELj137ELj64Eli21rocsparse_complex_numIdEEEvT5_PKS3_S5_NS_24const_host_device_scalarIT6_EEPKT4_S5_PKS7_SB_S5_SD_S8_SB_S5_SD_SB_PS3_PS7_21rocsparse_index_base_SG_SG_SG_bbb ; -- Begin function _ZN9rocsparseL26csrgemm_fill_block_per_rowILj1024ELj64ELj8192ELj137ELj64Eli21rocsparse_complex_numIdEEEvT5_PKS3_S5_NS_24const_host_device_scalarIT6_EEPKT4_S5_PKS7_SB_S5_SD_S8_SB_S5_SD_SB_PS3_PS7_21rocsparse_index_base_SG_SG_SG_bbb
	.p2align	8
	.type	_ZN9rocsparseL26csrgemm_fill_block_per_rowILj1024ELj64ELj8192ELj137ELj64Eli21rocsparse_complex_numIdEEEvT5_PKS3_S5_NS_24const_host_device_scalarIT6_EEPKT4_S5_PKS7_SB_S5_SD_S8_SB_S5_SD_SB_PS3_PS7_21rocsparse_index_base_SG_SG_SG_bbb,@function
_ZN9rocsparseL26csrgemm_fill_block_per_rowILj1024ELj64ELj8192ELj137ELj64Eli21rocsparse_complex_numIdEEEvT5_PKS3_S5_NS_24const_host_device_scalarIT6_EEPKT4_S5_PKS7_SB_S5_SD_S8_SB_S5_SD_SB_PS3_PS7_21rocsparse_index_base_SG_SG_SG_bbb: ; @_ZN9rocsparseL26csrgemm_fill_block_per_rowILj1024ELj64ELj8192ELj137ELj64Eli21rocsparse_complex_numIdEEEvT5_PKS3_S5_NS_24const_host_device_scalarIT6_EEPKT4_S5_PKS7_SB_S5_SD_S8_SB_S5_SD_SB_PS3_PS7_21rocsparse_index_base_SG_SG_SG_bbb
; %bb.0:
	s_clause 0x3
	s_load_b32 s13, s[0:1], 0xa8
	s_load_b256 s[4:11], s[0:1], 0x8
	s_load_b128 s[20:23], s[0:1], 0x58
	s_load_b128 s[16:19], s[0:1], 0x98
	v_mov_b32_e32 v1, 0
	v_mov_b32_e32 v2, 0
	s_waitcnt lgkmcnt(0)
	s_bitcmp1_b32 s13, 0
	v_mov_b32_e32 v3, s8
	s_cselect_b32 s3, -1, 0
	s_bitcmp1_b32 s13, 16
	v_dual_mov_b32 v6, v2 :: v_dual_mov_b32 v5, v1
	s_cselect_b32 s2, -1, 0
	v_mov_b32_e32 v4, s9
	s_xor_b32 s12, s2, -1
	v_dual_mov_b32 v9, s20 :: v_dual_mov_b32 v10, s21
	v_cndmask_b32_e64 v7, 0, 1, s12
	s_bitcmp0_b32 s13, 0
	s_clause 0x1
	scratch_store_b64 off, v[3:4], off offset:16
	scratch_store_b64 off, v[9:10], off offset:24
	v_cmp_ne_u32_e32 vcc_lo, 1, v7
	v_dual_mov_b32 v8, v2 :: v_dual_mov_b32 v7, v1
	s_cbranch_scc1 .LBB252_3
; %bb.1:
	s_mov_b64 s[24:25], src_private_base
	s_and_b32 s14, s2, exec_lo
	s_cselect_b32 s14, s25, s9
	s_delay_alu instid0(SALU_CYCLE_1) | instskip(SKIP_2) | instid1(VALU_DEP_2)
	v_dual_mov_b32 v3, 16 :: v_dual_mov_b32 v4, s14
	v_dual_mov_b32 v7, s10 :: v_dual_mov_b32 v8, s11
	s_and_b32 vcc_lo, exec_lo, vcc_lo
	v_cndmask_b32_e64 v3, s8, v3, s2
	flat_load_b64 v[5:6], v[3:4]
	s_cbranch_vccnz .LBB252_3
; %bb.2:
	v_dual_mov_b32 v3, s8 :: v_dual_mov_b32 v4, s9
	flat_load_b64 v[7:8], v[3:4] offset:8
.LBB252_3:
	s_bitcmp1_b32 s13, 8
	v_dual_mov_b32 v4, v2 :: v_dual_mov_b32 v3, v1
	s_cselect_b32 s14, -1, 0
	s_bfe_u32 s8, s13, 0x10008
	s_delay_alu instid0(SALU_CYCLE_1)
	s_cmp_eq_u32 s8, 0
	s_cbranch_scc1 .LBB252_6
; %bb.4:
	s_mov_b64 s[8:9], src_private_base
	s_and_b32 s8, s2, exec_lo
	s_cselect_b32 s8, s9, s21
	s_delay_alu instid0(SALU_CYCLE_1) | instskip(SKIP_1) | instid1(VALU_DEP_1)
	v_dual_mov_b32 v1, 24 :: v_dual_mov_b32 v2, s8
	s_and_not1_b32 vcc_lo, exec_lo, s12
	v_cndmask_b32_e64 v1, s20, v1, s2
	flat_load_b64 v[3:4], v[1:2]
	v_dual_mov_b32 v1, s22 :: v_dual_mov_b32 v2, s23
	s_cbranch_vccnz .LBB252_6
; %bb.5:
	v_dual_mov_b32 v1, s20 :: v_dual_mov_b32 v2, s21
	flat_load_b64 v[1:2], v[1:2] offset:8
.LBB252_6:
	s_load_b32 s26, s[0:1], 0x0
	s_mov_b32 s8, 0
	v_lshl_add_u32 v25, v0, 2, 0
	s_mov_b32 s9, s8
	v_lshlrev_b32_e32 v26, 4, v0
	s_mov_b32 s10, s8
	s_mov_b32 s11, s8
	v_dual_mov_b32 v10, s9 :: v_dual_mov_b32 v9, s8
	s_delay_alu instid0(VALU_DEP_2) | instskip(SKIP_3) | instid1(VALU_DEP_4)
	v_add3_u32 v14, 0, 0x8000, v26
	v_mad_u32_u24 v13, v0, 12, v25
	v_dual_mov_b32 v12, s11 :: v_dual_mov_b32 v11, s10
	v_lshrrev_b32_e32 v27, 6, v0
	v_add_nc_u32_e32 v17, 0x8000, v14
	s_delay_alu instid0(VALU_DEP_4)
	v_add_nc_u32_e32 v15, 0x8000, v13
	v_mad_i32_i24 v13, v0, -12, v13
	s_waitcnt lgkmcnt(0)
	v_dual_mov_b32 v19, s26 :: v_dual_add_nc_u32 v16, 0x4000, v14
	v_mov_b32_e32 v18, s26
	v_dual_mov_b32 v20, s26 :: v_dual_mov_b32 v21, s26
	v_dual_mov_b32 v22, s26 :: v_dual_mov_b32 v23, s26
	ds_store_b32 v25, v18
	ds_store_2addr_b64 v15, v[9:10], v[11:12] offset1:1
	ds_store_2addr_stride64_b32 v13, v19, v20 offset0:16 offset1:32
	ds_store_2addr_b64 v16, v[9:10], v[11:12] offset1:1
	ds_store_2addr_b64 v17, v[9:10], v[11:12] offset1:1
	v_add_nc_u32_e32 v15, 0xc000, v14
	v_dual_mov_b32 v17, s26 :: v_dual_add_nc_u32 v16, 0x10000, v14
	v_add_nc_u32_e32 v18, 0x14000, v14
	v_add_nc_u32_e32 v20, 0x18000, v14
	;; [unrolled: 1-line block ×3, first 2 shown]
	ds_store_2addr_stride64_b32 v13, v21, v22 offset0:48 offset1:64
	ds_store_2addr_b64 v15, v[9:10], v[11:12] offset1:1
	ds_store_2addr_b64 v16, v[9:10], v[11:12] offset1:1
	ds_store_2addr_stride64_b32 v13, v17, v19 offset0:80 offset1:96
	ds_store_2addr_b64 v18, v[9:10], v[11:12] offset1:1
	ds_store_2addr_b64 v20, v[9:10], v[11:12] offset1:1
	ds_store_b32 v13, v23 offset:28672
	ds_store_2addr_b64 v14, v[9:10], v[11:12] offset1:1
	s_waitcnt vmcnt(0) lgkmcnt(0)
	s_waitcnt_vscnt null, 0x0
	s_barrier
	buffer_gl0_inv
	s_load_b32 s2, s[4:5], 0x0
	s_mov_b32 s5, s8
	s_waitcnt lgkmcnt(0)
	s_add_i32 s4, s2, s15
	s_delay_alu instid0(SALU_CYCLE_1) | instskip(NEXT) | instid1(SALU_CYCLE_1)
	s_lshl_b64 s[4:5], s[4:5], 2
	s_add_u32 s4, s6, s4
	s_addc_u32 s5, s7, s5
	s_and_not1_b32 vcc_lo, exec_lo, s3
	s_load_b32 s24, s[4:5], 0x0
	s_cbranch_vccnz .LBB252_34
; %bb.7:
	s_load_b64 s[2:3], s[0:1], 0x28
	s_waitcnt lgkmcnt(0)
	s_ashr_i32 s25, s24, 31
	s_mov_b32 s15, exec_lo
	s_lshl_b64 s[4:5], s[24:25], 3
	s_delay_alu instid0(SALU_CYCLE_1) | instskip(SKIP_3) | instid1(VALU_DEP_1)
	s_add_u32 s2, s2, s4
	s_addc_u32 s3, s3, s5
	s_load_b128 s[4:7], s[2:3], 0x0
	v_sub_co_u32 v9, s2, v27, s16
	v_sub_co_ci_u32_e64 v10, null, 0, 0, s2
	s_waitcnt lgkmcnt(0)
	s_delay_alu instid0(VALU_DEP_2) | instskip(NEXT) | instid1(VALU_DEP_2)
	v_add_co_u32 v9, vcc_lo, s4, v9
	v_add_co_ci_u32_e32 v10, vcc_lo, s5, v10, vcc_lo
	s_sub_u32 s2, s6, s16
	s_subb_u32 s3, s7, 0
	s_delay_alu instid0(VALU_DEP_1) | instid1(SALU_CYCLE_1)
	v_cmpx_gt_i64_e64 s[2:3], v[9:10]
	s_cbranch_execz .LBB252_33
; %bb.8:
	s_clause 0x1
	s_load_b64 s[12:13], s[0:1], 0x50
	s_load_b256 s[4:11], s[0:1], 0x30
	v_and_b32_e32 v11, 63, v0
	s_mov_b32 s21, s17
	s_delay_alu instid0(VALU_DEP_1) | instskip(NEXT) | instid1(VALU_DEP_1)
	v_sub_co_u32 v28, s20, v11, s17
	v_sub_co_ci_u32_e64 v29, null, 0, 0, s20
	s_mov_b32 s20, 0
	s_branch .LBB252_10
.LBB252_9:                              ;   in Loop: Header=BB252_10 Depth=1
	s_or_b32 exec_lo, exec_lo, s22
	v_add_co_u32 v9, vcc_lo, v9, 16
	v_add_co_ci_u32_e32 v10, vcc_lo, 0, v10, vcc_lo
	s_delay_alu instid0(VALU_DEP_1) | instskip(SKIP_1) | instid1(SALU_CYCLE_1)
	v_cmp_le_i64_e32 vcc_lo, s[2:3], v[9:10]
	s_or_b32 s20, vcc_lo, s20
	s_and_not1_b32 exec_lo, exec_lo, s20
	s_cbranch_execz .LBB252_33
.LBB252_10:                             ; =>This Loop Header: Depth=1
                                        ;     Child Loop BB252_13 Depth 2
                                        ;       Child Loop BB252_15 Depth 3
                                        ;         Child Loop BB252_21 Depth 4
                                        ;         Child Loop BB252_23 Depth 4
	;; [unrolled: 1-line block ×4, first 2 shown]
	v_lshlrev_b64 v[11:12], 2, v[9:10]
	s_mov_b32 s22, exec_lo
	s_waitcnt lgkmcnt(0)
	s_delay_alu instid0(VALU_DEP_1) | instskip(NEXT) | instid1(VALU_DEP_2)
	v_add_co_u32 v11, vcc_lo, s4, v11
	v_add_co_ci_u32_e32 v12, vcc_lo, s5, v12, vcc_lo
	global_load_b32 v11, v[11:12], off
	s_waitcnt vmcnt(0)
	v_subrev_nc_u32_e32 v11, s16, v11
	s_delay_alu instid0(VALU_DEP_1) | instskip(NEXT) | instid1(VALU_DEP_1)
	v_ashrrev_i32_e32 v12, 31, v11
	v_lshlrev_b64 v[11:12], 3, v[11:12]
	s_delay_alu instid0(VALU_DEP_1) | instskip(NEXT) | instid1(VALU_DEP_2)
	v_add_co_u32 v11, vcc_lo, s8, v11
	v_add_co_ci_u32_e32 v12, vcc_lo, s9, v12, vcc_lo
	global_load_b128 v[13:16], v[11:12], off
	s_waitcnt vmcnt(0)
	v_sub_co_u32 v11, vcc_lo, v15, s21
	v_subrev_co_ci_u32_e32 v12, vcc_lo, 0, v16, vcc_lo
	v_add_co_u32 v13, vcc_lo, v13, v28
	v_add_co_ci_u32_e32 v14, vcc_lo, v14, v29, vcc_lo
	s_delay_alu instid0(VALU_DEP_1)
	v_cmpx_lt_i64_e64 v[13:14], v[11:12]
	s_cbranch_execz .LBB252_9
; %bb.11:                               ;   in Loop: Header=BB252_10 Depth=1
	v_lshlrev_b64 v[15:16], 4, v[9:10]
	s_mov_b32 s23, 0
	s_delay_alu instid0(VALU_DEP_1) | instskip(NEXT) | instid1(VALU_DEP_2)
	v_add_co_u32 v15, vcc_lo, s6, v15
	v_add_co_ci_u32_e32 v16, vcc_lo, s7, v16, vcc_lo
	global_load_b128 v[17:20], v[15:16], off
	s_waitcnt vmcnt(0)
	v_mul_f64 v[15:16], v[19:20], -v[7:8]
	v_mul_f64 v[19:20], v[5:6], v[19:20]
	s_delay_alu instid0(VALU_DEP_2) | instskip(NEXT) | instid1(VALU_DEP_2)
	v_fma_f64 v[15:16], v[5:6], v[17:18], v[15:16]
	v_fma_f64 v[17:18], v[7:8], v[17:18], v[19:20]
	s_branch .LBB252_13
.LBB252_12:                             ;   in Loop: Header=BB252_13 Depth=2
	s_or_b32 exec_lo, exec_lo, s25
	v_add_co_u32 v13, vcc_lo, v13, 64
	v_add_co_ci_u32_e32 v14, vcc_lo, 0, v14, vcc_lo
	s_delay_alu instid0(VALU_DEP_1) | instskip(SKIP_1) | instid1(SALU_CYCLE_1)
	v_cmp_ge_i64_e32 vcc_lo, v[13:14], v[11:12]
	s_or_b32 s23, vcc_lo, s23
	s_and_not1_b32 exec_lo, exec_lo, s23
	s_cbranch_execz .LBB252_9
.LBB252_13:                             ;   Parent Loop BB252_10 Depth=1
                                        ; =>  This Loop Header: Depth=2
                                        ;       Child Loop BB252_15 Depth 3
                                        ;         Child Loop BB252_21 Depth 4
                                        ;         Child Loop BB252_23 Depth 4
	;; [unrolled: 1-line block ×4, first 2 shown]
	v_lshlrev_b64 v[19:20], 4, v[13:14]
	s_mov_b32 s25, 0
	s_delay_alu instid0(VALU_DEP_1) | instskip(NEXT) | instid1(VALU_DEP_2)
	v_add_co_u32 v19, vcc_lo, s12, v19
	v_add_co_ci_u32_e32 v20, vcc_lo, s13, v20, vcc_lo
	global_load_b128 v[21:24], v[19:20], off
	v_lshlrev_b64 v[19:20], 2, v[13:14]
	s_delay_alu instid0(VALU_DEP_1) | instskip(NEXT) | instid1(VALU_DEP_2)
	v_add_co_u32 v19, vcc_lo, s10, v19
	v_add_co_ci_u32_e32 v20, vcc_lo, s11, v20, vcc_lo
	global_load_b32 v30, v[19:20], off
	s_waitcnt vmcnt(1)
	v_mul_f64 v[19:20], v[23:24], -v[17:18]
	v_mul_f64 v[23:24], v[15:16], v[23:24]
	s_waitcnt vmcnt(0)
	v_subrev_nc_u32_e32 v30, s17, v30
	s_delay_alu instid0(VALU_DEP_3) | instskip(NEXT) | instid1(VALU_DEP_3)
	v_fma_f64 v[19:20], v[15:16], v[21:22], v[19:20]
	v_fma_f64 v[21:22], v[17:18], v[21:22], v[23:24]
	s_delay_alu instid0(VALU_DEP_3) | instskip(NEXT) | instid1(VALU_DEP_1)
	v_mul_lo_u32 v23, 0x89, v30
	v_and_b32_e32 v31, 0x1fff, v23
	s_branch .LBB252_15
.LBB252_14:                             ;   in Loop: Header=BB252_15 Depth=3
	s_or_b32 exec_lo, exec_lo, s27
	s_xor_b32 s27, s28, -1
	s_delay_alu instid0(SALU_CYCLE_1) | instskip(NEXT) | instid1(SALU_CYCLE_1)
	s_and_b32 s27, exec_lo, s27
	s_or_b32 s25, s27, s25
	s_delay_alu instid0(SALU_CYCLE_1)
	s_and_not1_b32 exec_lo, exec_lo, s25
	s_cbranch_execz .LBB252_12
.LBB252_15:                             ;   Parent Loop BB252_10 Depth=1
                                        ;     Parent Loop BB252_13 Depth=2
                                        ; =>    This Loop Header: Depth=3
                                        ;         Child Loop BB252_21 Depth 4
                                        ;         Child Loop BB252_23 Depth 4
	;; [unrolled: 1-line block ×4, first 2 shown]
	s_delay_alu instid0(VALU_DEP_1)
	v_lshl_add_u32 v23, v31, 2, 0
	s_mov_b32 s27, exec_lo
                                        ; implicit-def: $sgpr28
	ds_load_b32 v24, v23
	s_waitcnt lgkmcnt(0)
	v_cmpx_ne_u32_e64 v24, v30
	s_xor_b32 s27, exec_lo, s27
	s_cbranch_execz .LBB252_27
; %bb.16:                               ;   in Loop: Header=BB252_15 Depth=3
	s_mov_b32 s29, exec_lo
                                        ; implicit-def: $sgpr28
	v_cmpx_ne_u32_e64 s26, v24
	s_xor_b32 s29, exec_lo, s29
; %bb.17:                               ;   in Loop: Header=BB252_15 Depth=3
	v_add_nc_u32_e32 v23, 1, v31
	s_mov_b32 s28, -1
	s_delay_alu instid0(VALU_DEP_1)
	v_and_b32_e32 v31, 0x1fff, v23
                                        ; implicit-def: $vgpr23
; %bb.18:                               ;   in Loop: Header=BB252_15 Depth=3
	s_and_not1_saveexec_b32 s29, s29
	s_cbranch_execz .LBB252_26
; %bb.19:                               ;   in Loop: Header=BB252_15 Depth=3
	v_mov_b32_e32 v24, s26
	s_mov_b32 s31, -1
	s_mov_b32 s30, exec_lo
	ds_cmpstore_rtn_b32 v24, v23, v30, v24
	s_waitcnt lgkmcnt(0)
	v_cmpx_eq_u32_e64 s26, v24
	s_cbranch_execz .LBB252_25
; %bb.20:                               ;   in Loop: Header=BB252_15 Depth=3
	v_mul_lo_u32 v24, v31, 12
	s_mov_b32 s31, 0
	s_delay_alu instid0(VALU_DEP_1)
	v_add_nc_u32_e32 v32, v23, v24
	ds_load_b64 v[23:24], v32 offset:32768
.LBB252_21:                             ;   Parent Loop BB252_10 Depth=1
                                        ;     Parent Loop BB252_13 Depth=2
                                        ;       Parent Loop BB252_15 Depth=3
                                        ; =>      This Inner Loop Header: Depth=4
	s_waitcnt lgkmcnt(0)
	v_add_f64 v[33:34], v[23:24], v[19:20]
	ds_cmpstore_rtn_b64 v[33:34], v32, v[33:34], v[23:24] offset:32768
	s_waitcnt lgkmcnt(0)
	v_cmp_eq_u64_e32 vcc_lo, v[33:34], v[23:24]
	v_dual_mov_b32 v23, v33 :: v_dual_mov_b32 v24, v34
	s_or_b32 s31, vcc_lo, s31
	s_delay_alu instid0(SALU_CYCLE_1)
	s_and_not1_b32 exec_lo, exec_lo, s31
	s_cbranch_execnz .LBB252_21
; %bb.22:                               ;   in Loop: Header=BB252_15 Depth=3
	s_or_b32 exec_lo, exec_lo, s31
	ds_load_b64 v[23:24], v32 offset:32776
	s_mov_b32 s31, 0
.LBB252_23:                             ;   Parent Loop BB252_10 Depth=1
                                        ;     Parent Loop BB252_13 Depth=2
                                        ;       Parent Loop BB252_15 Depth=3
                                        ; =>      This Inner Loop Header: Depth=4
	s_waitcnt lgkmcnt(0)
	v_add_f64 v[33:34], v[23:24], v[21:22]
	ds_cmpstore_rtn_b64 v[33:34], v32, v[33:34], v[23:24] offset:32776
	s_waitcnt lgkmcnt(0)
	v_cmp_eq_u64_e32 vcc_lo, v[33:34], v[23:24]
	v_dual_mov_b32 v23, v33 :: v_dual_mov_b32 v24, v34
	s_or_b32 s31, vcc_lo, s31
	s_delay_alu instid0(SALU_CYCLE_1)
	s_and_not1_b32 exec_lo, exec_lo, s31
	s_cbranch_execnz .LBB252_23
; %bb.24:                               ;   in Loop: Header=BB252_15 Depth=3
	s_or_b32 exec_lo, exec_lo, s31
	s_delay_alu instid0(SALU_CYCLE_1)
	s_xor_b32 s31, exec_lo, -1
.LBB252_25:                             ;   in Loop: Header=BB252_15 Depth=3
	s_or_b32 exec_lo, exec_lo, s30
	s_delay_alu instid0(SALU_CYCLE_1) | instskip(SKIP_1) | instid1(SALU_CYCLE_1)
	s_and_not1_b32 s28, s28, exec_lo
	s_and_b32 s30, s31, exec_lo
	s_or_b32 s28, s28, s30
.LBB252_26:                             ;   in Loop: Header=BB252_15 Depth=3
	s_or_b32 exec_lo, exec_lo, s29
	s_delay_alu instid0(SALU_CYCLE_1)
	s_and_b32 s28, s28, exec_lo
                                        ; implicit-def: $vgpr23
.LBB252_27:                             ;   in Loop: Header=BB252_15 Depth=3
	s_and_not1_saveexec_b32 s27, s27
	s_cbranch_execz .LBB252_14
; %bb.28:                               ;   in Loop: Header=BB252_15 Depth=3
	v_mul_lo_u32 v24, v31, 12
	s_mov_b32 s29, 0
	s_delay_alu instid0(VALU_DEP_1)
	v_add_nc_u32_e32 v32, v23, v24
	ds_load_b64 v[23:24], v32 offset:32768
.LBB252_29:                             ;   Parent Loop BB252_10 Depth=1
                                        ;     Parent Loop BB252_13 Depth=2
                                        ;       Parent Loop BB252_15 Depth=3
                                        ; =>      This Inner Loop Header: Depth=4
	s_waitcnt lgkmcnt(0)
	v_add_f64 v[33:34], v[23:24], v[19:20]
	ds_cmpstore_rtn_b64 v[33:34], v32, v[33:34], v[23:24] offset:32768
	s_waitcnt lgkmcnt(0)
	v_cmp_eq_u64_e32 vcc_lo, v[33:34], v[23:24]
	v_dual_mov_b32 v23, v33 :: v_dual_mov_b32 v24, v34
	s_or_b32 s29, vcc_lo, s29
	s_delay_alu instid0(SALU_CYCLE_1)
	s_and_not1_b32 exec_lo, exec_lo, s29
	s_cbranch_execnz .LBB252_29
; %bb.30:                               ;   in Loop: Header=BB252_15 Depth=3
	s_or_b32 exec_lo, exec_lo, s29
	ds_load_b64 v[23:24], v32 offset:32776
	s_mov_b32 s29, 0
.LBB252_31:                             ;   Parent Loop BB252_10 Depth=1
                                        ;     Parent Loop BB252_13 Depth=2
                                        ;       Parent Loop BB252_15 Depth=3
                                        ; =>      This Inner Loop Header: Depth=4
	s_waitcnt lgkmcnt(0)
	v_add_f64 v[33:34], v[23:24], v[21:22]
	ds_cmpstore_rtn_b64 v[33:34], v32, v[33:34], v[23:24] offset:32776
	s_waitcnt lgkmcnt(0)
	v_cmp_eq_u64_e32 vcc_lo, v[33:34], v[23:24]
	v_dual_mov_b32 v23, v33 :: v_dual_mov_b32 v24, v34
	s_or_b32 s29, vcc_lo, s29
	s_delay_alu instid0(SALU_CYCLE_1)
	s_and_not1_b32 exec_lo, exec_lo, s29
	s_cbranch_execnz .LBB252_31
; %bb.32:                               ;   in Loop: Header=BB252_15 Depth=3
	s_or_b32 exec_lo, exec_lo, s29
	s_delay_alu instid0(SALU_CYCLE_1)
	s_and_not1_b32 s28, s28, exec_lo
	s_branch .LBB252_14
.LBB252_33:
	s_or_b32 exec_lo, exec_lo, s15
.LBB252_34:
	s_clause 0x1
	s_load_b64 s[16:17], s[0:1], 0x90
	s_load_b128 s[20:23], s[0:1], 0x80
	s_and_not1_b32 vcc_lo, exec_lo, s14
	s_cbranch_vccnz .LBB252_59
; %bb.35:
	s_load_b64 s[2:3], s[0:1], 0x68
	s_waitcnt lgkmcnt(0)
	s_ashr_i32 s25, s24, 31
	s_delay_alu instid0(SALU_CYCLE_1) | instskip(NEXT) | instid1(SALU_CYCLE_1)
	s_lshl_b64 s[4:5], s[24:25], 3
	s_add_u32 s2, s2, s4
	s_addc_u32 s3, s3, s5
	s_load_b128 s[4:7], s[2:3], 0x0
	v_sub_co_u32 v5, s2, v0, s19
	s_delay_alu instid0(VALU_DEP_1) | instskip(SKIP_1) | instid1(VALU_DEP_2)
	v_sub_co_ci_u32_e64 v6, null, 0, 0, s2
	s_waitcnt lgkmcnt(0)
	v_add_co_u32 v5, vcc_lo, s4, v5
	s_delay_alu instid0(VALU_DEP_2)
	v_add_co_ci_u32_e32 v6, vcc_lo, s5, v6, vcc_lo
	s_sub_u32 s4, s6, s19
	s_subb_u32 s5, s7, 0
	s_mov_b32 s7, 0
	s_mov_b32 s6, exec_lo
	v_cmpx_gt_i64_e64 s[4:5], v[5:6]
	s_cbranch_execz .LBB252_58
; %bb.36:
	s_load_b128 s[0:3], s[0:1], 0x70
	s_branch .LBB252_38
.LBB252_37:                             ;   in Loop: Header=BB252_38 Depth=1
	s_or_b32 exec_lo, exec_lo, s8
	v_add_co_u32 v5, vcc_lo, 0x400, v5
	v_add_co_ci_u32_e32 v6, vcc_lo, 0, v6, vcc_lo
	s_delay_alu instid0(VALU_DEP_1) | instskip(SKIP_1) | instid1(SALU_CYCLE_1)
	v_cmp_le_i64_e32 vcc_lo, s[4:5], v[5:6]
	s_or_b32 s7, vcc_lo, s7
	s_and_not1_b32 exec_lo, exec_lo, s7
	s_cbranch_execz .LBB252_58
.LBB252_38:                             ; =>This Loop Header: Depth=1
                                        ;     Child Loop BB252_40 Depth 2
                                        ;       Child Loop BB252_46 Depth 3
                                        ;       Child Loop BB252_48 Depth 3
                                        ;       Child Loop BB252_54 Depth 3
                                        ;       Child Loop BB252_56 Depth 3
	v_lshlrev_b64 v[7:8], 4, v[5:6]
	s_mov_b32 s8, 0
	s_waitcnt lgkmcnt(0)
	s_delay_alu instid0(VALU_DEP_1) | instskip(NEXT) | instid1(VALU_DEP_2)
	v_add_co_u32 v7, vcc_lo, s2, v7
	v_add_co_ci_u32_e32 v8, vcc_lo, s3, v8, vcc_lo
	global_load_b128 v[9:12], v[7:8], off
	v_lshlrev_b64 v[7:8], 2, v[5:6]
	s_delay_alu instid0(VALU_DEP_1) | instskip(NEXT) | instid1(VALU_DEP_2)
	v_add_co_u32 v7, vcc_lo, s0, v7
	v_add_co_ci_u32_e32 v8, vcc_lo, s1, v8, vcc_lo
	global_load_b32 v13, v[7:8], off
	s_waitcnt vmcnt(1)
	v_mul_f64 v[7:8], v[11:12], -v[1:2]
	v_mul_f64 v[11:12], v[3:4], v[11:12]
	s_waitcnt vmcnt(0)
	v_subrev_nc_u32_e32 v13, s19, v13
	s_delay_alu instid0(VALU_DEP_3) | instskip(NEXT) | instid1(VALU_DEP_3)
	v_fma_f64 v[7:8], v[3:4], v[9:10], v[7:8]
	v_fma_f64 v[9:10], v[1:2], v[9:10], v[11:12]
	s_delay_alu instid0(VALU_DEP_3) | instskip(NEXT) | instid1(VALU_DEP_1)
	v_mul_lo_u32 v11, 0x89, v13
	v_and_b32_e32 v14, 0x1fff, v11
	s_branch .LBB252_40
.LBB252_39:                             ;   in Loop: Header=BB252_40 Depth=2
	s_or_b32 exec_lo, exec_lo, s9
	s_xor_b32 s9, s10, -1
	s_delay_alu instid0(SALU_CYCLE_1) | instskip(NEXT) | instid1(SALU_CYCLE_1)
	s_and_b32 s9, exec_lo, s9
	s_or_b32 s8, s9, s8
	s_delay_alu instid0(SALU_CYCLE_1)
	s_and_not1_b32 exec_lo, exec_lo, s8
	s_cbranch_execz .LBB252_37
.LBB252_40:                             ;   Parent Loop BB252_38 Depth=1
                                        ; =>  This Loop Header: Depth=2
                                        ;       Child Loop BB252_46 Depth 3
                                        ;       Child Loop BB252_48 Depth 3
                                        ;       Child Loop BB252_54 Depth 3
                                        ;       Child Loop BB252_56 Depth 3
	s_delay_alu instid0(VALU_DEP_1)
	v_lshl_add_u32 v11, v14, 2, 0
	s_mov_b32 s9, exec_lo
                                        ; implicit-def: $sgpr10
	ds_load_b32 v12, v11
	s_waitcnt lgkmcnt(0)
	v_cmpx_ne_u32_e64 v12, v13
	s_xor_b32 s9, exec_lo, s9
	s_cbranch_execz .LBB252_52
; %bb.41:                               ;   in Loop: Header=BB252_40 Depth=2
	s_mov_b32 s11, exec_lo
                                        ; implicit-def: $sgpr10
	v_cmpx_ne_u32_e64 s26, v12
	s_xor_b32 s11, exec_lo, s11
; %bb.42:                               ;   in Loop: Header=BB252_40 Depth=2
	v_add_nc_u32_e32 v11, 1, v14
	s_mov_b32 s10, -1
	s_delay_alu instid0(VALU_DEP_1)
	v_and_b32_e32 v14, 0x1fff, v11
                                        ; implicit-def: $vgpr11
; %bb.43:                               ;   in Loop: Header=BB252_40 Depth=2
	s_and_not1_saveexec_b32 s11, s11
	s_cbranch_execz .LBB252_51
; %bb.44:                               ;   in Loop: Header=BB252_40 Depth=2
	v_mov_b32_e32 v12, s26
	s_mov_b32 s13, -1
	s_mov_b32 s12, exec_lo
	ds_cmpstore_rtn_b32 v12, v11, v13, v12
	s_waitcnt lgkmcnt(0)
	v_cmpx_eq_u32_e64 s26, v12
	s_cbranch_execz .LBB252_50
; %bb.45:                               ;   in Loop: Header=BB252_40 Depth=2
	v_mul_lo_u32 v12, v14, 12
	s_mov_b32 s13, 0
	s_delay_alu instid0(VALU_DEP_1)
	v_add_nc_u32_e32 v15, v11, v12
	ds_load_b64 v[11:12], v15 offset:32768
.LBB252_46:                             ;   Parent Loop BB252_38 Depth=1
                                        ;     Parent Loop BB252_40 Depth=2
                                        ; =>    This Inner Loop Header: Depth=3
	s_waitcnt lgkmcnt(0)
	v_add_f64 v[16:17], v[11:12], v[7:8]
	ds_cmpstore_rtn_b64 v[16:17], v15, v[16:17], v[11:12] offset:32768
	s_waitcnt lgkmcnt(0)
	v_cmp_eq_u64_e32 vcc_lo, v[16:17], v[11:12]
	v_dual_mov_b32 v11, v16 :: v_dual_mov_b32 v12, v17
	s_or_b32 s13, vcc_lo, s13
	s_delay_alu instid0(SALU_CYCLE_1)
	s_and_not1_b32 exec_lo, exec_lo, s13
	s_cbranch_execnz .LBB252_46
; %bb.47:                               ;   in Loop: Header=BB252_40 Depth=2
	s_or_b32 exec_lo, exec_lo, s13
	ds_load_b64 v[11:12], v15 offset:32776
	s_mov_b32 s13, 0
.LBB252_48:                             ;   Parent Loop BB252_38 Depth=1
                                        ;     Parent Loop BB252_40 Depth=2
                                        ; =>    This Inner Loop Header: Depth=3
	s_waitcnt lgkmcnt(0)
	v_add_f64 v[16:17], v[11:12], v[9:10]
	ds_cmpstore_rtn_b64 v[16:17], v15, v[16:17], v[11:12] offset:32776
	s_waitcnt lgkmcnt(0)
	v_cmp_eq_u64_e32 vcc_lo, v[16:17], v[11:12]
	v_dual_mov_b32 v11, v16 :: v_dual_mov_b32 v12, v17
	s_or_b32 s13, vcc_lo, s13
	s_delay_alu instid0(SALU_CYCLE_1)
	s_and_not1_b32 exec_lo, exec_lo, s13
	s_cbranch_execnz .LBB252_48
; %bb.49:                               ;   in Loop: Header=BB252_40 Depth=2
	s_or_b32 exec_lo, exec_lo, s13
	s_delay_alu instid0(SALU_CYCLE_1)
	s_xor_b32 s13, exec_lo, -1
.LBB252_50:                             ;   in Loop: Header=BB252_40 Depth=2
	s_or_b32 exec_lo, exec_lo, s12
	s_delay_alu instid0(SALU_CYCLE_1) | instskip(SKIP_1) | instid1(SALU_CYCLE_1)
	s_and_not1_b32 s10, s10, exec_lo
	s_and_b32 s12, s13, exec_lo
	s_or_b32 s10, s10, s12
.LBB252_51:                             ;   in Loop: Header=BB252_40 Depth=2
	s_or_b32 exec_lo, exec_lo, s11
	s_delay_alu instid0(SALU_CYCLE_1)
	s_and_b32 s10, s10, exec_lo
                                        ; implicit-def: $vgpr11
.LBB252_52:                             ;   in Loop: Header=BB252_40 Depth=2
	s_and_not1_saveexec_b32 s9, s9
	s_cbranch_execz .LBB252_39
; %bb.53:                               ;   in Loop: Header=BB252_40 Depth=2
	v_mul_lo_u32 v12, v14, 12
	s_mov_b32 s11, 0
	s_delay_alu instid0(VALU_DEP_1)
	v_add_nc_u32_e32 v15, v11, v12
	ds_load_b64 v[11:12], v15 offset:32768
.LBB252_54:                             ;   Parent Loop BB252_38 Depth=1
                                        ;     Parent Loop BB252_40 Depth=2
                                        ; =>    This Inner Loop Header: Depth=3
	s_waitcnt lgkmcnt(0)
	v_add_f64 v[16:17], v[11:12], v[7:8]
	ds_cmpstore_rtn_b64 v[16:17], v15, v[16:17], v[11:12] offset:32768
	s_waitcnt lgkmcnt(0)
	v_cmp_eq_u64_e32 vcc_lo, v[16:17], v[11:12]
	v_dual_mov_b32 v11, v16 :: v_dual_mov_b32 v12, v17
	s_or_b32 s11, vcc_lo, s11
	s_delay_alu instid0(SALU_CYCLE_1)
	s_and_not1_b32 exec_lo, exec_lo, s11
	s_cbranch_execnz .LBB252_54
; %bb.55:                               ;   in Loop: Header=BB252_40 Depth=2
	s_or_b32 exec_lo, exec_lo, s11
	ds_load_b64 v[11:12], v15 offset:32776
	s_mov_b32 s11, 0
.LBB252_56:                             ;   Parent Loop BB252_38 Depth=1
                                        ;     Parent Loop BB252_40 Depth=2
                                        ; =>    This Inner Loop Header: Depth=3
	s_waitcnt lgkmcnt(0)
	v_add_f64 v[16:17], v[11:12], v[9:10]
	ds_cmpstore_rtn_b64 v[16:17], v15, v[16:17], v[11:12] offset:32776
	s_waitcnt lgkmcnt(0)
	v_cmp_eq_u64_e32 vcc_lo, v[16:17], v[11:12]
	v_dual_mov_b32 v11, v16 :: v_dual_mov_b32 v12, v17
	s_or_b32 s11, vcc_lo, s11
	s_delay_alu instid0(SALU_CYCLE_1)
	s_and_not1_b32 exec_lo, exec_lo, s11
	s_cbranch_execnz .LBB252_56
; %bb.57:                               ;   in Loop: Header=BB252_40 Depth=2
	s_or_b32 exec_lo, exec_lo, s11
	s_delay_alu instid0(SALU_CYCLE_1)
	s_and_not1_b32 s10, s10, exec_lo
	s_branch .LBB252_39
.LBB252_58:
	s_or_b32 exec_lo, exec_lo, s6
.LBB252_59:
	v_mbcnt_lo_u32_b32 v1, -1, 0
	v_dual_mov_b32 v5, 0 :: v_dual_lshlrev_b32 v2, 2, v27
	s_add_i32 s38, 0, 0x2803c
	v_cmp_eq_u32_e32 vcc_lo, 0x3ff, v0
	s_delay_alu instid0(VALU_DEP_3) | instskip(NEXT) | instid1(VALU_DEP_3)
	v_xor_b32_e32 v1, 63, v1
	v_add3_u32 v3, 0, 0x28000, v2
	v_cmp_lt_u32_e64 s0, 63, v0
	v_cmp_lt_u32_e64 s1, 0x7f, v0
	;; [unrolled: 1-line block ×3, first 2 shown]
	v_lshrrev_b64 v[1:2], v1, -1
	v_cmp_lt_u32_e64 s3, 0xff, v0
	v_cmp_lt_u32_e64 s4, 0x13f, v0
	;; [unrolled: 1-line block ×12, first 2 shown]
	v_add3_u32 v2, v26, 0, 0x8000
	v_or_b32_e32 v4, 0xfffffc00, v0
	v_mov_b32_e32 v6, s38
	s_mov_b32 s19, 0
	s_add_i32 s25, 0, 0x28000
	s_add_i32 s27, 0, 0x28004
	;; [unrolled: 1-line block ×15, first 2 shown]
	s_waitcnt lgkmcnt(0)
	s_barrier
	buffer_gl0_inv
	s_branch .LBB252_61
.LBB252_60:                             ;   in Loop: Header=BB252_61 Depth=1
	s_or_b32 exec_lo, exec_lo, s15
	s_waitcnt lgkmcnt(0)
	s_barrier
	buffer_gl0_inv
	ds_load_b32 v7, v6
	v_add_nc_u32_e32 v4, 0x400, v4
	v_add_nc_u32_e32 v2, 0x4000, v2
	;; [unrolled: 1-line block ×3, first 2 shown]
	s_delay_alu instid0(VALU_DEP_3) | instskip(NEXT) | instid1(VALU_DEP_1)
	v_cmp_lt_u32_e64 s15, 0x1bff, v4
	s_or_b32 s19, s15, s19
	s_waitcnt lgkmcnt(0)
	v_add_nc_u32_e32 v5, v7, v5
	s_and_not1_b32 exec_lo, exec_lo, s19
	s_cbranch_execz .LBB252_95
.LBB252_61:                             ; =>This Inner Loop Header: Depth=1
	ds_load_b32 v7, v25
	ds_load_2addr_b64 v[8:11], v2 offset1:1
	s_waitcnt lgkmcnt(1)
	v_cmp_gt_i32_e64 s15, s26, v7
	s_waitcnt lgkmcnt(0)
	scratch_store_b128 off, v[8:11], off
	s_waitcnt_vscnt null, 0x0
	s_barrier
	buffer_gl0_inv
	s_bcnt1_i32_b32 s43, s15
	s_delay_alu instid0(SALU_CYCLE_1) | instskip(NEXT) | instid1(VALU_DEP_1)
	v_dual_mov_b32 v9, s43 :: v_dual_and_b32 v8, s15, v1
	v_bcnt_u32_b32 v8, v8, 0
	ds_store_b32 v3, v9
	s_waitcnt lgkmcnt(0)
	s_barrier
	buffer_gl0_inv
	s_and_saveexec_b32 s43, s0
	s_cbranch_execnz .LBB252_78
; %bb.62:                               ;   in Loop: Header=BB252_61 Depth=1
	s_or_b32 exec_lo, exec_lo, s43
	s_and_saveexec_b32 s43, s1
	s_cbranch_execnz .LBB252_79
.LBB252_63:                             ;   in Loop: Header=BB252_61 Depth=1
	s_or_b32 exec_lo, exec_lo, s43
	s_and_saveexec_b32 s43, s2
	s_cbranch_execnz .LBB252_80
.LBB252_64:                             ;   in Loop: Header=BB252_61 Depth=1
	s_or_b32 exec_lo, exec_lo, s43
	s_and_saveexec_b32 s43, s3
	s_cbranch_execnz .LBB252_81
.LBB252_65:                             ;   in Loop: Header=BB252_61 Depth=1
	s_or_b32 exec_lo, exec_lo, s43
	s_and_saveexec_b32 s43, s4
	s_cbranch_execnz .LBB252_82
.LBB252_66:                             ;   in Loop: Header=BB252_61 Depth=1
	s_or_b32 exec_lo, exec_lo, s43
	s_and_saveexec_b32 s43, s5
	s_cbranch_execnz .LBB252_83
.LBB252_67:                             ;   in Loop: Header=BB252_61 Depth=1
	s_or_b32 exec_lo, exec_lo, s43
	s_and_saveexec_b32 s43, s6
	s_cbranch_execnz .LBB252_84
.LBB252_68:                             ;   in Loop: Header=BB252_61 Depth=1
	s_or_b32 exec_lo, exec_lo, s43
	s_and_saveexec_b32 s43, s7
	s_cbranch_execnz .LBB252_85
.LBB252_69:                             ;   in Loop: Header=BB252_61 Depth=1
	s_or_b32 exec_lo, exec_lo, s43
	s_and_saveexec_b32 s43, s8
	s_cbranch_execnz .LBB252_86
.LBB252_70:                             ;   in Loop: Header=BB252_61 Depth=1
	s_or_b32 exec_lo, exec_lo, s43
	s_and_saveexec_b32 s43, s9
	s_cbranch_execnz .LBB252_87
.LBB252_71:                             ;   in Loop: Header=BB252_61 Depth=1
	s_or_b32 exec_lo, exec_lo, s43
	s_and_saveexec_b32 s43, s10
	s_cbranch_execnz .LBB252_88
.LBB252_72:                             ;   in Loop: Header=BB252_61 Depth=1
	s_or_b32 exec_lo, exec_lo, s43
	s_and_saveexec_b32 s43, s11
	s_cbranch_execnz .LBB252_89
.LBB252_73:                             ;   in Loop: Header=BB252_61 Depth=1
	s_or_b32 exec_lo, exec_lo, s43
	s_and_saveexec_b32 s43, s12
	s_cbranch_execnz .LBB252_90
.LBB252_74:                             ;   in Loop: Header=BB252_61 Depth=1
	s_or_b32 exec_lo, exec_lo, s43
	s_and_saveexec_b32 s43, s13
	s_cbranch_execnz .LBB252_91
.LBB252_75:                             ;   in Loop: Header=BB252_61 Depth=1
	s_or_b32 exec_lo, exec_lo, s43
	s_and_saveexec_b32 s43, s14
	s_cbranch_execnz .LBB252_92
.LBB252_76:                             ;   in Loop: Header=BB252_61 Depth=1
	s_or_b32 exec_lo, exec_lo, s43
	s_and_saveexec_b32 s43, s15
	s_cbranch_execnz .LBB252_93
.LBB252_77:                             ;   in Loop: Header=BB252_61 Depth=1
	s_or_b32 exec_lo, exec_lo, s43
	s_and_saveexec_b32 s15, vcc_lo
	s_cbranch_execz .LBB252_60
	s_branch .LBB252_94
.LBB252_78:                             ;   in Loop: Header=BB252_61 Depth=1
	v_mov_b32_e32 v9, s25
	ds_load_b32 v9, v9
	s_waitcnt lgkmcnt(0)
	v_add_nc_u32_e32 v8, v9, v8
	s_or_b32 exec_lo, exec_lo, s43
	s_and_saveexec_b32 s43, s1
	s_cbranch_execz .LBB252_63
.LBB252_79:                             ;   in Loop: Header=BB252_61 Depth=1
	v_mov_b32_e32 v9, s27
	ds_load_b32 v9, v9
	s_waitcnt lgkmcnt(0)
	v_add_nc_u32_e32 v8, v9, v8
	s_or_b32 exec_lo, exec_lo, s43
	s_and_saveexec_b32 s43, s2
	s_cbranch_execz .LBB252_64
.LBB252_80:                             ;   in Loop: Header=BB252_61 Depth=1
	v_mov_b32_e32 v9, s28
	ds_load_b32 v9, v9
	s_waitcnt lgkmcnt(0)
	v_add_nc_u32_e32 v8, v9, v8
	s_or_b32 exec_lo, exec_lo, s43
	s_and_saveexec_b32 s43, s3
	s_cbranch_execz .LBB252_65
.LBB252_81:                             ;   in Loop: Header=BB252_61 Depth=1
	v_mov_b32_e32 v9, s29
	ds_load_b32 v9, v9
	s_waitcnt lgkmcnt(0)
	v_add_nc_u32_e32 v8, v9, v8
	s_or_b32 exec_lo, exec_lo, s43
	s_and_saveexec_b32 s43, s4
	s_cbranch_execz .LBB252_66
.LBB252_82:                             ;   in Loop: Header=BB252_61 Depth=1
	v_mov_b32_e32 v9, s30
	ds_load_b32 v9, v9
	s_waitcnt lgkmcnt(0)
	v_add_nc_u32_e32 v8, v9, v8
	s_or_b32 exec_lo, exec_lo, s43
	s_and_saveexec_b32 s43, s5
	s_cbranch_execz .LBB252_67
.LBB252_83:                             ;   in Loop: Header=BB252_61 Depth=1
	v_mov_b32_e32 v9, s31
	ds_load_b32 v9, v9
	s_waitcnt lgkmcnt(0)
	v_add_nc_u32_e32 v8, v9, v8
	s_or_b32 exec_lo, exec_lo, s43
	s_and_saveexec_b32 s43, s6
	s_cbranch_execz .LBB252_68
.LBB252_84:                             ;   in Loop: Header=BB252_61 Depth=1
	v_mov_b32_e32 v9, s33
	ds_load_b32 v9, v9
	s_waitcnt lgkmcnt(0)
	v_add_nc_u32_e32 v8, v9, v8
	s_or_b32 exec_lo, exec_lo, s43
	s_and_saveexec_b32 s43, s7
	s_cbranch_execz .LBB252_69
.LBB252_85:                             ;   in Loop: Header=BB252_61 Depth=1
	v_mov_b32_e32 v9, s34
	ds_load_b32 v9, v9
	s_waitcnt lgkmcnt(0)
	v_add_nc_u32_e32 v8, v9, v8
	s_or_b32 exec_lo, exec_lo, s43
	s_and_saveexec_b32 s43, s8
	s_cbranch_execz .LBB252_70
.LBB252_86:                             ;   in Loop: Header=BB252_61 Depth=1
	v_mov_b32_e32 v9, s35
	ds_load_b32 v9, v9
	s_waitcnt lgkmcnt(0)
	v_add_nc_u32_e32 v8, v9, v8
	s_or_b32 exec_lo, exec_lo, s43
	s_and_saveexec_b32 s43, s9
	s_cbranch_execz .LBB252_71
.LBB252_87:                             ;   in Loop: Header=BB252_61 Depth=1
	v_mov_b32_e32 v9, s36
	ds_load_b32 v9, v9
	s_waitcnt lgkmcnt(0)
	v_add_nc_u32_e32 v8, v9, v8
	s_or_b32 exec_lo, exec_lo, s43
	s_and_saveexec_b32 s43, s10
	s_cbranch_execz .LBB252_72
.LBB252_88:                             ;   in Loop: Header=BB252_61 Depth=1
	v_mov_b32_e32 v9, s37
	ds_load_b32 v9, v9
	s_waitcnt lgkmcnt(0)
	v_add_nc_u32_e32 v8, v9, v8
	s_or_b32 exec_lo, exec_lo, s43
	s_and_saveexec_b32 s43, s11
	s_cbranch_execz .LBB252_73
.LBB252_89:                             ;   in Loop: Header=BB252_61 Depth=1
	v_mov_b32_e32 v9, s39
	ds_load_b32 v9, v9
	s_waitcnt lgkmcnt(0)
	v_add_nc_u32_e32 v8, v9, v8
	s_or_b32 exec_lo, exec_lo, s43
	s_and_saveexec_b32 s43, s12
	s_cbranch_execz .LBB252_74
.LBB252_90:                             ;   in Loop: Header=BB252_61 Depth=1
	v_mov_b32_e32 v9, s40
	ds_load_b32 v9, v9
	s_waitcnt lgkmcnt(0)
	v_add_nc_u32_e32 v8, v9, v8
	s_or_b32 exec_lo, exec_lo, s43
	s_and_saveexec_b32 s43, s13
	s_cbranch_execz .LBB252_75
.LBB252_91:                             ;   in Loop: Header=BB252_61 Depth=1
	v_mov_b32_e32 v9, s41
	ds_load_b32 v9, v9
	s_waitcnt lgkmcnt(0)
	v_add_nc_u32_e32 v8, v9, v8
	s_or_b32 exec_lo, exec_lo, s43
	s_and_saveexec_b32 s43, s14
	s_cbranch_execz .LBB252_76
.LBB252_92:                             ;   in Loop: Header=BB252_61 Depth=1
	v_mov_b32_e32 v9, s42
	ds_load_b32 v9, v9
	s_waitcnt lgkmcnt(0)
	v_add_nc_u32_e32 v8, v9, v8
	s_or_b32 exec_lo, exec_lo, s43
	s_and_saveexec_b32 s43, s15
	s_cbranch_execz .LBB252_77
.LBB252_93:                             ;   in Loop: Header=BB252_61 Depth=1
	scratch_load_b128 v[9:12], off, off
	v_add3_u32 v13, v5, -1, v8
	s_delay_alu instid0(VALU_DEP_1) | instskip(SKIP_1) | instid1(VALU_DEP_2)
	v_lshlrev_b32_e32 v14, 4, v13
	v_lshl_add_u32 v13, v13, 2, 0
	v_add3_u32 v14, 0, v14, 0x8000
	ds_store_b32 v13, v7
	s_waitcnt vmcnt(0)
	ds_store_2addr_b64 v14, v[9:10], v[11:12] offset1:1
	s_or_b32 exec_lo, exec_lo, s43
	s_and_saveexec_b32 s15, vcc_lo
	s_cbranch_execz .LBB252_60
.LBB252_94:                             ;   in Loop: Header=BB252_61 Depth=1
	v_mov_b32_e32 v7, s38
	ds_store_b32 v7, v8
	s_branch .LBB252_60
.LBB252_95:
	s_or_b32 exec_lo, exec_lo, s19
	s_ashr_i32 s25, s24, 31
	s_mov_b32 s4, exec_lo
	s_lshl_b64 s[0:1], s[24:25], 3
	s_delay_alu instid0(SALU_CYCLE_1) | instskip(SKIP_4) | instid1(SALU_CYCLE_1)
	s_add_u32 s0, s20, s0
	s_addc_u32 s1, s21, s1
	s_load_b128 s[0:3], s[0:1], 0x0
	s_waitcnt lgkmcnt(0)
	s_sub_i32 s3, s2, s0
	v_cmpx_gt_i32_e64 s3, v0
	s_cbranch_execz .LBB252_105
; %bb.96:
	s_sub_u32 s4, s0, s18
	s_subb_u32 s5, s1, 0
	s_sub_i32 s0, s0, s2
	s_and_b32 s1, s3, 7
	s_cmp_lt_u32 s0, -7
	s_mov_b32 s8, 0
	s_cselect_b32 s2, -1, 0
	s_and_b32 s6, s3, -8
	s_cmp_lg_u32 s1, 0
	s_cselect_b32 s7, -1, 0
	s_branch .LBB252_98
.LBB252_97:                             ;   in Loop: Header=BB252_98 Depth=1
	v_mul_lo_u32 v5, v0, 12
	s_delay_alu instid0(VALU_DEP_2) | instskip(SKIP_4) | instid1(VALU_DEP_4)
	v_lshlrev_b64 v[8:9], 2, v[1:2]
	v_lshlrev_b64 v[1:2], 4, v[1:2]
	v_add_nc_u32_e32 v0, 0x400, v0
	s_waitcnt lgkmcnt(0)
	v_add_nc_u32_e32 v3, s18, v3
	v_add_co_u32 v8, vcc_lo, s22, v8
	v_add3_u32 v4, v4, v5, 0x8000
	v_add_co_ci_u32_e32 v9, vcc_lo, s23, v9, vcc_lo
	v_cmp_le_i32_e32 vcc_lo, s3, v0
	v_add_co_u32 v1, s0, s16, v1
	ds_load_2addr_b64 v[4:7], v4 offset1:1
	v_add_co_ci_u32_e64 v2, s0, s17, v2, s0
	s_or_b32 s8, vcc_lo, s8
	global_store_b32 v[8:9], v3, off
	s_waitcnt lgkmcnt(0)
	global_store_b128 v[1:2], v[4:7], off
	s_and_not1_b32 exec_lo, exec_lo, s8
	s_cbranch_execz .LBB252_105
.LBB252_98:                             ; =>This Loop Header: Depth=1
                                        ;     Child Loop BB252_100 Depth 2
                                        ;     Child Loop BB252_104 Depth 2
	v_lshl_add_u32 v4, v0, 2, 0
	v_dual_mov_b32 v1, s4 :: v_dual_mov_b32 v2, s5
	s_and_not1_b32 vcc_lo, exec_lo, s2
	s_mov_b32 s0, 0
	ds_load_b32 v3, v4
	s_cbranch_vccnz .LBB252_102
; %bb.99:                               ;   in Loop: Header=BB252_98 Depth=1
	v_dual_mov_b32 v1, s4 :: v_dual_mov_b32 v2, s5
	s_mov_b32 s9, 0
	s_mov_b32 s10, 0
.LBB252_100:                            ;   Parent Loop BB252_98 Depth=1
                                        ; =>  This Inner Loop Header: Depth=2
	s_delay_alu instid0(SALU_CYCLE_1)
	v_mov_b32_e32 v11, s10
	s_add_i32 s9, s9, 8
	s_add_i32 s10, s10, 32
	s_cmp_eq_u32 s6, s9
	ds_load_2addr_b32 v[5:6], v11 offset1:1
	ds_load_2addr_b32 v[7:8], v11 offset0:2 offset1:3
	ds_load_2addr_b32 v[9:10], v11 offset0:4 offset1:5
	ds_load_2addr_b32 v[11:12], v11 offset0:6 offset1:7
	s_waitcnt lgkmcnt(3)
	v_cmp_gt_i32_e32 vcc_lo, v3, v5
	v_cndmask_b32_e64 v5, 0, 1, vcc_lo
	v_cmp_gt_i32_e32 vcc_lo, v3, v6
	v_cndmask_b32_e64 v6, 0, 1, vcc_lo
	s_waitcnt lgkmcnt(2)
	v_cmp_gt_i32_e32 vcc_lo, v3, v7
	v_cndmask_b32_e64 v7, 0, 1, vcc_lo
	v_cmp_gt_i32_e32 vcc_lo, v3, v8
	v_cndmask_b32_e64 v8, 0, 1, vcc_lo
	s_waitcnt lgkmcnt(1)
	v_cmp_gt_i32_e32 vcc_lo, v3, v9
	v_cndmask_b32_e64 v9, 0, 1, vcc_lo
	v_add_co_u32 v1, vcc_lo, v1, v5
	v_add_co_ci_u32_e32 v2, vcc_lo, 0, v2, vcc_lo
	v_cmp_gt_i32_e32 vcc_lo, v3, v10
	s_delay_alu instid0(VALU_DEP_3) | instskip(NEXT) | instid1(VALU_DEP_1)
	v_add_co_u32 v1, s0, v1, v6
	v_add_co_ci_u32_e64 v2, s0, 0, v2, s0
	v_cndmask_b32_e64 v5, 0, 1, vcc_lo
	s_delay_alu instid0(VALU_DEP_3) | instskip(NEXT) | instid1(VALU_DEP_3)
	v_add_co_u32 v1, vcc_lo, v1, v7
	v_add_co_ci_u32_e32 v2, vcc_lo, 0, v2, vcc_lo
	s_waitcnt lgkmcnt(0)
	v_cmp_gt_i32_e32 vcc_lo, v3, v11
	s_delay_alu instid0(VALU_DEP_3) | instskip(NEXT) | instid1(VALU_DEP_1)
	v_add_co_u32 v1, s0, v1, v8
	v_add_co_ci_u32_e64 v2, s0, 0, v2, s0
	v_cndmask_b32_e64 v6, 0, 1, vcc_lo
	s_delay_alu instid0(VALU_DEP_3) | instskip(NEXT) | instid1(VALU_DEP_3)
	v_add_co_u32 v1, vcc_lo, v1, v9
	v_add_co_ci_u32_e32 v2, vcc_lo, 0, v2, vcc_lo
	v_cmp_gt_i32_e32 vcc_lo, v3, v12
	s_delay_alu instid0(VALU_DEP_3) | instskip(NEXT) | instid1(VALU_DEP_1)
	v_add_co_u32 v1, s0, v1, v5
	v_add_co_ci_u32_e64 v2, s0, 0, v2, s0
	v_cndmask_b32_e64 v5, 0, 1, vcc_lo
	s_delay_alu instid0(VALU_DEP_3) | instskip(NEXT) | instid1(VALU_DEP_3)
	v_add_co_u32 v1, vcc_lo, v1, v6
	v_add_co_ci_u32_e32 v2, vcc_lo, 0, v2, vcc_lo
	s_delay_alu instid0(VALU_DEP_2) | instskip(NEXT) | instid1(VALU_DEP_2)
	v_add_co_u32 v1, vcc_lo, v1, v5
	v_add_co_ci_u32_e32 v2, vcc_lo, 0, v2, vcc_lo
	s_cbranch_scc0 .LBB252_100
; %bb.101:                              ;   in Loop: Header=BB252_98 Depth=1
	s_mov_b32 s0, s6
.LBB252_102:                            ;   in Loop: Header=BB252_98 Depth=1
	s_and_not1_b32 vcc_lo, exec_lo, s7
	s_cbranch_vccnz .LBB252_97
; %bb.103:                              ;   in Loop: Header=BB252_98 Depth=1
	s_lshl_b32 s0, s0, 2
	s_mov_b32 s9, s1
	s_add_i32 s0, s0, 0
.LBB252_104:                            ;   Parent Loop BB252_98 Depth=1
                                        ; =>  This Inner Loop Header: Depth=2
	s_delay_alu instid0(SALU_CYCLE_1)
	v_mov_b32_e32 v5, s0
	s_add_i32 s9, s9, -1
	s_add_i32 s0, s0, 4
	s_cmp_lg_u32 s9, 0
	ds_load_b32 v5, v5
	s_waitcnt lgkmcnt(0)
	v_cmp_gt_i32_e32 vcc_lo, v3, v5
	v_cndmask_b32_e64 v5, 0, 1, vcc_lo
	s_delay_alu instid0(VALU_DEP_1)
	v_add_co_u32 v1, vcc_lo, v1, v5
	v_add_co_ci_u32_e32 v2, vcc_lo, 0, v2, vcc_lo
	s_cbranch_scc1 .LBB252_104
	s_branch .LBB252_97
.LBB252_105:
	s_nop 0
	s_sendmsg sendmsg(MSG_DEALLOC_VGPRS)
	s_endpgm
	.section	.rodata,"a",@progbits
	.p2align	6, 0x0
	.amdhsa_kernel _ZN9rocsparseL26csrgemm_fill_block_per_rowILj1024ELj64ELj8192ELj137ELj64Eli21rocsparse_complex_numIdEEEvT5_PKS3_S5_NS_24const_host_device_scalarIT6_EEPKT4_S5_PKS7_SB_S5_SD_S8_SB_S5_SD_SB_PS3_PS7_21rocsparse_index_base_SG_SG_SG_bbb
		.amdhsa_group_segment_fixed_size 0
		.amdhsa_private_segment_fixed_size 40
		.amdhsa_kernarg_size 172
		.amdhsa_user_sgpr_count 15
		.amdhsa_user_sgpr_dispatch_ptr 0
		.amdhsa_user_sgpr_queue_ptr 0
		.amdhsa_user_sgpr_kernarg_segment_ptr 1
		.amdhsa_user_sgpr_dispatch_id 0
		.amdhsa_user_sgpr_private_segment_size 0
		.amdhsa_wavefront_size32 1
		.amdhsa_uses_dynamic_stack 0
		.amdhsa_enable_private_segment 1
		.amdhsa_system_sgpr_workgroup_id_x 1
		.amdhsa_system_sgpr_workgroup_id_y 0
		.amdhsa_system_sgpr_workgroup_id_z 0
		.amdhsa_system_sgpr_workgroup_info 0
		.amdhsa_system_vgpr_workitem_id 0
		.amdhsa_next_free_vgpr 35
		.amdhsa_next_free_sgpr 44
		.amdhsa_reserve_vcc 1
		.amdhsa_float_round_mode_32 0
		.amdhsa_float_round_mode_16_64 0
		.amdhsa_float_denorm_mode_32 3
		.amdhsa_float_denorm_mode_16_64 3
		.amdhsa_dx10_clamp 1
		.amdhsa_ieee_mode 1
		.amdhsa_fp16_overflow 0
		.amdhsa_workgroup_processor_mode 1
		.amdhsa_memory_ordered 1
		.amdhsa_forward_progress 0
		.amdhsa_shared_vgpr_count 0
		.amdhsa_exception_fp_ieee_invalid_op 0
		.amdhsa_exception_fp_denorm_src 0
		.amdhsa_exception_fp_ieee_div_zero 0
		.amdhsa_exception_fp_ieee_overflow 0
		.amdhsa_exception_fp_ieee_underflow 0
		.amdhsa_exception_fp_ieee_inexact 0
		.amdhsa_exception_int_div_zero 0
	.end_amdhsa_kernel
	.section	.text._ZN9rocsparseL26csrgemm_fill_block_per_rowILj1024ELj64ELj8192ELj137ELj64Eli21rocsparse_complex_numIdEEEvT5_PKS3_S5_NS_24const_host_device_scalarIT6_EEPKT4_S5_PKS7_SB_S5_SD_S8_SB_S5_SD_SB_PS3_PS7_21rocsparse_index_base_SG_SG_SG_bbb,"axG",@progbits,_ZN9rocsparseL26csrgemm_fill_block_per_rowILj1024ELj64ELj8192ELj137ELj64Eli21rocsparse_complex_numIdEEEvT5_PKS3_S5_NS_24const_host_device_scalarIT6_EEPKT4_S5_PKS7_SB_S5_SD_S8_SB_S5_SD_SB_PS3_PS7_21rocsparse_index_base_SG_SG_SG_bbb,comdat
.Lfunc_end252:
	.size	_ZN9rocsparseL26csrgemm_fill_block_per_rowILj1024ELj64ELj8192ELj137ELj64Eli21rocsparse_complex_numIdEEEvT5_PKS3_S5_NS_24const_host_device_scalarIT6_EEPKT4_S5_PKS7_SB_S5_SD_S8_SB_S5_SD_SB_PS3_PS7_21rocsparse_index_base_SG_SG_SG_bbb, .Lfunc_end252-_ZN9rocsparseL26csrgemm_fill_block_per_rowILj1024ELj64ELj8192ELj137ELj64Eli21rocsparse_complex_numIdEEEvT5_PKS3_S5_NS_24const_host_device_scalarIT6_EEPKT4_S5_PKS7_SB_S5_SD_S8_SB_S5_SD_SB_PS3_PS7_21rocsparse_index_base_SG_SG_SG_bbb
                                        ; -- End function
	.section	.AMDGPU.csdata,"",@progbits
; Kernel info:
; codeLenInByte = 4716
; NumSgprs: 46
; NumVgprs: 35
; ScratchSize: 40
; MemoryBound: 0
; FloatMode: 240
; IeeeMode: 1
; LDSByteSize: 0 bytes/workgroup (compile time only)
; SGPRBlocks: 5
; VGPRBlocks: 4
; NumSGPRsForWavesPerEU: 46
; NumVGPRsForWavesPerEU: 35
; Occupancy: 16
; WaveLimiterHint : 1
; COMPUTE_PGM_RSRC2:SCRATCH_EN: 1
; COMPUTE_PGM_RSRC2:USER_SGPR: 15
; COMPUTE_PGM_RSRC2:TRAP_HANDLER: 0
; COMPUTE_PGM_RSRC2:TGID_X_EN: 1
; COMPUTE_PGM_RSRC2:TGID_Y_EN: 0
; COMPUTE_PGM_RSRC2:TGID_Z_EN: 0
; COMPUTE_PGM_RSRC2:TIDIG_COMP_CNT: 0
	.section	.text._ZN9rocsparseL26csrgemm_fill_block_per_rowILj1024ELj64ELj16384ELj137ELj32Eli21rocsparse_complex_numIdEEEvT5_PKS3_S5_NS_24const_host_device_scalarIT6_EEPKT4_S5_PKS7_SB_S5_SD_S8_SB_S5_SD_SB_PS3_PS7_21rocsparse_index_base_SG_SG_SG_bbb,"axG",@progbits,_ZN9rocsparseL26csrgemm_fill_block_per_rowILj1024ELj64ELj16384ELj137ELj32Eli21rocsparse_complex_numIdEEEvT5_PKS3_S5_NS_24const_host_device_scalarIT6_EEPKT4_S5_PKS7_SB_S5_SD_S8_SB_S5_SD_SB_PS3_PS7_21rocsparse_index_base_SG_SG_SG_bbb,comdat
	.globl	_ZN9rocsparseL26csrgemm_fill_block_per_rowILj1024ELj64ELj16384ELj137ELj32Eli21rocsparse_complex_numIdEEEvT5_PKS3_S5_NS_24const_host_device_scalarIT6_EEPKT4_S5_PKS7_SB_S5_SD_S8_SB_S5_SD_SB_PS3_PS7_21rocsparse_index_base_SG_SG_SG_bbb ; -- Begin function _ZN9rocsparseL26csrgemm_fill_block_per_rowILj1024ELj64ELj16384ELj137ELj32Eli21rocsparse_complex_numIdEEEvT5_PKS3_S5_NS_24const_host_device_scalarIT6_EEPKT4_S5_PKS7_SB_S5_SD_S8_SB_S5_SD_SB_PS3_PS7_21rocsparse_index_base_SG_SG_SG_bbb
	.p2align	8
	.type	_ZN9rocsparseL26csrgemm_fill_block_per_rowILj1024ELj64ELj16384ELj137ELj32Eli21rocsparse_complex_numIdEEEvT5_PKS3_S5_NS_24const_host_device_scalarIT6_EEPKT4_S5_PKS7_SB_S5_SD_S8_SB_S5_SD_SB_PS3_PS7_21rocsparse_index_base_SG_SG_SG_bbb,@function
_ZN9rocsparseL26csrgemm_fill_block_per_rowILj1024ELj64ELj16384ELj137ELj32Eli21rocsparse_complex_numIdEEEvT5_PKS3_S5_NS_24const_host_device_scalarIT6_EEPKT4_S5_PKS7_SB_S5_SD_S8_SB_S5_SD_SB_PS3_PS7_21rocsparse_index_base_SG_SG_SG_bbb: ; @_ZN9rocsparseL26csrgemm_fill_block_per_rowILj1024ELj64ELj16384ELj137ELj32Eli21rocsparse_complex_numIdEEEvT5_PKS3_S5_NS_24const_host_device_scalarIT6_EEPKT4_S5_PKS7_SB_S5_SD_S8_SB_S5_SD_SB_PS3_PS7_21rocsparse_index_base_SG_SG_SG_bbb
; %bb.0:
	s_clause 0x3
	s_load_b32 s14, s[0:1], 0xa8
	s_load_b128 s[4:7], s[0:1], 0x18
	s_load_b128 s[20:23], s[0:1], 0x58
	;; [unrolled: 1-line block ×3, first 2 shown]
	v_mov_b32_e32 v1, 0
	v_mov_b32_e32 v2, 0
	s_waitcnt lgkmcnt(0)
	s_bitcmp1_b32 s14, 0
	v_mov_b32_e32 v3, s4
	s_cselect_b32 s12, -1, 0
	s_bitcmp1_b32 s14, 16
	v_dual_mov_b32 v6, v2 :: v_dual_mov_b32 v5, v1
	s_cselect_b32 s2, -1, 0
	v_mov_b32_e32 v4, s5
	s_xor_b32 s13, s2, -1
	v_dual_mov_b32 v9, s20 :: v_dual_mov_b32 v10, s21
	v_cndmask_b32_e64 v7, 0, 1, s13
	s_bitcmp0_b32 s14, 0
	s_clause 0x1
	scratch_store_b64 off, v[3:4], off offset:16
	scratch_store_b64 off, v[9:10], off offset:24
	v_cmp_ne_u32_e32 vcc_lo, 1, v7
	v_dual_mov_b32 v8, v2 :: v_dual_mov_b32 v7, v1
	s_cbranch_scc1 .LBB253_3
; %bb.1:
	s_mov_b64 s[8:9], src_private_base
	s_and_b32 s3, s2, exec_lo
	s_cselect_b32 s3, s9, s5
	s_delay_alu instid0(SALU_CYCLE_1) | instskip(SKIP_2) | instid1(VALU_DEP_2)
	v_dual_mov_b32 v3, 16 :: v_dual_mov_b32 v4, s3
	v_dual_mov_b32 v8, s7 :: v_dual_mov_b32 v7, s6
	s_and_b32 vcc_lo, exec_lo, vcc_lo
	v_cndmask_b32_e64 v3, s4, v3, s2
	flat_load_b64 v[5:6], v[3:4]
	s_cbranch_vccnz .LBB253_3
; %bb.2:
	v_dual_mov_b32 v3, s4 :: v_dual_mov_b32 v4, s5
	flat_load_b64 v[7:8], v[3:4] offset:8
.LBB253_3:
	s_clause 0x4
	s_load_b128 s[48:51], s[0:1], 0x88
	s_load_b256 s[36:43], s[0:1], 0x68
	s_load_b128 s[16:19], s[0:1], 0x48
	s_load_b128 s[24:27], s[0:1], 0x8
	s_load_b256 s[4:11], s[0:1], 0x28
	s_bitcmp1_b32 s14, 8
	v_dual_mov_b32 v4, v2 :: v_dual_mov_b32 v3, v1
	s_cselect_b32 s3, -1, 0
	s_bfe_u32 s14, s14, 0x10008
	s_delay_alu instid0(SALU_CYCLE_1)
	s_cmp_eq_u32 s14, 0
	s_cbranch_scc1 .LBB253_6
; %bb.4:
	s_mov_b64 s[28:29], src_private_base
	s_and_b32 s14, s2, exec_lo
	s_cselect_b32 s14, s29, s21
	s_delay_alu instid0(SALU_CYCLE_1) | instskip(SKIP_1) | instid1(VALU_DEP_1)
	v_dual_mov_b32 v1, 24 :: v_dual_mov_b32 v2, s14
	s_and_not1_b32 vcc_lo, exec_lo, s13
	v_cndmask_b32_e64 v1, s20, v1, s2
	flat_load_b64 v[3:4], v[1:2]
	v_dual_mov_b32 v1, s22 :: v_dual_mov_b32 v2, s23
	s_cbranch_vccnz .LBB253_6
; %bb.5:
	v_dual_mov_b32 v1, s20 :: v_dual_mov_b32 v2, s21
	flat_load_b64 v[1:2], v[1:2] offset:8
.LBB253_6:
	s_load_b32 s33, s[0:1], 0x0
	s_mov_b32 s0, 0
	v_or_b32_e32 v25, 0xfffffc00, v0
	v_lshl_add_u32 v26, v0, 2, 0
	s_mov_b32 s1, s0
	s_delay_alu instid0(SALU_CYCLE_1)
	v_dual_mov_b32 v10, s1 :: v_dual_lshlrev_b32 v27, 4, v0
	s_mov_b32 s20, s0
	s_mov_b32 s21, s0
	v_dual_mov_b32 v11, s20 :: v_dual_mov_b32 v14, v26
	v_dual_mov_b32 v9, s0 :: v_dual_mov_b32 v12, s21
	v_add3_u32 v13, v27, 0, 0x10008
	s_waitcnt lgkmcnt(0)
	v_dual_mov_b32 v16, v25 :: v_dual_mov_b32 v15, s33
.LBB253_7:                              ; =>This Inner Loop Header: Depth=1
	s_delay_alu instid0(VALU_DEP_1)
	v_add_nc_u32_e32 v16, 0x400, v16
	ds_store_b32 v14, v15
	v_add_nc_u32_e32 v17, -8, v13
	v_add_nc_u32_e32 v13, 0x4000, v13
	v_add_nc_u32_e32 v14, 0x1000, v14
	v_cmp_lt_u32_e32 vcc_lo, 0x3bff, v16
	ds_store_2addr_b64 v17, v[9:10], v[11:12] offset1:1
	s_or_b32 s0, vcc_lo, s0
	s_delay_alu instid0(SALU_CYCLE_1)
	s_and_not1_b32 exec_lo, exec_lo, s0
	s_cbranch_execnz .LBB253_7
; %bb.8:
	s_or_b32 exec_lo, exec_lo, s0
	s_waitcnt vmcnt(0) lgkmcnt(0)
	s_waitcnt_vscnt null, 0x0
	s_barrier
	buffer_gl0_inv
	s_load_b32 s0, s[24:25], 0x0
	s_mov_b32 s1, 0
	s_waitcnt lgkmcnt(0)
	s_add_i32 s0, s0, s15
	s_delay_alu instid0(SALU_CYCLE_1) | instskip(NEXT) | instid1(SALU_CYCLE_1)
	s_lshl_b64 s[0:1], s[0:1], 2
	s_add_u32 s0, s26, s0
	s_addc_u32 s1, s27, s1
	s_and_b32 vcc_lo, exec_lo, s12
	s_load_b32 s34, s[0:1], 0x0
	s_cbranch_vccz .LBB253_36
; %bb.9:
	s_waitcnt lgkmcnt(0)
	s_ashr_i32 s35, s34, 31
	v_lshrrev_b32_e32 v9, 6, v0
	s_lshl_b64 s[0:1], s[34:35], 3
	s_mov_b32 s2, exec_lo
	s_add_u32 s0, s4, s0
	s_addc_u32 s1, s5, s1
	s_load_b128 s[12:15], s[0:1], 0x0
	v_sub_co_u32 v9, s0, v9, s44
	s_delay_alu instid0(VALU_DEP_1) | instskip(SKIP_1) | instid1(VALU_DEP_2)
	v_sub_co_ci_u32_e64 v10, null, 0, 0, s0
	s_waitcnt lgkmcnt(0)
	v_add_co_u32 v9, vcc_lo, s12, v9
	s_delay_alu instid0(VALU_DEP_2)
	v_add_co_ci_u32_e32 v10, vcc_lo, s13, v10, vcc_lo
	s_sub_u32 s0, s14, s44
	s_subb_u32 s1, s15, 0
	s_delay_alu instid0(VALU_DEP_1) | instid1(SALU_CYCLE_1)
	v_cmpx_gt_i64_e64 s[0:1], v[9:10]
	s_cbranch_execz .LBB253_35
; %bb.10:
	v_and_b32_e32 v11, 63, v0
	s_mov_b32 s5, s45
	s_delay_alu instid0(VALU_DEP_1) | instskip(NEXT) | instid1(VALU_DEP_1)
	v_sub_co_u32 v28, s4, v11, s45
	v_sub_co_ci_u32_e64 v29, null, 0, 0, s4
	s_mov_b32 s4, 0
	s_branch .LBB253_12
.LBB253_11:                             ;   in Loop: Header=BB253_12 Depth=1
	s_or_b32 exec_lo, exec_lo, s12
	v_add_co_u32 v9, vcc_lo, v9, 16
	v_add_co_ci_u32_e32 v10, vcc_lo, 0, v10, vcc_lo
	s_delay_alu instid0(VALU_DEP_1) | instskip(SKIP_1) | instid1(SALU_CYCLE_1)
	v_cmp_le_i64_e32 vcc_lo, s[0:1], v[9:10]
	s_or_b32 s4, vcc_lo, s4
	s_and_not1_b32 exec_lo, exec_lo, s4
	s_cbranch_execz .LBB253_35
.LBB253_12:                             ; =>This Loop Header: Depth=1
                                        ;     Child Loop BB253_15 Depth 2
                                        ;       Child Loop BB253_17 Depth 3
                                        ;         Child Loop BB253_23 Depth 4
                                        ;         Child Loop BB253_25 Depth 4
                                        ;         Child Loop BB253_31 Depth 4
                                        ;         Child Loop BB253_33 Depth 4
	v_lshlrev_b64 v[11:12], 2, v[9:10]
	s_mov_b32 s12, exec_lo
	s_delay_alu instid0(VALU_DEP_1) | instskip(NEXT) | instid1(VALU_DEP_2)
	v_add_co_u32 v11, vcc_lo, s6, v11
	v_add_co_ci_u32_e32 v12, vcc_lo, s7, v12, vcc_lo
	global_load_b32 v11, v[11:12], off
	s_waitcnt vmcnt(0)
	v_subrev_nc_u32_e32 v11, s44, v11
	s_delay_alu instid0(VALU_DEP_1) | instskip(NEXT) | instid1(VALU_DEP_1)
	v_ashrrev_i32_e32 v12, 31, v11
	v_lshlrev_b64 v[11:12], 3, v[11:12]
	s_delay_alu instid0(VALU_DEP_1) | instskip(NEXT) | instid1(VALU_DEP_2)
	v_add_co_u32 v11, vcc_lo, s10, v11
	v_add_co_ci_u32_e32 v12, vcc_lo, s11, v12, vcc_lo
	global_load_b128 v[13:16], v[11:12], off
	s_waitcnt vmcnt(0)
	v_sub_co_u32 v11, vcc_lo, v15, s5
	v_subrev_co_ci_u32_e32 v12, vcc_lo, 0, v16, vcc_lo
	v_add_co_u32 v13, vcc_lo, v13, v28
	v_add_co_ci_u32_e32 v14, vcc_lo, v14, v29, vcc_lo
	s_delay_alu instid0(VALU_DEP_1)
	v_cmpx_lt_i64_e64 v[13:14], v[11:12]
	s_cbranch_execz .LBB253_11
; %bb.13:                               ;   in Loop: Header=BB253_12 Depth=1
	v_lshlrev_b64 v[15:16], 4, v[9:10]
	s_mov_b32 s13, 0
	s_delay_alu instid0(VALU_DEP_1) | instskip(NEXT) | instid1(VALU_DEP_2)
	v_add_co_u32 v15, vcc_lo, s8, v15
	v_add_co_ci_u32_e32 v16, vcc_lo, s9, v16, vcc_lo
	global_load_b128 v[17:20], v[15:16], off
	s_waitcnt vmcnt(0)
	v_mul_f64 v[15:16], v[19:20], -v[7:8]
	v_mul_f64 v[19:20], v[5:6], v[19:20]
	s_delay_alu instid0(VALU_DEP_2) | instskip(NEXT) | instid1(VALU_DEP_2)
	v_fma_f64 v[15:16], v[5:6], v[17:18], v[15:16]
	v_fma_f64 v[17:18], v[7:8], v[17:18], v[19:20]
	s_branch .LBB253_15
.LBB253_14:                             ;   in Loop: Header=BB253_15 Depth=2
	s_or_b32 exec_lo, exec_lo, s14
	v_add_co_u32 v13, vcc_lo, v13, 64
	v_add_co_ci_u32_e32 v14, vcc_lo, 0, v14, vcc_lo
	s_delay_alu instid0(VALU_DEP_1) | instskip(SKIP_1) | instid1(SALU_CYCLE_1)
	v_cmp_ge_i64_e32 vcc_lo, v[13:14], v[11:12]
	s_or_b32 s13, vcc_lo, s13
	s_and_not1_b32 exec_lo, exec_lo, s13
	s_cbranch_execz .LBB253_11
.LBB253_15:                             ;   Parent Loop BB253_12 Depth=1
                                        ; =>  This Loop Header: Depth=2
                                        ;       Child Loop BB253_17 Depth 3
                                        ;         Child Loop BB253_23 Depth 4
                                        ;         Child Loop BB253_25 Depth 4
	;; [unrolled: 1-line block ×4, first 2 shown]
	v_lshlrev_b64 v[19:20], 4, v[13:14]
	s_mov_b32 s14, 0
	s_delay_alu instid0(VALU_DEP_1) | instskip(NEXT) | instid1(VALU_DEP_2)
	v_add_co_u32 v19, vcc_lo, s18, v19
	v_add_co_ci_u32_e32 v20, vcc_lo, s19, v20, vcc_lo
	global_load_b128 v[21:24], v[19:20], off
	v_lshlrev_b64 v[19:20], 2, v[13:14]
	s_delay_alu instid0(VALU_DEP_1) | instskip(NEXT) | instid1(VALU_DEP_2)
	v_add_co_u32 v19, vcc_lo, s16, v19
	v_add_co_ci_u32_e32 v20, vcc_lo, s17, v20, vcc_lo
	global_load_b32 v30, v[19:20], off
	s_waitcnt vmcnt(1)
	v_mul_f64 v[19:20], v[23:24], -v[17:18]
	v_mul_f64 v[23:24], v[15:16], v[23:24]
	s_waitcnt vmcnt(0)
	v_subrev_nc_u32_e32 v30, s45, v30
	s_delay_alu instid0(VALU_DEP_3) | instskip(NEXT) | instid1(VALU_DEP_3)
	v_fma_f64 v[19:20], v[15:16], v[21:22], v[19:20]
	v_fma_f64 v[21:22], v[17:18], v[21:22], v[23:24]
	s_delay_alu instid0(VALU_DEP_3) | instskip(NEXT) | instid1(VALU_DEP_1)
	v_mul_lo_u32 v23, 0x89, v30
	v_and_b32_e32 v31, 0x3fff, v23
	s_branch .LBB253_17
.LBB253_16:                             ;   in Loop: Header=BB253_17 Depth=3
	s_or_b32 exec_lo, exec_lo, s15
	s_xor_b32 s15, s20, -1
	s_delay_alu instid0(SALU_CYCLE_1) | instskip(NEXT) | instid1(SALU_CYCLE_1)
	s_and_b32 s15, exec_lo, s15
	s_or_b32 s14, s15, s14
	s_delay_alu instid0(SALU_CYCLE_1)
	s_and_not1_b32 exec_lo, exec_lo, s14
	s_cbranch_execz .LBB253_14
.LBB253_17:                             ;   Parent Loop BB253_12 Depth=1
                                        ;     Parent Loop BB253_15 Depth=2
                                        ; =>    This Loop Header: Depth=3
                                        ;         Child Loop BB253_23 Depth 4
                                        ;         Child Loop BB253_25 Depth 4
	;; [unrolled: 1-line block ×4, first 2 shown]
	s_delay_alu instid0(VALU_DEP_1)
	v_lshl_add_u32 v23, v31, 2, 0
	s_mov_b32 s15, exec_lo
                                        ; implicit-def: $sgpr20
	ds_load_b32 v24, v23
	s_waitcnt lgkmcnt(0)
	v_cmpx_ne_u32_e64 v24, v30
	s_xor_b32 s15, exec_lo, s15
	s_cbranch_execz .LBB253_29
; %bb.18:                               ;   in Loop: Header=BB253_17 Depth=3
	s_mov_b32 s21, exec_lo
                                        ; implicit-def: $sgpr20
	v_cmpx_ne_u32_e64 s33, v24
	s_xor_b32 s21, exec_lo, s21
; %bb.19:                               ;   in Loop: Header=BB253_17 Depth=3
	v_add_nc_u32_e32 v23, 1, v31
	s_mov_b32 s20, -1
	s_delay_alu instid0(VALU_DEP_1)
	v_and_b32_e32 v31, 0x3fff, v23
                                        ; implicit-def: $vgpr23
; %bb.20:                               ;   in Loop: Header=BB253_17 Depth=3
	s_and_not1_saveexec_b32 s21, s21
	s_cbranch_execz .LBB253_28
; %bb.21:                               ;   in Loop: Header=BB253_17 Depth=3
	v_mov_b32_e32 v24, s33
	s_mov_b32 s23, -1
	s_mov_b32 s22, exec_lo
	ds_cmpstore_rtn_b32 v23, v23, v30, v24
	s_waitcnt lgkmcnt(0)
	v_cmpx_eq_u32_e64 s33, v23
	s_cbranch_execz .LBB253_27
; %bb.22:                               ;   in Loop: Header=BB253_17 Depth=3
	v_lshlrev_b32_e32 v23, 4, v31
	s_mov_b32 s23, 0
	s_delay_alu instid0(VALU_DEP_1)
	v_add3_u32 v32, 0, v23, 0x10000
	ds_load_b64 v[23:24], v32
.LBB253_23:                             ;   Parent Loop BB253_12 Depth=1
                                        ;     Parent Loop BB253_15 Depth=2
                                        ;       Parent Loop BB253_17 Depth=3
                                        ; =>      This Inner Loop Header: Depth=4
	s_waitcnt lgkmcnt(0)
	v_add_f64 v[33:34], v[23:24], v[19:20]
	ds_cmpstore_rtn_b64 v[33:34], v32, v[33:34], v[23:24]
	s_waitcnt lgkmcnt(0)
	v_cmp_eq_u64_e32 vcc_lo, v[33:34], v[23:24]
	v_dual_mov_b32 v23, v33 :: v_dual_mov_b32 v24, v34
	s_or_b32 s23, vcc_lo, s23
	s_delay_alu instid0(SALU_CYCLE_1)
	s_and_not1_b32 exec_lo, exec_lo, s23
	s_cbranch_execnz .LBB253_23
; %bb.24:                               ;   in Loop: Header=BB253_17 Depth=3
	s_or_b32 exec_lo, exec_lo, s23
	ds_load_b64 v[23:24], v32 offset:8
	s_mov_b32 s23, 0
.LBB253_25:                             ;   Parent Loop BB253_12 Depth=1
                                        ;     Parent Loop BB253_15 Depth=2
                                        ;       Parent Loop BB253_17 Depth=3
                                        ; =>      This Inner Loop Header: Depth=4
	s_waitcnt lgkmcnt(0)
	v_add_f64 v[33:34], v[23:24], v[21:22]
	ds_cmpstore_rtn_b64 v[33:34], v32, v[33:34], v[23:24] offset:8
	s_waitcnt lgkmcnt(0)
	v_cmp_eq_u64_e32 vcc_lo, v[33:34], v[23:24]
	v_dual_mov_b32 v23, v33 :: v_dual_mov_b32 v24, v34
	s_or_b32 s23, vcc_lo, s23
	s_delay_alu instid0(SALU_CYCLE_1)
	s_and_not1_b32 exec_lo, exec_lo, s23
	s_cbranch_execnz .LBB253_25
; %bb.26:                               ;   in Loop: Header=BB253_17 Depth=3
	s_or_b32 exec_lo, exec_lo, s23
	s_delay_alu instid0(SALU_CYCLE_1)
	s_xor_b32 s23, exec_lo, -1
.LBB253_27:                             ;   in Loop: Header=BB253_17 Depth=3
	s_or_b32 exec_lo, exec_lo, s22
	s_delay_alu instid0(SALU_CYCLE_1) | instskip(SKIP_1) | instid1(SALU_CYCLE_1)
	s_and_not1_b32 s20, s20, exec_lo
	s_and_b32 s22, s23, exec_lo
	s_or_b32 s20, s20, s22
.LBB253_28:                             ;   in Loop: Header=BB253_17 Depth=3
	s_or_b32 exec_lo, exec_lo, s21
	s_delay_alu instid0(SALU_CYCLE_1)
	s_and_b32 s20, s20, exec_lo
.LBB253_29:                             ;   in Loop: Header=BB253_17 Depth=3
	s_and_not1_saveexec_b32 s15, s15
	s_cbranch_execz .LBB253_16
; %bb.30:                               ;   in Loop: Header=BB253_17 Depth=3
	v_lshlrev_b32_e32 v23, 4, v31
	s_mov_b32 s21, 0
	s_delay_alu instid0(VALU_DEP_1)
	v_add3_u32 v32, 0, v23, 0x10000
	ds_load_b64 v[23:24], v32
.LBB253_31:                             ;   Parent Loop BB253_12 Depth=1
                                        ;     Parent Loop BB253_15 Depth=2
                                        ;       Parent Loop BB253_17 Depth=3
                                        ; =>      This Inner Loop Header: Depth=4
	s_waitcnt lgkmcnt(0)
	v_add_f64 v[33:34], v[23:24], v[19:20]
	ds_cmpstore_rtn_b64 v[33:34], v32, v[33:34], v[23:24]
	s_waitcnt lgkmcnt(0)
	v_cmp_eq_u64_e32 vcc_lo, v[33:34], v[23:24]
	v_dual_mov_b32 v23, v33 :: v_dual_mov_b32 v24, v34
	s_or_b32 s21, vcc_lo, s21
	s_delay_alu instid0(SALU_CYCLE_1)
	s_and_not1_b32 exec_lo, exec_lo, s21
	s_cbranch_execnz .LBB253_31
; %bb.32:                               ;   in Loop: Header=BB253_17 Depth=3
	s_or_b32 exec_lo, exec_lo, s21
	ds_load_b64 v[23:24], v32 offset:8
	s_mov_b32 s21, 0
.LBB253_33:                             ;   Parent Loop BB253_12 Depth=1
                                        ;     Parent Loop BB253_15 Depth=2
                                        ;       Parent Loop BB253_17 Depth=3
                                        ; =>      This Inner Loop Header: Depth=4
	s_waitcnt lgkmcnt(0)
	v_add_f64 v[33:34], v[23:24], v[21:22]
	ds_cmpstore_rtn_b64 v[33:34], v32, v[33:34], v[23:24] offset:8
	s_waitcnt lgkmcnt(0)
	v_cmp_eq_u64_e32 vcc_lo, v[33:34], v[23:24]
	v_dual_mov_b32 v23, v33 :: v_dual_mov_b32 v24, v34
	s_or_b32 s21, vcc_lo, s21
	s_delay_alu instid0(SALU_CYCLE_1)
	s_and_not1_b32 exec_lo, exec_lo, s21
	s_cbranch_execnz .LBB253_33
; %bb.34:                               ;   in Loop: Header=BB253_17 Depth=3
	s_or_b32 exec_lo, exec_lo, s21
	s_delay_alu instid0(SALU_CYCLE_1)
	s_and_not1_b32 s20, s20, exec_lo
	s_branch .LBB253_16
.LBB253_35:
	s_or_b32 exec_lo, exec_lo, s2
.LBB253_36:
	s_delay_alu instid0(SALU_CYCLE_1)
	s_and_not1_b32 vcc_lo, exec_lo, s3
	s_cbranch_vccnz .LBB253_39
; %bb.37:
	s_waitcnt lgkmcnt(0)
	s_ashr_i32 s35, s34, 31
	v_sub_co_u32 v5, s4, v0, s47
	s_lshl_b64 s[0:1], s[34:35], 3
	v_sub_co_ci_u32_e64 v6, null, 0, 0, s4
	s_add_u32 s0, s36, s0
	s_addc_u32 s1, s37, s1
	s_load_b128 s[0:3], s[0:1], 0x0
	s_waitcnt lgkmcnt(0)
	v_add_co_u32 v5, vcc_lo, s0, v5
	v_add_co_ci_u32_e32 v6, vcc_lo, s1, v6, vcc_lo
	s_sub_u32 s0, s2, s47
	s_subb_u32 s1, s3, 0
	s_mov_b32 s3, 0
	s_mov_b32 s2, exec_lo
	v_cmpx_gt_i64_e64 s[0:1], v[5:6]
	s_cbranch_execnz .LBB253_108
.LBB253_38:
	s_or_b32 exec_lo, exec_lo, s2
.LBB253_39:
	v_mbcnt_lo_u32_b32 v1, -1, 0
	v_lshrrev_b32_e32 v2, 3, v0
	s_add_i32 s70, 0, 0x5007c
	v_cmp_eq_u32_e32 vcc_lo, 0x3ff, v0
	v_cmp_lt_u32_e64 s0, 31, v0
	v_xor_b32_e32 v1, 63, v1
	v_dual_mov_b32 v4, 0 :: v_dual_and_b32 v3, 0x7c, v2
	v_cmp_lt_u32_e64 s1, 63, v0
	v_cmp_lt_u32_e64 s2, 0x5f, v0
	s_delay_alu instid0(VALU_DEP_4) | instskip(NEXT) | instid1(VALU_DEP_4)
	v_lshrrev_b64 v[1:2], v1, -1
	v_add3_u32 v2, 0, 0x50000, v3
	v_cmp_lt_u32_e64 s3, 0x7f, v0
	v_cmp_lt_u32_e64 s4, 0x9f, v0
	;; [unrolled: 1-line block ×28, first 2 shown]
	v_add3_u32 v3, v27, 0, 0x10000
	v_mov_b32_e32 v5, s70
	s_mov_b32 s35, 0
	s_add_i32 s36, 0, 0x50000
	s_add_i32 s37, 0, 0x50004
	;; [unrolled: 1-line block ×31, first 2 shown]
	s_waitcnt lgkmcnt(0)
	s_barrier
	buffer_gl0_inv
	s_branch .LBB253_41
.LBB253_40:                             ;   in Loop: Header=BB253_41 Depth=1
	s_or_b32 exec_lo, exec_lo, s31
	s_waitcnt lgkmcnt(0)
	s_barrier
	buffer_gl0_inv
	ds_load_b32 v6, v5
	v_add_nc_u32_e32 v25, 0x400, v25
	v_add_nc_u32_e32 v3, 0x4000, v3
	;; [unrolled: 1-line block ×3, first 2 shown]
	s_delay_alu instid0(VALU_DEP_3) | instskip(NEXT) | instid1(VALU_DEP_1)
	v_cmp_lt_u32_e64 s31, 0x3bff, v25
	s_or_b32 s35, s31, s35
	s_waitcnt lgkmcnt(0)
	v_add_nc_u32_e32 v4, v6, v4
	s_and_not1_b32 exec_lo, exec_lo, s35
	s_cbranch_execz .LBB253_128
.LBB253_41:                             ; =>This Inner Loop Header: Depth=1
	ds_load_b32 v6, v26
	ds_load_2addr_b64 v[7:10], v3 offset1:1
	s_waitcnt lgkmcnt(1)
	v_cmp_gt_i32_e64 s31, s33, v6
	s_waitcnt lgkmcnt(0)
	scratch_store_b128 off, v[7:10], off
	s_waitcnt_vscnt null, 0x0
	s_barrier
	buffer_gl0_inv
	s_bcnt1_i32_b32 s75, s31
	s_delay_alu instid0(SALU_CYCLE_1) | instskip(NEXT) | instid1(VALU_DEP_1)
	v_dual_mov_b32 v8, s75 :: v_dual_and_b32 v7, s31, v1
	v_bcnt_u32_b32 v7, v7, 0
	ds_store_b32 v2, v8
	s_waitcnt lgkmcnt(0)
	s_barrier
	buffer_gl0_inv
	s_and_saveexec_b32 s75, s0
	s_cbranch_execnz .LBB253_74
; %bb.42:                               ;   in Loop: Header=BB253_41 Depth=1
	s_or_b32 exec_lo, exec_lo, s75
	s_and_saveexec_b32 s75, s1
	s_cbranch_execnz .LBB253_75
.LBB253_43:                             ;   in Loop: Header=BB253_41 Depth=1
	s_or_b32 exec_lo, exec_lo, s75
	s_and_saveexec_b32 s75, s2
	s_cbranch_execnz .LBB253_76
.LBB253_44:                             ;   in Loop: Header=BB253_41 Depth=1
	s_or_b32 exec_lo, exec_lo, s75
	s_and_saveexec_b32 s75, s3
	s_cbranch_execnz .LBB253_77
.LBB253_45:                             ;   in Loop: Header=BB253_41 Depth=1
	s_or_b32 exec_lo, exec_lo, s75
	s_and_saveexec_b32 s75, s4
	s_cbranch_execnz .LBB253_78
.LBB253_46:                             ;   in Loop: Header=BB253_41 Depth=1
	s_or_b32 exec_lo, exec_lo, s75
	s_and_saveexec_b32 s75, s5
	s_cbranch_execnz .LBB253_79
.LBB253_47:                             ;   in Loop: Header=BB253_41 Depth=1
	s_or_b32 exec_lo, exec_lo, s75
	s_and_saveexec_b32 s75, s6
	s_cbranch_execnz .LBB253_80
.LBB253_48:                             ;   in Loop: Header=BB253_41 Depth=1
	s_or_b32 exec_lo, exec_lo, s75
	s_and_saveexec_b32 s75, s7
	s_cbranch_execnz .LBB253_81
.LBB253_49:                             ;   in Loop: Header=BB253_41 Depth=1
	s_or_b32 exec_lo, exec_lo, s75
	s_and_saveexec_b32 s75, s8
	s_cbranch_execnz .LBB253_82
.LBB253_50:                             ;   in Loop: Header=BB253_41 Depth=1
	s_or_b32 exec_lo, exec_lo, s75
	s_and_saveexec_b32 s75, s9
	s_cbranch_execnz .LBB253_83
.LBB253_51:                             ;   in Loop: Header=BB253_41 Depth=1
	s_or_b32 exec_lo, exec_lo, s75
	s_and_saveexec_b32 s75, s10
	s_cbranch_execnz .LBB253_84
.LBB253_52:                             ;   in Loop: Header=BB253_41 Depth=1
	s_or_b32 exec_lo, exec_lo, s75
	s_and_saveexec_b32 s75, s11
	s_cbranch_execnz .LBB253_85
.LBB253_53:                             ;   in Loop: Header=BB253_41 Depth=1
	s_or_b32 exec_lo, exec_lo, s75
	s_and_saveexec_b32 s75, s12
	s_cbranch_execnz .LBB253_86
.LBB253_54:                             ;   in Loop: Header=BB253_41 Depth=1
	s_or_b32 exec_lo, exec_lo, s75
	s_and_saveexec_b32 s75, s13
	s_cbranch_execnz .LBB253_87
.LBB253_55:                             ;   in Loop: Header=BB253_41 Depth=1
	s_or_b32 exec_lo, exec_lo, s75
	s_and_saveexec_b32 s75, s14
	s_cbranch_execnz .LBB253_88
.LBB253_56:                             ;   in Loop: Header=BB253_41 Depth=1
	s_or_b32 exec_lo, exec_lo, s75
	s_and_saveexec_b32 s75, s15
	s_cbranch_execnz .LBB253_89
.LBB253_57:                             ;   in Loop: Header=BB253_41 Depth=1
	s_or_b32 exec_lo, exec_lo, s75
	s_and_saveexec_b32 s75, s16
	s_cbranch_execnz .LBB253_90
.LBB253_58:                             ;   in Loop: Header=BB253_41 Depth=1
	s_or_b32 exec_lo, exec_lo, s75
	s_and_saveexec_b32 s75, s17
	s_cbranch_execnz .LBB253_91
.LBB253_59:                             ;   in Loop: Header=BB253_41 Depth=1
	s_or_b32 exec_lo, exec_lo, s75
	s_and_saveexec_b32 s75, s18
	s_cbranch_execnz .LBB253_92
.LBB253_60:                             ;   in Loop: Header=BB253_41 Depth=1
	s_or_b32 exec_lo, exec_lo, s75
	s_and_saveexec_b32 s75, s19
	s_cbranch_execnz .LBB253_93
.LBB253_61:                             ;   in Loop: Header=BB253_41 Depth=1
	s_or_b32 exec_lo, exec_lo, s75
	s_and_saveexec_b32 s75, s20
	s_cbranch_execnz .LBB253_94
.LBB253_62:                             ;   in Loop: Header=BB253_41 Depth=1
	s_or_b32 exec_lo, exec_lo, s75
	s_and_saveexec_b32 s75, s21
	s_cbranch_execnz .LBB253_95
.LBB253_63:                             ;   in Loop: Header=BB253_41 Depth=1
	s_or_b32 exec_lo, exec_lo, s75
	s_and_saveexec_b32 s75, s22
	s_cbranch_execnz .LBB253_96
.LBB253_64:                             ;   in Loop: Header=BB253_41 Depth=1
	s_or_b32 exec_lo, exec_lo, s75
	s_and_saveexec_b32 s75, s23
	s_cbranch_execnz .LBB253_97
.LBB253_65:                             ;   in Loop: Header=BB253_41 Depth=1
	s_or_b32 exec_lo, exec_lo, s75
	s_and_saveexec_b32 s75, s24
	s_cbranch_execnz .LBB253_98
.LBB253_66:                             ;   in Loop: Header=BB253_41 Depth=1
	s_or_b32 exec_lo, exec_lo, s75
	s_and_saveexec_b32 s75, s25
	s_cbranch_execnz .LBB253_99
.LBB253_67:                             ;   in Loop: Header=BB253_41 Depth=1
	s_or_b32 exec_lo, exec_lo, s75
	s_and_saveexec_b32 s75, s26
	s_cbranch_execnz .LBB253_100
.LBB253_68:                             ;   in Loop: Header=BB253_41 Depth=1
	s_or_b32 exec_lo, exec_lo, s75
	s_and_saveexec_b32 s75, s27
	s_cbranch_execnz .LBB253_101
.LBB253_69:                             ;   in Loop: Header=BB253_41 Depth=1
	s_or_b32 exec_lo, exec_lo, s75
	s_and_saveexec_b32 s75, s28
	s_cbranch_execnz .LBB253_102
.LBB253_70:                             ;   in Loop: Header=BB253_41 Depth=1
	s_or_b32 exec_lo, exec_lo, s75
	s_and_saveexec_b32 s75, s29
	s_cbranch_execnz .LBB253_103
.LBB253_71:                             ;   in Loop: Header=BB253_41 Depth=1
	s_or_b32 exec_lo, exec_lo, s75
	s_and_saveexec_b32 s75, s30
	s_cbranch_execnz .LBB253_104
.LBB253_72:                             ;   in Loop: Header=BB253_41 Depth=1
	s_or_b32 exec_lo, exec_lo, s75
	s_and_saveexec_b32 s75, s31
	s_cbranch_execnz .LBB253_105
.LBB253_73:                             ;   in Loop: Header=BB253_41 Depth=1
	s_or_b32 exec_lo, exec_lo, s75
	s_and_saveexec_b32 s31, vcc_lo
	s_cbranch_execz .LBB253_40
	s_branch .LBB253_106
.LBB253_74:                             ;   in Loop: Header=BB253_41 Depth=1
	v_mov_b32_e32 v8, s36
	ds_load_b32 v8, v8
	s_waitcnt lgkmcnt(0)
	v_add_nc_u32_e32 v7, v8, v7
	s_or_b32 exec_lo, exec_lo, s75
	s_and_saveexec_b32 s75, s1
	s_cbranch_execz .LBB253_43
.LBB253_75:                             ;   in Loop: Header=BB253_41 Depth=1
	v_mov_b32_e32 v8, s37
	ds_load_b32 v8, v8
	s_waitcnt lgkmcnt(0)
	v_add_nc_u32_e32 v7, v8, v7
	s_or_b32 exec_lo, exec_lo, s75
	s_and_saveexec_b32 s75, s2
	s_cbranch_execz .LBB253_44
.LBB253_76:                             ;   in Loop: Header=BB253_41 Depth=1
	v_mov_b32_e32 v8, s38
	ds_load_b32 v8, v8
	s_waitcnt lgkmcnt(0)
	v_add_nc_u32_e32 v7, v8, v7
	s_or_b32 exec_lo, exec_lo, s75
	s_and_saveexec_b32 s75, s3
	s_cbranch_execz .LBB253_45
.LBB253_77:                             ;   in Loop: Header=BB253_41 Depth=1
	v_mov_b32_e32 v8, s39
	ds_load_b32 v8, v8
	s_waitcnt lgkmcnt(0)
	v_add_nc_u32_e32 v7, v8, v7
	s_or_b32 exec_lo, exec_lo, s75
	s_and_saveexec_b32 s75, s4
	s_cbranch_execz .LBB253_46
.LBB253_78:                             ;   in Loop: Header=BB253_41 Depth=1
	v_mov_b32_e32 v8, s40
	ds_load_b32 v8, v8
	s_waitcnt lgkmcnt(0)
	v_add_nc_u32_e32 v7, v8, v7
	s_or_b32 exec_lo, exec_lo, s75
	s_and_saveexec_b32 s75, s5
	s_cbranch_execz .LBB253_47
.LBB253_79:                             ;   in Loop: Header=BB253_41 Depth=1
	v_mov_b32_e32 v8, s41
	ds_load_b32 v8, v8
	s_waitcnt lgkmcnt(0)
	v_add_nc_u32_e32 v7, v8, v7
	s_or_b32 exec_lo, exec_lo, s75
	s_and_saveexec_b32 s75, s6
	s_cbranch_execz .LBB253_48
.LBB253_80:                             ;   in Loop: Header=BB253_41 Depth=1
	v_mov_b32_e32 v8, s44
	ds_load_b32 v8, v8
	s_waitcnt lgkmcnt(0)
	v_add_nc_u32_e32 v7, v8, v7
	s_or_b32 exec_lo, exec_lo, s75
	s_and_saveexec_b32 s75, s7
	s_cbranch_execz .LBB253_49
.LBB253_81:                             ;   in Loop: Header=BB253_41 Depth=1
	v_mov_b32_e32 v8, s45
	ds_load_b32 v8, v8
	s_waitcnt lgkmcnt(0)
	v_add_nc_u32_e32 v7, v8, v7
	s_or_b32 exec_lo, exec_lo, s75
	s_and_saveexec_b32 s75, s8
	s_cbranch_execz .LBB253_50
.LBB253_82:                             ;   in Loop: Header=BB253_41 Depth=1
	v_mov_b32_e32 v8, s47
	ds_load_b32 v8, v8
	s_waitcnt lgkmcnt(0)
	v_add_nc_u32_e32 v7, v8, v7
	s_or_b32 exec_lo, exec_lo, s75
	s_and_saveexec_b32 s75, s9
	s_cbranch_execz .LBB253_51
.LBB253_83:                             ;   in Loop: Header=BB253_41 Depth=1
	v_mov_b32_e32 v8, s52
	ds_load_b32 v8, v8
	s_waitcnt lgkmcnt(0)
	v_add_nc_u32_e32 v7, v8, v7
	s_or_b32 exec_lo, exec_lo, s75
	s_and_saveexec_b32 s75, s10
	s_cbranch_execz .LBB253_52
.LBB253_84:                             ;   in Loop: Header=BB253_41 Depth=1
	v_mov_b32_e32 v8, s53
	ds_load_b32 v8, v8
	s_waitcnt lgkmcnt(0)
	v_add_nc_u32_e32 v7, v8, v7
	s_or_b32 exec_lo, exec_lo, s75
	s_and_saveexec_b32 s75, s11
	s_cbranch_execz .LBB253_53
.LBB253_85:                             ;   in Loop: Header=BB253_41 Depth=1
	v_mov_b32_e32 v8, s54
	ds_load_b32 v8, v8
	s_waitcnt lgkmcnt(0)
	v_add_nc_u32_e32 v7, v8, v7
	s_or_b32 exec_lo, exec_lo, s75
	s_and_saveexec_b32 s75, s12
	s_cbranch_execz .LBB253_54
.LBB253_86:                             ;   in Loop: Header=BB253_41 Depth=1
	v_mov_b32_e32 v8, s55
	ds_load_b32 v8, v8
	s_waitcnt lgkmcnt(0)
	v_add_nc_u32_e32 v7, v8, v7
	s_or_b32 exec_lo, exec_lo, s75
	s_and_saveexec_b32 s75, s13
	s_cbranch_execz .LBB253_55
.LBB253_87:                             ;   in Loop: Header=BB253_41 Depth=1
	v_mov_b32_e32 v8, s56
	ds_load_b32 v8, v8
	s_waitcnt lgkmcnt(0)
	v_add_nc_u32_e32 v7, v8, v7
	s_or_b32 exec_lo, exec_lo, s75
	s_and_saveexec_b32 s75, s14
	s_cbranch_execz .LBB253_56
.LBB253_88:                             ;   in Loop: Header=BB253_41 Depth=1
	v_mov_b32_e32 v8, s57
	ds_load_b32 v8, v8
	s_waitcnt lgkmcnt(0)
	v_add_nc_u32_e32 v7, v8, v7
	s_or_b32 exec_lo, exec_lo, s75
	s_and_saveexec_b32 s75, s15
	s_cbranch_execz .LBB253_57
.LBB253_89:                             ;   in Loop: Header=BB253_41 Depth=1
	v_mov_b32_e32 v8, s58
	ds_load_b32 v8, v8
	s_waitcnt lgkmcnt(0)
	v_add_nc_u32_e32 v7, v8, v7
	s_or_b32 exec_lo, exec_lo, s75
	s_and_saveexec_b32 s75, s16
	s_cbranch_execz .LBB253_58
.LBB253_90:                             ;   in Loop: Header=BB253_41 Depth=1
	v_mov_b32_e32 v8, s59
	ds_load_b32 v8, v8
	s_waitcnt lgkmcnt(0)
	v_add_nc_u32_e32 v7, v8, v7
	s_or_b32 exec_lo, exec_lo, s75
	s_and_saveexec_b32 s75, s17
	s_cbranch_execz .LBB253_59
.LBB253_91:                             ;   in Loop: Header=BB253_41 Depth=1
	v_mov_b32_e32 v8, s60
	ds_load_b32 v8, v8
	s_waitcnt lgkmcnt(0)
	v_add_nc_u32_e32 v7, v8, v7
	s_or_b32 exec_lo, exec_lo, s75
	s_and_saveexec_b32 s75, s18
	s_cbranch_execz .LBB253_60
.LBB253_92:                             ;   in Loop: Header=BB253_41 Depth=1
	v_mov_b32_e32 v8, s61
	ds_load_b32 v8, v8
	s_waitcnt lgkmcnt(0)
	v_add_nc_u32_e32 v7, v8, v7
	s_or_b32 exec_lo, exec_lo, s75
	s_and_saveexec_b32 s75, s19
	s_cbranch_execz .LBB253_61
.LBB253_93:                             ;   in Loop: Header=BB253_41 Depth=1
	v_mov_b32_e32 v8, s62
	ds_load_b32 v8, v8
	s_waitcnt lgkmcnt(0)
	v_add_nc_u32_e32 v7, v8, v7
	s_or_b32 exec_lo, exec_lo, s75
	s_and_saveexec_b32 s75, s20
	s_cbranch_execz .LBB253_62
.LBB253_94:                             ;   in Loop: Header=BB253_41 Depth=1
	v_mov_b32_e32 v8, s63
	ds_load_b32 v8, v8
	s_waitcnt lgkmcnt(0)
	v_add_nc_u32_e32 v7, v8, v7
	s_or_b32 exec_lo, exec_lo, s75
	s_and_saveexec_b32 s75, s21
	s_cbranch_execz .LBB253_63
.LBB253_95:                             ;   in Loop: Header=BB253_41 Depth=1
	v_mov_b32_e32 v8, s64
	ds_load_b32 v8, v8
	s_waitcnt lgkmcnt(0)
	v_add_nc_u32_e32 v7, v8, v7
	s_or_b32 exec_lo, exec_lo, s75
	s_and_saveexec_b32 s75, s22
	s_cbranch_execz .LBB253_64
.LBB253_96:                             ;   in Loop: Header=BB253_41 Depth=1
	v_mov_b32_e32 v8, s65
	ds_load_b32 v8, v8
	s_waitcnt lgkmcnt(0)
	v_add_nc_u32_e32 v7, v8, v7
	s_or_b32 exec_lo, exec_lo, s75
	s_and_saveexec_b32 s75, s23
	s_cbranch_execz .LBB253_65
.LBB253_97:                             ;   in Loop: Header=BB253_41 Depth=1
	v_mov_b32_e32 v8, s66
	ds_load_b32 v8, v8
	s_waitcnt lgkmcnt(0)
	v_add_nc_u32_e32 v7, v8, v7
	s_or_b32 exec_lo, exec_lo, s75
	s_and_saveexec_b32 s75, s24
	s_cbranch_execz .LBB253_66
.LBB253_98:                             ;   in Loop: Header=BB253_41 Depth=1
	v_mov_b32_e32 v8, s67
	ds_load_b32 v8, v8
	s_waitcnt lgkmcnt(0)
	v_add_nc_u32_e32 v7, v8, v7
	s_or_b32 exec_lo, exec_lo, s75
	s_and_saveexec_b32 s75, s25
	s_cbranch_execz .LBB253_67
.LBB253_99:                             ;   in Loop: Header=BB253_41 Depth=1
	v_mov_b32_e32 v8, s68
	ds_load_b32 v8, v8
	s_waitcnt lgkmcnt(0)
	v_add_nc_u32_e32 v7, v8, v7
	s_or_b32 exec_lo, exec_lo, s75
	s_and_saveexec_b32 s75, s26
	s_cbranch_execz .LBB253_68
.LBB253_100:                            ;   in Loop: Header=BB253_41 Depth=1
	v_mov_b32_e32 v8, s69
	ds_load_b32 v8, v8
	s_waitcnt lgkmcnt(0)
	v_add_nc_u32_e32 v7, v8, v7
	s_or_b32 exec_lo, exec_lo, s75
	s_and_saveexec_b32 s75, s27
	s_cbranch_execz .LBB253_69
.LBB253_101:                            ;   in Loop: Header=BB253_41 Depth=1
	v_mov_b32_e32 v8, s71
	ds_load_b32 v8, v8
	s_waitcnt lgkmcnt(0)
	v_add_nc_u32_e32 v7, v8, v7
	s_or_b32 exec_lo, exec_lo, s75
	s_and_saveexec_b32 s75, s28
	s_cbranch_execz .LBB253_70
.LBB253_102:                            ;   in Loop: Header=BB253_41 Depth=1
	v_mov_b32_e32 v8, s72
	ds_load_b32 v8, v8
	s_waitcnt lgkmcnt(0)
	v_add_nc_u32_e32 v7, v8, v7
	s_or_b32 exec_lo, exec_lo, s75
	s_and_saveexec_b32 s75, s29
	s_cbranch_execz .LBB253_71
.LBB253_103:                            ;   in Loop: Header=BB253_41 Depth=1
	v_mov_b32_e32 v8, s73
	ds_load_b32 v8, v8
	s_waitcnt lgkmcnt(0)
	v_add_nc_u32_e32 v7, v8, v7
	s_or_b32 exec_lo, exec_lo, s75
	s_and_saveexec_b32 s75, s30
	s_cbranch_execz .LBB253_72
.LBB253_104:                            ;   in Loop: Header=BB253_41 Depth=1
	v_mov_b32_e32 v8, s74
	ds_load_b32 v8, v8
	s_waitcnt lgkmcnt(0)
	v_add_nc_u32_e32 v7, v8, v7
	s_or_b32 exec_lo, exec_lo, s75
	s_and_saveexec_b32 s75, s31
	s_cbranch_execz .LBB253_73
.LBB253_105:                            ;   in Loop: Header=BB253_41 Depth=1
	scratch_load_b128 v[8:11], off, off
	v_add3_u32 v12, v4, -1, v7
	s_delay_alu instid0(VALU_DEP_1) | instskip(SKIP_1) | instid1(VALU_DEP_2)
	v_lshlrev_b32_e32 v13, 4, v12
	v_lshl_add_u32 v12, v12, 2, 0
	v_add3_u32 v13, 0, v13, 0x10000
	ds_store_b32 v12, v6
	s_waitcnt vmcnt(0)
	ds_store_2addr_b64 v13, v[8:9], v[10:11] offset1:1
	s_or_b32 exec_lo, exec_lo, s75
	s_and_saveexec_b32 s31, vcc_lo
	s_cbranch_execz .LBB253_40
.LBB253_106:                            ;   in Loop: Header=BB253_41 Depth=1
	v_mov_b32_e32 v6, s70
	ds_store_b32 v6, v7
	s_branch .LBB253_40
.LBB253_107:                            ;   in Loop: Header=BB253_108 Depth=1
	s_or_b32 exec_lo, exec_lo, s4
	v_add_co_u32 v5, vcc_lo, 0x400, v5
	v_add_co_ci_u32_e32 v6, vcc_lo, 0, v6, vcc_lo
	s_delay_alu instid0(VALU_DEP_1) | instskip(SKIP_1) | instid1(SALU_CYCLE_1)
	v_cmp_le_i64_e32 vcc_lo, s[0:1], v[5:6]
	s_or_b32 s3, vcc_lo, s3
	s_and_not1_b32 exec_lo, exec_lo, s3
	s_cbranch_execz .LBB253_38
.LBB253_108:                            ; =>This Loop Header: Depth=1
                                        ;     Child Loop BB253_110 Depth 2
                                        ;       Child Loop BB253_116 Depth 3
                                        ;       Child Loop BB253_118 Depth 3
	;; [unrolled: 1-line block ×4, first 2 shown]
	v_lshlrev_b64 v[7:8], 4, v[5:6]
	s_mov_b32 s4, 0
	s_delay_alu instid0(VALU_DEP_1) | instskip(NEXT) | instid1(VALU_DEP_2)
	v_add_co_u32 v7, vcc_lo, s40, v7
	v_add_co_ci_u32_e32 v8, vcc_lo, s41, v8, vcc_lo
	global_load_b128 v[9:12], v[7:8], off
	v_lshlrev_b64 v[7:8], 2, v[5:6]
	s_delay_alu instid0(VALU_DEP_1) | instskip(NEXT) | instid1(VALU_DEP_2)
	v_add_co_u32 v7, vcc_lo, s38, v7
	v_add_co_ci_u32_e32 v8, vcc_lo, s39, v8, vcc_lo
	global_load_b32 v13, v[7:8], off
	s_waitcnt vmcnt(1)
	v_mul_f64 v[7:8], v[11:12], -v[1:2]
	v_mul_f64 v[11:12], v[3:4], v[11:12]
	s_waitcnt vmcnt(0)
	v_subrev_nc_u32_e32 v13, s47, v13
	s_delay_alu instid0(VALU_DEP_3) | instskip(NEXT) | instid1(VALU_DEP_3)
	v_fma_f64 v[7:8], v[3:4], v[9:10], v[7:8]
	v_fma_f64 v[9:10], v[1:2], v[9:10], v[11:12]
	s_delay_alu instid0(VALU_DEP_3) | instskip(NEXT) | instid1(VALU_DEP_1)
	v_mul_lo_u32 v11, 0x89, v13
	v_and_b32_e32 v14, 0x3fff, v11
	s_branch .LBB253_110
.LBB253_109:                            ;   in Loop: Header=BB253_110 Depth=2
	s_or_b32 exec_lo, exec_lo, s5
	s_xor_b32 s5, s6, -1
	s_delay_alu instid0(SALU_CYCLE_1) | instskip(NEXT) | instid1(SALU_CYCLE_1)
	s_and_b32 s5, exec_lo, s5
	s_or_b32 s4, s5, s4
	s_delay_alu instid0(SALU_CYCLE_1)
	s_and_not1_b32 exec_lo, exec_lo, s4
	s_cbranch_execz .LBB253_107
.LBB253_110:                            ;   Parent Loop BB253_108 Depth=1
                                        ; =>  This Loop Header: Depth=2
                                        ;       Child Loop BB253_116 Depth 3
                                        ;       Child Loop BB253_118 Depth 3
	;; [unrolled: 1-line block ×4, first 2 shown]
	s_delay_alu instid0(VALU_DEP_1)
	v_lshl_add_u32 v11, v14, 2, 0
	s_mov_b32 s5, exec_lo
                                        ; implicit-def: $sgpr6
	ds_load_b32 v12, v11
	s_waitcnt lgkmcnt(0)
	v_cmpx_ne_u32_e64 v12, v13
	s_xor_b32 s5, exec_lo, s5
	s_cbranch_execz .LBB253_122
; %bb.111:                              ;   in Loop: Header=BB253_110 Depth=2
	s_mov_b32 s7, exec_lo
                                        ; implicit-def: $sgpr6
	v_cmpx_ne_u32_e64 s33, v12
	s_xor_b32 s7, exec_lo, s7
; %bb.112:                              ;   in Loop: Header=BB253_110 Depth=2
	v_add_nc_u32_e32 v11, 1, v14
	s_mov_b32 s6, -1
	s_delay_alu instid0(VALU_DEP_1)
	v_and_b32_e32 v14, 0x3fff, v11
                                        ; implicit-def: $vgpr11
; %bb.113:                              ;   in Loop: Header=BB253_110 Depth=2
	s_and_not1_saveexec_b32 s7, s7
	s_cbranch_execz .LBB253_121
; %bb.114:                              ;   in Loop: Header=BB253_110 Depth=2
	v_mov_b32_e32 v12, s33
	s_mov_b32 s9, -1
	s_mov_b32 s8, exec_lo
	ds_cmpstore_rtn_b32 v11, v11, v13, v12
	s_waitcnt lgkmcnt(0)
	v_cmpx_eq_u32_e64 s33, v11
	s_cbranch_execz .LBB253_120
; %bb.115:                              ;   in Loop: Header=BB253_110 Depth=2
	v_lshlrev_b32_e32 v11, 4, v14
	s_mov_b32 s9, 0
	s_delay_alu instid0(VALU_DEP_1)
	v_add3_u32 v15, 0, v11, 0x10000
	ds_load_b64 v[11:12], v15
.LBB253_116:                            ;   Parent Loop BB253_108 Depth=1
                                        ;     Parent Loop BB253_110 Depth=2
                                        ; =>    This Inner Loop Header: Depth=3
	s_waitcnt lgkmcnt(0)
	v_add_f64 v[16:17], v[11:12], v[7:8]
	ds_cmpstore_rtn_b64 v[16:17], v15, v[16:17], v[11:12]
	s_waitcnt lgkmcnt(0)
	v_cmp_eq_u64_e32 vcc_lo, v[16:17], v[11:12]
	v_dual_mov_b32 v11, v16 :: v_dual_mov_b32 v12, v17
	s_or_b32 s9, vcc_lo, s9
	s_delay_alu instid0(SALU_CYCLE_1)
	s_and_not1_b32 exec_lo, exec_lo, s9
	s_cbranch_execnz .LBB253_116
; %bb.117:                              ;   in Loop: Header=BB253_110 Depth=2
	s_or_b32 exec_lo, exec_lo, s9
	ds_load_b64 v[11:12], v15 offset:8
	s_mov_b32 s9, 0
.LBB253_118:                            ;   Parent Loop BB253_108 Depth=1
                                        ;     Parent Loop BB253_110 Depth=2
                                        ; =>    This Inner Loop Header: Depth=3
	s_waitcnt lgkmcnt(0)
	v_add_f64 v[16:17], v[11:12], v[9:10]
	ds_cmpstore_rtn_b64 v[16:17], v15, v[16:17], v[11:12] offset:8
	s_waitcnt lgkmcnt(0)
	v_cmp_eq_u64_e32 vcc_lo, v[16:17], v[11:12]
	v_dual_mov_b32 v11, v16 :: v_dual_mov_b32 v12, v17
	s_or_b32 s9, vcc_lo, s9
	s_delay_alu instid0(SALU_CYCLE_1)
	s_and_not1_b32 exec_lo, exec_lo, s9
	s_cbranch_execnz .LBB253_118
; %bb.119:                              ;   in Loop: Header=BB253_110 Depth=2
	s_or_b32 exec_lo, exec_lo, s9
	s_delay_alu instid0(SALU_CYCLE_1)
	s_xor_b32 s9, exec_lo, -1
.LBB253_120:                            ;   in Loop: Header=BB253_110 Depth=2
	s_or_b32 exec_lo, exec_lo, s8
	s_delay_alu instid0(SALU_CYCLE_1) | instskip(SKIP_1) | instid1(SALU_CYCLE_1)
	s_and_not1_b32 s6, s6, exec_lo
	s_and_b32 s8, s9, exec_lo
	s_or_b32 s6, s6, s8
.LBB253_121:                            ;   in Loop: Header=BB253_110 Depth=2
	s_or_b32 exec_lo, exec_lo, s7
	s_delay_alu instid0(SALU_CYCLE_1)
	s_and_b32 s6, s6, exec_lo
.LBB253_122:                            ;   in Loop: Header=BB253_110 Depth=2
	s_and_not1_saveexec_b32 s5, s5
	s_cbranch_execz .LBB253_109
; %bb.123:                              ;   in Loop: Header=BB253_110 Depth=2
	v_lshlrev_b32_e32 v11, 4, v14
	s_mov_b32 s7, 0
	s_delay_alu instid0(VALU_DEP_1)
	v_add3_u32 v15, 0, v11, 0x10000
	ds_load_b64 v[11:12], v15
.LBB253_124:                            ;   Parent Loop BB253_108 Depth=1
                                        ;     Parent Loop BB253_110 Depth=2
                                        ; =>    This Inner Loop Header: Depth=3
	s_waitcnt lgkmcnt(0)
	v_add_f64 v[16:17], v[11:12], v[7:8]
	ds_cmpstore_rtn_b64 v[16:17], v15, v[16:17], v[11:12]
	s_waitcnt lgkmcnt(0)
	v_cmp_eq_u64_e32 vcc_lo, v[16:17], v[11:12]
	v_dual_mov_b32 v11, v16 :: v_dual_mov_b32 v12, v17
	s_or_b32 s7, vcc_lo, s7
	s_delay_alu instid0(SALU_CYCLE_1)
	s_and_not1_b32 exec_lo, exec_lo, s7
	s_cbranch_execnz .LBB253_124
; %bb.125:                              ;   in Loop: Header=BB253_110 Depth=2
	s_or_b32 exec_lo, exec_lo, s7
	ds_load_b64 v[11:12], v15 offset:8
	s_mov_b32 s7, 0
.LBB253_126:                            ;   Parent Loop BB253_108 Depth=1
                                        ;     Parent Loop BB253_110 Depth=2
                                        ; =>    This Inner Loop Header: Depth=3
	s_waitcnt lgkmcnt(0)
	v_add_f64 v[16:17], v[11:12], v[9:10]
	ds_cmpstore_rtn_b64 v[16:17], v15, v[16:17], v[11:12] offset:8
	s_waitcnt lgkmcnt(0)
	v_cmp_eq_u64_e32 vcc_lo, v[16:17], v[11:12]
	v_dual_mov_b32 v11, v16 :: v_dual_mov_b32 v12, v17
	s_or_b32 s7, vcc_lo, s7
	s_delay_alu instid0(SALU_CYCLE_1)
	s_and_not1_b32 exec_lo, exec_lo, s7
	s_cbranch_execnz .LBB253_126
; %bb.127:                              ;   in Loop: Header=BB253_110 Depth=2
	s_or_b32 exec_lo, exec_lo, s7
	s_delay_alu instid0(SALU_CYCLE_1)
	s_and_not1_b32 s6, s6, exec_lo
	s_branch .LBB253_109
.LBB253_128:
	s_or_b32 exec_lo, exec_lo, s35
	s_ashr_i32 s35, s34, 31
	s_mov_b32 s4, exec_lo
	s_lshl_b64 s[0:1], s[34:35], 3
	s_delay_alu instid0(SALU_CYCLE_1) | instskip(SKIP_4) | instid1(SALU_CYCLE_1)
	s_add_u32 s0, s42, s0
	s_addc_u32 s1, s43, s1
	s_load_b128 s[0:3], s[0:1], 0x0
	s_waitcnt lgkmcnt(0)
	s_sub_i32 s3, s2, s0
	v_cmpx_gt_i32_e64 s3, v0
	s_cbranch_execz .LBB253_138
; %bb.129:
	s_sub_u32 s4, s0, s46
	s_subb_u32 s5, s1, 0
	s_sub_i32 s0, s0, s2
	s_and_b32 s1, s3, 7
	s_cmp_lt_u32 s0, -7
	s_mov_b32 s8, 0
	s_cselect_b32 s2, -1, 0
	s_and_b32 s6, s3, -8
	s_cmp_lg_u32 s1, 0
	s_cselect_b32 s7, -1, 0
	s_branch .LBB253_131
.LBB253_130:                            ;   in Loop: Header=BB253_131 Depth=1
	v_lshlrev_b32_e32 v4, 4, v0
	s_delay_alu instid0(VALU_DEP_2)
	v_lshlrev_b64 v[8:9], 2, v[1:2]
	v_lshlrev_b64 v[1:2], 4, v[1:2]
	v_add_nc_u32_e32 v0, 0x400, v0
	s_waitcnt lgkmcnt(0)
	v_add_nc_u32_e32 v3, s46, v3
	v_add3_u32 v4, 0, v4, 0x10000
	v_add_co_u32 v8, vcc_lo, s48, v8
	v_add_co_ci_u32_e32 v9, vcc_lo, s49, v9, vcc_lo
	ds_load_2addr_b64 v[4:7], v4 offset1:1
	v_cmp_le_i32_e32 vcc_lo, s3, v0
	v_add_co_u32 v1, s0, s50, v1
	s_delay_alu instid0(VALU_DEP_1)
	v_add_co_ci_u32_e64 v2, s0, s51, v2, s0
	s_or_b32 s8, vcc_lo, s8
	global_store_b32 v[8:9], v3, off
	s_waitcnt lgkmcnt(0)
	global_store_b128 v[1:2], v[4:7], off
	s_and_not1_b32 exec_lo, exec_lo, s8
	s_cbranch_execz .LBB253_138
.LBB253_131:                            ; =>This Loop Header: Depth=1
                                        ;     Child Loop BB253_133 Depth 2
                                        ;     Child Loop BB253_137 Depth 2
	v_lshl_add_u32 v1, v0, 2, 0
	s_and_not1_b32 vcc_lo, exec_lo, s2
	s_mov_b32 s0, 0
	ds_load_b32 v3, v1
	v_dual_mov_b32 v1, s4 :: v_dual_mov_b32 v2, s5
	s_cbranch_vccnz .LBB253_135
; %bb.132:                              ;   in Loop: Header=BB253_131 Depth=1
	v_dual_mov_b32 v1, s4 :: v_dual_mov_b32 v2, s5
	s_mov_b32 s9, 0
	s_mov_b32 s10, 0
.LBB253_133:                            ;   Parent Loop BB253_131 Depth=1
                                        ; =>  This Inner Loop Header: Depth=2
	s_delay_alu instid0(SALU_CYCLE_1)
	v_mov_b32_e32 v10, s10
	s_add_i32 s9, s9, 8
	s_add_i32 s10, s10, 32
	s_cmp_eq_u32 s6, s9
	ds_load_2addr_b32 v[4:5], v10 offset1:1
	ds_load_2addr_b32 v[6:7], v10 offset0:2 offset1:3
	ds_load_2addr_b32 v[8:9], v10 offset0:4 offset1:5
	;; [unrolled: 1-line block ×3, first 2 shown]
	s_waitcnt lgkmcnt(3)
	v_cmp_gt_i32_e32 vcc_lo, v3, v4
	v_cndmask_b32_e64 v4, 0, 1, vcc_lo
	v_cmp_gt_i32_e32 vcc_lo, v3, v5
	v_cndmask_b32_e64 v5, 0, 1, vcc_lo
	s_waitcnt lgkmcnt(2)
	v_cmp_gt_i32_e32 vcc_lo, v3, v6
	v_cndmask_b32_e64 v6, 0, 1, vcc_lo
	v_cmp_gt_i32_e32 vcc_lo, v3, v7
	v_cndmask_b32_e64 v7, 0, 1, vcc_lo
	s_waitcnt lgkmcnt(1)
	v_cmp_gt_i32_e32 vcc_lo, v3, v8
	v_cndmask_b32_e64 v8, 0, 1, vcc_lo
	v_add_co_u32 v1, vcc_lo, v1, v4
	v_add_co_ci_u32_e32 v2, vcc_lo, 0, v2, vcc_lo
	v_cmp_gt_i32_e32 vcc_lo, v3, v9
	s_delay_alu instid0(VALU_DEP_3) | instskip(NEXT) | instid1(VALU_DEP_1)
	v_add_co_u32 v1, s0, v1, v5
	v_add_co_ci_u32_e64 v2, s0, 0, v2, s0
	v_cndmask_b32_e64 v4, 0, 1, vcc_lo
	s_delay_alu instid0(VALU_DEP_3) | instskip(NEXT) | instid1(VALU_DEP_3)
	v_add_co_u32 v1, vcc_lo, v1, v6
	v_add_co_ci_u32_e32 v2, vcc_lo, 0, v2, vcc_lo
	s_waitcnt lgkmcnt(0)
	v_cmp_gt_i32_e32 vcc_lo, v3, v10
	s_delay_alu instid0(VALU_DEP_3) | instskip(NEXT) | instid1(VALU_DEP_1)
	v_add_co_u32 v1, s0, v1, v7
	v_add_co_ci_u32_e64 v2, s0, 0, v2, s0
	v_cndmask_b32_e64 v5, 0, 1, vcc_lo
	s_delay_alu instid0(VALU_DEP_3) | instskip(NEXT) | instid1(VALU_DEP_3)
	v_add_co_u32 v1, vcc_lo, v1, v8
	v_add_co_ci_u32_e32 v2, vcc_lo, 0, v2, vcc_lo
	v_cmp_gt_i32_e32 vcc_lo, v3, v11
	s_delay_alu instid0(VALU_DEP_3) | instskip(NEXT) | instid1(VALU_DEP_1)
	v_add_co_u32 v1, s0, v1, v4
	v_add_co_ci_u32_e64 v2, s0, 0, v2, s0
	v_cndmask_b32_e64 v4, 0, 1, vcc_lo
	s_delay_alu instid0(VALU_DEP_3) | instskip(NEXT) | instid1(VALU_DEP_3)
	v_add_co_u32 v1, vcc_lo, v1, v5
	v_add_co_ci_u32_e32 v2, vcc_lo, 0, v2, vcc_lo
	s_delay_alu instid0(VALU_DEP_2) | instskip(NEXT) | instid1(VALU_DEP_2)
	v_add_co_u32 v1, vcc_lo, v1, v4
	v_add_co_ci_u32_e32 v2, vcc_lo, 0, v2, vcc_lo
	s_cbranch_scc0 .LBB253_133
; %bb.134:                              ;   in Loop: Header=BB253_131 Depth=1
	s_mov_b32 s0, s6
.LBB253_135:                            ;   in Loop: Header=BB253_131 Depth=1
	s_and_not1_b32 vcc_lo, exec_lo, s7
	s_cbranch_vccnz .LBB253_130
; %bb.136:                              ;   in Loop: Header=BB253_131 Depth=1
	s_lshl_b32 s0, s0, 2
	s_mov_b32 s9, s1
	s_add_i32 s0, s0, 0
.LBB253_137:                            ;   Parent Loop BB253_131 Depth=1
                                        ; =>  This Inner Loop Header: Depth=2
	s_delay_alu instid0(SALU_CYCLE_1)
	v_mov_b32_e32 v4, s0
	s_add_i32 s9, s9, -1
	s_add_i32 s0, s0, 4
	s_cmp_lg_u32 s9, 0
	ds_load_b32 v4, v4
	s_waitcnt lgkmcnt(0)
	v_cmp_gt_i32_e32 vcc_lo, v3, v4
	v_cndmask_b32_e64 v4, 0, 1, vcc_lo
	s_delay_alu instid0(VALU_DEP_1)
	v_add_co_u32 v1, vcc_lo, v1, v4
	v_add_co_ci_u32_e32 v2, vcc_lo, 0, v2, vcc_lo
	s_cbranch_scc1 .LBB253_137
	s_branch .LBB253_130
.LBB253_138:
	s_nop 0
	s_sendmsg sendmsg(MSG_DEALLOC_VGPRS)
	s_endpgm
	.section	.rodata,"a",@progbits
	.p2align	6, 0x0
	.amdhsa_kernel _ZN9rocsparseL26csrgemm_fill_block_per_rowILj1024ELj64ELj16384ELj137ELj32Eli21rocsparse_complex_numIdEEEvT5_PKS3_S5_NS_24const_host_device_scalarIT6_EEPKT4_S5_PKS7_SB_S5_SD_S8_SB_S5_SD_SB_PS3_PS7_21rocsparse_index_base_SG_SG_SG_bbb
		.amdhsa_group_segment_fixed_size 0
		.amdhsa_private_segment_fixed_size 40
		.amdhsa_kernarg_size 172
		.amdhsa_user_sgpr_count 15
		.amdhsa_user_sgpr_dispatch_ptr 0
		.amdhsa_user_sgpr_queue_ptr 0
		.amdhsa_user_sgpr_kernarg_segment_ptr 1
		.amdhsa_user_sgpr_dispatch_id 0
		.amdhsa_user_sgpr_private_segment_size 0
		.amdhsa_wavefront_size32 1
		.amdhsa_uses_dynamic_stack 0
		.amdhsa_enable_private_segment 1
		.amdhsa_system_sgpr_workgroup_id_x 1
		.amdhsa_system_sgpr_workgroup_id_y 0
		.amdhsa_system_sgpr_workgroup_id_z 0
		.amdhsa_system_sgpr_workgroup_info 0
		.amdhsa_system_vgpr_workitem_id 0
		.amdhsa_next_free_vgpr 35
		.amdhsa_next_free_sgpr 76
		.amdhsa_reserve_vcc 1
		.amdhsa_float_round_mode_32 0
		.amdhsa_float_round_mode_16_64 0
		.amdhsa_float_denorm_mode_32 3
		.amdhsa_float_denorm_mode_16_64 3
		.amdhsa_dx10_clamp 1
		.amdhsa_ieee_mode 1
		.amdhsa_fp16_overflow 0
		.amdhsa_workgroup_processor_mode 1
		.amdhsa_memory_ordered 1
		.amdhsa_forward_progress 0
		.amdhsa_shared_vgpr_count 0
		.amdhsa_exception_fp_ieee_invalid_op 0
		.amdhsa_exception_fp_denorm_src 0
		.amdhsa_exception_fp_ieee_div_zero 0
		.amdhsa_exception_fp_ieee_overflow 0
		.amdhsa_exception_fp_ieee_underflow 0
		.amdhsa_exception_fp_ieee_inexact 0
		.amdhsa_exception_int_div_zero 0
	.end_amdhsa_kernel
	.section	.text._ZN9rocsparseL26csrgemm_fill_block_per_rowILj1024ELj64ELj16384ELj137ELj32Eli21rocsparse_complex_numIdEEEvT5_PKS3_S5_NS_24const_host_device_scalarIT6_EEPKT4_S5_PKS7_SB_S5_SD_S8_SB_S5_SD_SB_PS3_PS7_21rocsparse_index_base_SG_SG_SG_bbb,"axG",@progbits,_ZN9rocsparseL26csrgemm_fill_block_per_rowILj1024ELj64ELj16384ELj137ELj32Eli21rocsparse_complex_numIdEEEvT5_PKS3_S5_NS_24const_host_device_scalarIT6_EEPKT4_S5_PKS7_SB_S5_SD_S8_SB_S5_SD_SB_PS3_PS7_21rocsparse_index_base_SG_SG_SG_bbb,comdat
.Lfunc_end253:
	.size	_ZN9rocsparseL26csrgemm_fill_block_per_rowILj1024ELj64ELj16384ELj137ELj32Eli21rocsparse_complex_numIdEEEvT5_PKS3_S5_NS_24const_host_device_scalarIT6_EEPKT4_S5_PKS7_SB_S5_SD_S8_SB_S5_SD_SB_PS3_PS7_21rocsparse_index_base_SG_SG_SG_bbb, .Lfunc_end253-_ZN9rocsparseL26csrgemm_fill_block_per_rowILj1024ELj64ELj16384ELj137ELj32Eli21rocsparse_complex_numIdEEEvT5_PKS3_S5_NS_24const_host_device_scalarIT6_EEPKT4_S5_PKS7_SB_S5_SD_S8_SB_S5_SD_SB_PS3_PS7_21rocsparse_index_base_SG_SG_SG_bbb
                                        ; -- End function
	.section	.AMDGPU.csdata,"",@progbits
; Kernel info:
; codeLenInByte = 5592
; NumSgprs: 78
; NumVgprs: 35
; ScratchSize: 40
; MemoryBound: 0
; FloatMode: 240
; IeeeMode: 1
; LDSByteSize: 0 bytes/workgroup (compile time only)
; SGPRBlocks: 9
; VGPRBlocks: 4
; NumSGPRsForWavesPerEU: 78
; NumVGPRsForWavesPerEU: 35
; Occupancy: 16
; WaveLimiterHint : 1
; COMPUTE_PGM_RSRC2:SCRATCH_EN: 1
; COMPUTE_PGM_RSRC2:USER_SGPR: 15
; COMPUTE_PGM_RSRC2:TRAP_HANDLER: 0
; COMPUTE_PGM_RSRC2:TGID_X_EN: 1
; COMPUTE_PGM_RSRC2:TGID_Y_EN: 0
; COMPUTE_PGM_RSRC2:TGID_Z_EN: 0
; COMPUTE_PGM_RSRC2:TIDIG_COMP_CNT: 0
	.section	.text._ZN9rocsparseL26csrgemm_fill_block_per_rowILj1024ELj64ELj16384ELj137ELj64Eli21rocsparse_complex_numIdEEEvT5_PKS3_S5_NS_24const_host_device_scalarIT6_EEPKT4_S5_PKS7_SB_S5_SD_S8_SB_S5_SD_SB_PS3_PS7_21rocsparse_index_base_SG_SG_SG_bbb,"axG",@progbits,_ZN9rocsparseL26csrgemm_fill_block_per_rowILj1024ELj64ELj16384ELj137ELj64Eli21rocsparse_complex_numIdEEEvT5_PKS3_S5_NS_24const_host_device_scalarIT6_EEPKT4_S5_PKS7_SB_S5_SD_S8_SB_S5_SD_SB_PS3_PS7_21rocsparse_index_base_SG_SG_SG_bbb,comdat
	.globl	_ZN9rocsparseL26csrgemm_fill_block_per_rowILj1024ELj64ELj16384ELj137ELj64Eli21rocsparse_complex_numIdEEEvT5_PKS3_S5_NS_24const_host_device_scalarIT6_EEPKT4_S5_PKS7_SB_S5_SD_S8_SB_S5_SD_SB_PS3_PS7_21rocsparse_index_base_SG_SG_SG_bbb ; -- Begin function _ZN9rocsparseL26csrgemm_fill_block_per_rowILj1024ELj64ELj16384ELj137ELj64Eli21rocsparse_complex_numIdEEEvT5_PKS3_S5_NS_24const_host_device_scalarIT6_EEPKT4_S5_PKS7_SB_S5_SD_S8_SB_S5_SD_SB_PS3_PS7_21rocsparse_index_base_SG_SG_SG_bbb
	.p2align	8
	.type	_ZN9rocsparseL26csrgemm_fill_block_per_rowILj1024ELj64ELj16384ELj137ELj64Eli21rocsparse_complex_numIdEEEvT5_PKS3_S5_NS_24const_host_device_scalarIT6_EEPKT4_S5_PKS7_SB_S5_SD_S8_SB_S5_SD_SB_PS3_PS7_21rocsparse_index_base_SG_SG_SG_bbb,@function
_ZN9rocsparseL26csrgemm_fill_block_per_rowILj1024ELj64ELj16384ELj137ELj64Eli21rocsparse_complex_numIdEEEvT5_PKS3_S5_NS_24const_host_device_scalarIT6_EEPKT4_S5_PKS7_SB_S5_SD_S8_SB_S5_SD_SB_PS3_PS7_21rocsparse_index_base_SG_SG_SG_bbb: ; @_ZN9rocsparseL26csrgemm_fill_block_per_rowILj1024ELj64ELj16384ELj137ELj64Eli21rocsparse_complex_numIdEEEvT5_PKS3_S5_NS_24const_host_device_scalarIT6_EEPKT4_S5_PKS7_SB_S5_SD_S8_SB_S5_SD_SB_PS3_PS7_21rocsparse_index_base_SG_SG_SG_bbb
; %bb.0:
	s_clause 0x3
	s_load_b32 s14, s[0:1], 0xa8
	s_load_b128 s[4:7], s[0:1], 0x18
	s_load_b128 s[40:43], s[0:1], 0x58
	;; [unrolled: 1-line block ×3, first 2 shown]
	v_mov_b32_e32 v1, 0
	v_mov_b32_e32 v2, 0
	s_waitcnt lgkmcnt(0)
	s_bitcmp1_b32 s14, 0
	v_mov_b32_e32 v3, s4
	s_cselect_b32 s12, -1, 0
	s_bitcmp1_b32 s14, 16
	v_dual_mov_b32 v6, v2 :: v_dual_mov_b32 v5, v1
	s_cselect_b32 s2, -1, 0
	v_mov_b32_e32 v4, s5
	s_xor_b32 s13, s2, -1
	v_dual_mov_b32 v9, s40 :: v_dual_mov_b32 v10, s41
	v_cndmask_b32_e64 v7, 0, 1, s13
	s_bitcmp0_b32 s14, 0
	s_clause 0x1
	scratch_store_b64 off, v[3:4], off offset:16
	scratch_store_b64 off, v[9:10], off offset:24
	v_cmp_ne_u32_e32 vcc_lo, 1, v7
	v_dual_mov_b32 v8, v2 :: v_dual_mov_b32 v7, v1
	s_cbranch_scc1 .LBB254_3
; %bb.1:
	s_mov_b64 s[8:9], src_private_base
	s_and_b32 s3, s2, exec_lo
	s_cselect_b32 s3, s9, s5
	s_delay_alu instid0(SALU_CYCLE_1) | instskip(SKIP_2) | instid1(VALU_DEP_2)
	v_dual_mov_b32 v3, 16 :: v_dual_mov_b32 v4, s3
	v_dual_mov_b32 v8, s7 :: v_dual_mov_b32 v7, s6
	s_and_b32 vcc_lo, exec_lo, vcc_lo
	v_cndmask_b32_e64 v3, s4, v3, s2
	flat_load_b64 v[5:6], v[3:4]
	s_cbranch_vccnz .LBB254_3
; %bb.2:
	v_dual_mov_b32 v3, s4 :: v_dual_mov_b32 v4, s5
	flat_load_b64 v[7:8], v[3:4] offset:8
.LBB254_3:
	s_clause 0x4
	s_load_b128 s[28:31], s[0:1], 0x88
	s_load_b256 s[16:23], s[0:1], 0x68
	s_load_b128 s[36:39], s[0:1], 0x48
	s_load_b128 s[44:47], s[0:1], 0x8
	s_load_b256 s[4:11], s[0:1], 0x28
	s_bitcmp1_b32 s14, 8
	v_dual_mov_b32 v4, v2 :: v_dual_mov_b32 v3, v1
	s_cselect_b32 s3, -1, 0
	s_bfe_u32 s14, s14, 0x10008
	s_delay_alu instid0(SALU_CYCLE_1)
	s_cmp_eq_u32 s14, 0
	s_cbranch_scc1 .LBB254_6
; %bb.4:
	s_mov_b64 s[34:35], src_private_base
	s_and_b32 s14, s2, exec_lo
	s_cselect_b32 s14, s35, s41
	s_delay_alu instid0(SALU_CYCLE_1) | instskip(SKIP_1) | instid1(VALU_DEP_1)
	v_dual_mov_b32 v1, 24 :: v_dual_mov_b32 v2, s14
	s_and_not1_b32 vcc_lo, exec_lo, s13
	v_cndmask_b32_e64 v1, s40, v1, s2
	flat_load_b64 v[3:4], v[1:2]
	v_dual_mov_b32 v1, s42 :: v_dual_mov_b32 v2, s43
	s_cbranch_vccnz .LBB254_6
; %bb.5:
	v_dual_mov_b32 v1, s40 :: v_dual_mov_b32 v2, s41
	flat_load_b64 v[1:2], v[1:2] offset:8
.LBB254_6:
	s_load_b32 s33, s[0:1], 0x0
	s_mov_b32 s0, 0
	v_or_b32_e32 v25, 0xfffffc00, v0
	v_lshl_add_u32 v26, v0, 2, 0
	s_mov_b32 s1, s0
	s_delay_alu instid0(SALU_CYCLE_1)
	v_dual_mov_b32 v10, s1 :: v_dual_lshlrev_b32 v27, 4, v0
	s_mov_b32 s34, s0
	s_mov_b32 s35, s0
	v_dual_mov_b32 v11, s34 :: v_dual_mov_b32 v14, v26
	v_dual_mov_b32 v9, s0 :: v_dual_mov_b32 v12, s35
	v_add3_u32 v13, v27, 0, 0x10008
	s_waitcnt lgkmcnt(0)
	v_dual_mov_b32 v16, v25 :: v_dual_mov_b32 v15, s33
.LBB254_7:                              ; =>This Inner Loop Header: Depth=1
	s_delay_alu instid0(VALU_DEP_1)
	v_add_nc_u32_e32 v16, 0x400, v16
	ds_store_b32 v14, v15
	v_add_nc_u32_e32 v17, -8, v13
	v_add_nc_u32_e32 v13, 0x4000, v13
	v_add_nc_u32_e32 v14, 0x1000, v14
	v_cmp_lt_u32_e32 vcc_lo, 0x3bff, v16
	ds_store_2addr_b64 v17, v[9:10], v[11:12] offset1:1
	s_or_b32 s0, vcc_lo, s0
	s_delay_alu instid0(SALU_CYCLE_1)
	s_and_not1_b32 exec_lo, exec_lo, s0
	s_cbranch_execnz .LBB254_7
; %bb.8:
	s_or_b32 exec_lo, exec_lo, s0
	s_waitcnt vmcnt(0) lgkmcnt(0)
	s_waitcnt_vscnt null, 0x0
	s_barrier
	buffer_gl0_inv
	s_load_b32 s0, s[44:45], 0x0
	s_mov_b32 s1, 0
	v_lshrrev_b32_e32 v28, 6, v0
	s_waitcnt lgkmcnt(0)
	s_add_i32 s0, s0, s15
	s_delay_alu instid0(SALU_CYCLE_1) | instskip(NEXT) | instid1(SALU_CYCLE_1)
	s_lshl_b64 s[0:1], s[0:1], 2
	s_add_u32 s0, s46, s0
	s_addc_u32 s1, s47, s1
	s_and_b32 vcc_lo, exec_lo, s12
	s_load_b32 s34, s[0:1], 0x0
	s_cbranch_vccz .LBB254_36
; %bb.9:
	s_waitcnt lgkmcnt(0)
	s_ashr_i32 s35, s34, 31
	s_mov_b32 s2, exec_lo
	s_lshl_b64 s[0:1], s[34:35], 3
	s_delay_alu instid0(SALU_CYCLE_1) | instskip(SKIP_3) | instid1(VALU_DEP_1)
	s_add_u32 s0, s4, s0
	s_addc_u32 s1, s5, s1
	s_load_b128 s[12:15], s[0:1], 0x0
	v_sub_co_u32 v9, s0, v28, s24
	v_sub_co_ci_u32_e64 v10, null, 0, 0, s0
	s_waitcnt lgkmcnt(0)
	s_delay_alu instid0(VALU_DEP_2) | instskip(NEXT) | instid1(VALU_DEP_2)
	v_add_co_u32 v9, vcc_lo, s12, v9
	v_add_co_ci_u32_e32 v10, vcc_lo, s13, v10, vcc_lo
	s_sub_u32 s0, s14, s24
	s_subb_u32 s1, s15, 0
	s_delay_alu instid0(VALU_DEP_1) | instid1(SALU_CYCLE_1)
	v_cmpx_gt_i64_e64 s[0:1], v[9:10]
	s_cbranch_execz .LBB254_35
; %bb.10:
	v_and_b32_e32 v11, 63, v0
	s_mov_b32 s5, s25
	s_delay_alu instid0(VALU_DEP_1) | instskip(NEXT) | instid1(VALU_DEP_1)
	v_sub_co_u32 v29, s4, v11, s25
	v_sub_co_ci_u32_e64 v30, null, 0, 0, s4
	s_mov_b32 s4, 0
	s_branch .LBB254_12
.LBB254_11:                             ;   in Loop: Header=BB254_12 Depth=1
	s_or_b32 exec_lo, exec_lo, s12
	v_add_co_u32 v9, vcc_lo, v9, 16
	v_add_co_ci_u32_e32 v10, vcc_lo, 0, v10, vcc_lo
	s_delay_alu instid0(VALU_DEP_1) | instskip(SKIP_1) | instid1(SALU_CYCLE_1)
	v_cmp_le_i64_e32 vcc_lo, s[0:1], v[9:10]
	s_or_b32 s4, vcc_lo, s4
	s_and_not1_b32 exec_lo, exec_lo, s4
	s_cbranch_execz .LBB254_35
.LBB254_12:                             ; =>This Loop Header: Depth=1
                                        ;     Child Loop BB254_15 Depth 2
                                        ;       Child Loop BB254_17 Depth 3
                                        ;         Child Loop BB254_23 Depth 4
                                        ;         Child Loop BB254_25 Depth 4
	;; [unrolled: 1-line block ×4, first 2 shown]
	v_lshlrev_b64 v[11:12], 2, v[9:10]
	s_mov_b32 s12, exec_lo
	s_delay_alu instid0(VALU_DEP_1) | instskip(NEXT) | instid1(VALU_DEP_2)
	v_add_co_u32 v11, vcc_lo, s6, v11
	v_add_co_ci_u32_e32 v12, vcc_lo, s7, v12, vcc_lo
	global_load_b32 v11, v[11:12], off
	s_waitcnt vmcnt(0)
	v_subrev_nc_u32_e32 v11, s24, v11
	s_delay_alu instid0(VALU_DEP_1) | instskip(NEXT) | instid1(VALU_DEP_1)
	v_ashrrev_i32_e32 v12, 31, v11
	v_lshlrev_b64 v[11:12], 3, v[11:12]
	s_delay_alu instid0(VALU_DEP_1) | instskip(NEXT) | instid1(VALU_DEP_2)
	v_add_co_u32 v11, vcc_lo, s10, v11
	v_add_co_ci_u32_e32 v12, vcc_lo, s11, v12, vcc_lo
	global_load_b128 v[13:16], v[11:12], off
	s_waitcnt vmcnt(0)
	v_sub_co_u32 v11, vcc_lo, v15, s5
	v_subrev_co_ci_u32_e32 v12, vcc_lo, 0, v16, vcc_lo
	v_add_co_u32 v13, vcc_lo, v13, v29
	v_add_co_ci_u32_e32 v14, vcc_lo, v14, v30, vcc_lo
	s_delay_alu instid0(VALU_DEP_1)
	v_cmpx_lt_i64_e64 v[13:14], v[11:12]
	s_cbranch_execz .LBB254_11
; %bb.13:                               ;   in Loop: Header=BB254_12 Depth=1
	v_lshlrev_b64 v[15:16], 4, v[9:10]
	s_mov_b32 s13, 0
	s_delay_alu instid0(VALU_DEP_1) | instskip(NEXT) | instid1(VALU_DEP_2)
	v_add_co_u32 v15, vcc_lo, s8, v15
	v_add_co_ci_u32_e32 v16, vcc_lo, s9, v16, vcc_lo
	global_load_b128 v[17:20], v[15:16], off
	s_waitcnt vmcnt(0)
	v_mul_f64 v[15:16], v[19:20], -v[7:8]
	v_mul_f64 v[19:20], v[5:6], v[19:20]
	s_delay_alu instid0(VALU_DEP_2) | instskip(NEXT) | instid1(VALU_DEP_2)
	v_fma_f64 v[15:16], v[5:6], v[17:18], v[15:16]
	v_fma_f64 v[17:18], v[7:8], v[17:18], v[19:20]
	s_branch .LBB254_15
.LBB254_14:                             ;   in Loop: Header=BB254_15 Depth=2
	s_or_b32 exec_lo, exec_lo, s14
	v_add_co_u32 v13, vcc_lo, v13, 64
	v_add_co_ci_u32_e32 v14, vcc_lo, 0, v14, vcc_lo
	s_delay_alu instid0(VALU_DEP_1) | instskip(SKIP_1) | instid1(SALU_CYCLE_1)
	v_cmp_ge_i64_e32 vcc_lo, v[13:14], v[11:12]
	s_or_b32 s13, vcc_lo, s13
	s_and_not1_b32 exec_lo, exec_lo, s13
	s_cbranch_execz .LBB254_11
.LBB254_15:                             ;   Parent Loop BB254_12 Depth=1
                                        ; =>  This Loop Header: Depth=2
                                        ;       Child Loop BB254_17 Depth 3
                                        ;         Child Loop BB254_23 Depth 4
                                        ;         Child Loop BB254_25 Depth 4
	;; [unrolled: 1-line block ×4, first 2 shown]
	v_lshlrev_b64 v[19:20], 4, v[13:14]
	s_mov_b32 s14, 0
	s_delay_alu instid0(VALU_DEP_1) | instskip(NEXT) | instid1(VALU_DEP_2)
	v_add_co_u32 v19, vcc_lo, s38, v19
	v_add_co_ci_u32_e32 v20, vcc_lo, s39, v20, vcc_lo
	global_load_b128 v[21:24], v[19:20], off
	v_lshlrev_b64 v[19:20], 2, v[13:14]
	s_delay_alu instid0(VALU_DEP_1) | instskip(NEXT) | instid1(VALU_DEP_2)
	v_add_co_u32 v19, vcc_lo, s36, v19
	v_add_co_ci_u32_e32 v20, vcc_lo, s37, v20, vcc_lo
	global_load_b32 v31, v[19:20], off
	s_waitcnt vmcnt(1)
	v_mul_f64 v[19:20], v[23:24], -v[17:18]
	v_mul_f64 v[23:24], v[15:16], v[23:24]
	s_waitcnt vmcnt(0)
	v_subrev_nc_u32_e32 v31, s25, v31
	s_delay_alu instid0(VALU_DEP_3) | instskip(NEXT) | instid1(VALU_DEP_3)
	v_fma_f64 v[19:20], v[15:16], v[21:22], v[19:20]
	v_fma_f64 v[21:22], v[17:18], v[21:22], v[23:24]
	s_delay_alu instid0(VALU_DEP_3) | instskip(NEXT) | instid1(VALU_DEP_1)
	v_mul_lo_u32 v23, 0x89, v31
	v_and_b32_e32 v32, 0x3fff, v23
	s_branch .LBB254_17
.LBB254_16:                             ;   in Loop: Header=BB254_17 Depth=3
	s_or_b32 exec_lo, exec_lo, s15
	s_xor_b32 s15, s35, -1
	s_delay_alu instid0(SALU_CYCLE_1) | instskip(NEXT) | instid1(SALU_CYCLE_1)
	s_and_b32 s15, exec_lo, s15
	s_or_b32 s14, s15, s14
	s_delay_alu instid0(SALU_CYCLE_1)
	s_and_not1_b32 exec_lo, exec_lo, s14
	s_cbranch_execz .LBB254_14
.LBB254_17:                             ;   Parent Loop BB254_12 Depth=1
                                        ;     Parent Loop BB254_15 Depth=2
                                        ; =>    This Loop Header: Depth=3
                                        ;         Child Loop BB254_23 Depth 4
                                        ;         Child Loop BB254_25 Depth 4
	;; [unrolled: 1-line block ×4, first 2 shown]
	s_delay_alu instid0(VALU_DEP_1)
	v_lshl_add_u32 v23, v32, 2, 0
	s_mov_b32 s15, exec_lo
                                        ; implicit-def: $sgpr35
	ds_load_b32 v24, v23
	s_waitcnt lgkmcnt(0)
	v_cmpx_ne_u32_e64 v24, v31
	s_xor_b32 s15, exec_lo, s15
	s_cbranch_execz .LBB254_29
; %bb.18:                               ;   in Loop: Header=BB254_17 Depth=3
	s_mov_b32 s40, exec_lo
                                        ; implicit-def: $sgpr35
	v_cmpx_ne_u32_e64 s33, v24
	s_xor_b32 s40, exec_lo, s40
; %bb.19:                               ;   in Loop: Header=BB254_17 Depth=3
	v_add_nc_u32_e32 v23, 1, v32
	s_mov_b32 s35, -1
	s_delay_alu instid0(VALU_DEP_1)
	v_and_b32_e32 v32, 0x3fff, v23
                                        ; implicit-def: $vgpr23
; %bb.20:                               ;   in Loop: Header=BB254_17 Depth=3
	s_and_not1_saveexec_b32 s40, s40
	s_cbranch_execz .LBB254_28
; %bb.21:                               ;   in Loop: Header=BB254_17 Depth=3
	v_mov_b32_e32 v24, s33
	s_mov_b32 s42, -1
	s_mov_b32 s41, exec_lo
	ds_cmpstore_rtn_b32 v23, v23, v31, v24
	s_waitcnt lgkmcnt(0)
	v_cmpx_eq_u32_e64 s33, v23
	s_cbranch_execz .LBB254_27
; %bb.22:                               ;   in Loop: Header=BB254_17 Depth=3
	v_lshlrev_b32_e32 v23, 4, v32
	s_mov_b32 s42, 0
	s_delay_alu instid0(VALU_DEP_1)
	v_add3_u32 v33, 0, v23, 0x10000
	ds_load_b64 v[23:24], v33
.LBB254_23:                             ;   Parent Loop BB254_12 Depth=1
                                        ;     Parent Loop BB254_15 Depth=2
                                        ;       Parent Loop BB254_17 Depth=3
                                        ; =>      This Inner Loop Header: Depth=4
	s_waitcnt lgkmcnt(0)
	v_add_f64 v[34:35], v[23:24], v[19:20]
	ds_cmpstore_rtn_b64 v[34:35], v33, v[34:35], v[23:24]
	s_waitcnt lgkmcnt(0)
	v_cmp_eq_u64_e32 vcc_lo, v[34:35], v[23:24]
	v_dual_mov_b32 v23, v34 :: v_dual_mov_b32 v24, v35
	s_or_b32 s42, vcc_lo, s42
	s_delay_alu instid0(SALU_CYCLE_1)
	s_and_not1_b32 exec_lo, exec_lo, s42
	s_cbranch_execnz .LBB254_23
; %bb.24:                               ;   in Loop: Header=BB254_17 Depth=3
	s_or_b32 exec_lo, exec_lo, s42
	ds_load_b64 v[23:24], v33 offset:8
	s_mov_b32 s42, 0
.LBB254_25:                             ;   Parent Loop BB254_12 Depth=1
                                        ;     Parent Loop BB254_15 Depth=2
                                        ;       Parent Loop BB254_17 Depth=3
                                        ; =>      This Inner Loop Header: Depth=4
	s_waitcnt lgkmcnt(0)
	v_add_f64 v[34:35], v[23:24], v[21:22]
	ds_cmpstore_rtn_b64 v[34:35], v33, v[34:35], v[23:24] offset:8
	s_waitcnt lgkmcnt(0)
	v_cmp_eq_u64_e32 vcc_lo, v[34:35], v[23:24]
	v_dual_mov_b32 v23, v34 :: v_dual_mov_b32 v24, v35
	s_or_b32 s42, vcc_lo, s42
	s_delay_alu instid0(SALU_CYCLE_1)
	s_and_not1_b32 exec_lo, exec_lo, s42
	s_cbranch_execnz .LBB254_25
; %bb.26:                               ;   in Loop: Header=BB254_17 Depth=3
	s_or_b32 exec_lo, exec_lo, s42
	s_delay_alu instid0(SALU_CYCLE_1)
	s_xor_b32 s42, exec_lo, -1
.LBB254_27:                             ;   in Loop: Header=BB254_17 Depth=3
	s_or_b32 exec_lo, exec_lo, s41
	s_delay_alu instid0(SALU_CYCLE_1) | instskip(SKIP_1) | instid1(SALU_CYCLE_1)
	s_and_not1_b32 s35, s35, exec_lo
	s_and_b32 s41, s42, exec_lo
	s_or_b32 s35, s35, s41
.LBB254_28:                             ;   in Loop: Header=BB254_17 Depth=3
	s_or_b32 exec_lo, exec_lo, s40
	s_delay_alu instid0(SALU_CYCLE_1)
	s_and_b32 s35, s35, exec_lo
.LBB254_29:                             ;   in Loop: Header=BB254_17 Depth=3
	s_and_not1_saveexec_b32 s15, s15
	s_cbranch_execz .LBB254_16
; %bb.30:                               ;   in Loop: Header=BB254_17 Depth=3
	v_lshlrev_b32_e32 v23, 4, v32
	s_mov_b32 s40, 0
	s_delay_alu instid0(VALU_DEP_1)
	v_add3_u32 v33, 0, v23, 0x10000
	ds_load_b64 v[23:24], v33
.LBB254_31:                             ;   Parent Loop BB254_12 Depth=1
                                        ;     Parent Loop BB254_15 Depth=2
                                        ;       Parent Loop BB254_17 Depth=3
                                        ; =>      This Inner Loop Header: Depth=4
	s_waitcnt lgkmcnt(0)
	v_add_f64 v[34:35], v[23:24], v[19:20]
	ds_cmpstore_rtn_b64 v[34:35], v33, v[34:35], v[23:24]
	s_waitcnt lgkmcnt(0)
	v_cmp_eq_u64_e32 vcc_lo, v[34:35], v[23:24]
	v_dual_mov_b32 v23, v34 :: v_dual_mov_b32 v24, v35
	s_or_b32 s40, vcc_lo, s40
	s_delay_alu instid0(SALU_CYCLE_1)
	s_and_not1_b32 exec_lo, exec_lo, s40
	s_cbranch_execnz .LBB254_31
; %bb.32:                               ;   in Loop: Header=BB254_17 Depth=3
	s_or_b32 exec_lo, exec_lo, s40
	ds_load_b64 v[23:24], v33 offset:8
	s_mov_b32 s40, 0
.LBB254_33:                             ;   Parent Loop BB254_12 Depth=1
                                        ;     Parent Loop BB254_15 Depth=2
                                        ;       Parent Loop BB254_17 Depth=3
                                        ; =>      This Inner Loop Header: Depth=4
	s_waitcnt lgkmcnt(0)
	v_add_f64 v[34:35], v[23:24], v[21:22]
	ds_cmpstore_rtn_b64 v[34:35], v33, v[34:35], v[23:24] offset:8
	s_waitcnt lgkmcnt(0)
	v_cmp_eq_u64_e32 vcc_lo, v[34:35], v[23:24]
	v_dual_mov_b32 v23, v34 :: v_dual_mov_b32 v24, v35
	s_or_b32 s40, vcc_lo, s40
	s_delay_alu instid0(SALU_CYCLE_1)
	s_and_not1_b32 exec_lo, exec_lo, s40
	s_cbranch_execnz .LBB254_33
; %bb.34:                               ;   in Loop: Header=BB254_17 Depth=3
	s_or_b32 exec_lo, exec_lo, s40
	s_delay_alu instid0(SALU_CYCLE_1)
	s_and_not1_b32 s35, s35, exec_lo
	s_branch .LBB254_16
.LBB254_35:
	s_or_b32 exec_lo, exec_lo, s2
.LBB254_36:
	s_delay_alu instid0(SALU_CYCLE_1)
	s_and_not1_b32 vcc_lo, exec_lo, s3
	s_cbranch_vccnz .LBB254_39
; %bb.37:
	s_waitcnt lgkmcnt(0)
	s_ashr_i32 s35, s34, 31
	v_sub_co_u32 v5, s4, v0, s27
	s_lshl_b64 s[0:1], s[34:35], 3
	v_sub_co_ci_u32_e64 v6, null, 0, 0, s4
	s_add_u32 s0, s16, s0
	s_addc_u32 s1, s17, s1
	s_load_b128 s[0:3], s[0:1], 0x0
	s_waitcnt lgkmcnt(0)
	v_add_co_u32 v5, vcc_lo, s0, v5
	v_add_co_ci_u32_e32 v6, vcc_lo, s1, v6, vcc_lo
	s_sub_u32 s0, s2, s27
	s_subb_u32 s1, s3, 0
	s_mov_b32 s3, 0
	s_mov_b32 s2, exec_lo
	v_cmpx_gt_i64_e64 s[0:1], v[5:6]
	s_cbranch_execnz .LBB254_76
.LBB254_38:
	s_or_b32 exec_lo, exec_lo, s2
.LBB254_39:
	v_mbcnt_lo_u32_b32 v1, -1, 0
	s_add_i32 s38, 0, 0x5003c
	s_delay_alu instid0(SALU_CYCLE_1) | instskip(SKIP_1) | instid1(VALU_DEP_3)
	v_dual_mov_b32 v5, s38 :: v_dual_lshlrev_b32 v2, 2, v28
	v_cmp_eq_u32_e32 vcc_lo, 0x3ff, v0
	v_xor_b32_e32 v1, 63, v1
	v_cmp_lt_u32_e64 s0, 63, v0
	s_delay_alu instid0(VALU_DEP_4)
	v_add3_u32 v3, 0, 0x50000, v2
	v_cmp_lt_u32_e64 s1, 0x7f, v0
	v_cmp_lt_u32_e64 s2, 0xbf, v0
	v_lshrrev_b64 v[1:2], v1, -1
	v_cmp_lt_u32_e64 s3, 0xff, v0
	v_cmp_lt_u32_e64 s4, 0x13f, v0
	;; [unrolled: 1-line block ×12, first 2 shown]
	v_add3_u32 v2, v27, 0, 0x10000
	v_mov_b32_e32 v4, 0
	s_mov_b32 s16, 0
	s_add_i32 s17, 0, 0x50000
	s_add_i32 s18, 0, 0x50004
	;; [unrolled: 1-line block ×15, first 2 shown]
	s_waitcnt lgkmcnt(0)
	s_barrier
	buffer_gl0_inv
	s_branch .LBB254_41
.LBB254_40:                             ;   in Loop: Header=BB254_41 Depth=1
	s_or_b32 exec_lo, exec_lo, s15
	s_waitcnt lgkmcnt(0)
	s_barrier
	buffer_gl0_inv
	ds_load_b32 v6, v5
	v_add_nc_u32_e32 v25, 0x400, v25
	v_add_nc_u32_e32 v2, 0x4000, v2
	v_add_nc_u32_e32 v26, 0x1000, v26
	s_delay_alu instid0(VALU_DEP_3) | instskip(NEXT) | instid1(VALU_DEP_1)
	v_cmp_lt_u32_e64 s15, 0x3bff, v25
	s_or_b32 s16, s15, s16
	s_waitcnt lgkmcnt(0)
	v_add_nc_u32_e32 v4, v6, v4
	s_and_not1_b32 exec_lo, exec_lo, s16
	s_cbranch_execz .LBB254_96
.LBB254_41:                             ; =>This Inner Loop Header: Depth=1
	ds_load_b32 v6, v26
	ds_load_2addr_b64 v[7:10], v2 offset1:1
	s_waitcnt lgkmcnt(1)
	v_cmp_gt_i32_e64 s15, s33, v6
	s_waitcnt lgkmcnt(0)
	scratch_store_b128 off, v[7:10], off
	s_waitcnt_vscnt null, 0x0
	s_barrier
	buffer_gl0_inv
	s_bcnt1_i32_b32 s43, s15
	s_delay_alu instid0(SALU_CYCLE_1) | instskip(NEXT) | instid1(VALU_DEP_1)
	v_dual_mov_b32 v8, s43 :: v_dual_and_b32 v7, s15, v1
	v_bcnt_u32_b32 v7, v7, 0
	ds_store_b32 v3, v8
	s_waitcnt lgkmcnt(0)
	s_barrier
	buffer_gl0_inv
	s_and_saveexec_b32 s43, s0
	s_cbranch_execnz .LBB254_58
; %bb.42:                               ;   in Loop: Header=BB254_41 Depth=1
	s_or_b32 exec_lo, exec_lo, s43
	s_and_saveexec_b32 s43, s1
	s_cbranch_execnz .LBB254_59
.LBB254_43:                             ;   in Loop: Header=BB254_41 Depth=1
	s_or_b32 exec_lo, exec_lo, s43
	s_and_saveexec_b32 s43, s2
	s_cbranch_execnz .LBB254_60
.LBB254_44:                             ;   in Loop: Header=BB254_41 Depth=1
	s_or_b32 exec_lo, exec_lo, s43
	s_and_saveexec_b32 s43, s3
	s_cbranch_execnz .LBB254_61
.LBB254_45:                             ;   in Loop: Header=BB254_41 Depth=1
	s_or_b32 exec_lo, exec_lo, s43
	s_and_saveexec_b32 s43, s4
	s_cbranch_execnz .LBB254_62
.LBB254_46:                             ;   in Loop: Header=BB254_41 Depth=1
	s_or_b32 exec_lo, exec_lo, s43
	s_and_saveexec_b32 s43, s5
	s_cbranch_execnz .LBB254_63
.LBB254_47:                             ;   in Loop: Header=BB254_41 Depth=1
	s_or_b32 exec_lo, exec_lo, s43
	s_and_saveexec_b32 s43, s6
	s_cbranch_execnz .LBB254_64
.LBB254_48:                             ;   in Loop: Header=BB254_41 Depth=1
	s_or_b32 exec_lo, exec_lo, s43
	s_and_saveexec_b32 s43, s7
	s_cbranch_execnz .LBB254_65
.LBB254_49:                             ;   in Loop: Header=BB254_41 Depth=1
	s_or_b32 exec_lo, exec_lo, s43
	s_and_saveexec_b32 s43, s8
	s_cbranch_execnz .LBB254_66
.LBB254_50:                             ;   in Loop: Header=BB254_41 Depth=1
	s_or_b32 exec_lo, exec_lo, s43
	s_and_saveexec_b32 s43, s9
	s_cbranch_execnz .LBB254_67
.LBB254_51:                             ;   in Loop: Header=BB254_41 Depth=1
	s_or_b32 exec_lo, exec_lo, s43
	s_and_saveexec_b32 s43, s10
	s_cbranch_execnz .LBB254_68
.LBB254_52:                             ;   in Loop: Header=BB254_41 Depth=1
	s_or_b32 exec_lo, exec_lo, s43
	s_and_saveexec_b32 s43, s11
	s_cbranch_execnz .LBB254_69
.LBB254_53:                             ;   in Loop: Header=BB254_41 Depth=1
	s_or_b32 exec_lo, exec_lo, s43
	s_and_saveexec_b32 s43, s12
	s_cbranch_execnz .LBB254_70
.LBB254_54:                             ;   in Loop: Header=BB254_41 Depth=1
	s_or_b32 exec_lo, exec_lo, s43
	s_and_saveexec_b32 s43, s13
	s_cbranch_execnz .LBB254_71
.LBB254_55:                             ;   in Loop: Header=BB254_41 Depth=1
	s_or_b32 exec_lo, exec_lo, s43
	s_and_saveexec_b32 s43, s14
	s_cbranch_execnz .LBB254_72
.LBB254_56:                             ;   in Loop: Header=BB254_41 Depth=1
	s_or_b32 exec_lo, exec_lo, s43
	s_and_saveexec_b32 s43, s15
	s_cbranch_execnz .LBB254_73
.LBB254_57:                             ;   in Loop: Header=BB254_41 Depth=1
	s_or_b32 exec_lo, exec_lo, s43
	s_and_saveexec_b32 s15, vcc_lo
	s_cbranch_execz .LBB254_40
	s_branch .LBB254_74
.LBB254_58:                             ;   in Loop: Header=BB254_41 Depth=1
	v_mov_b32_e32 v8, s17
	ds_load_b32 v8, v8
	s_waitcnt lgkmcnt(0)
	v_add_nc_u32_e32 v7, v8, v7
	s_or_b32 exec_lo, exec_lo, s43
	s_and_saveexec_b32 s43, s1
	s_cbranch_execz .LBB254_43
.LBB254_59:                             ;   in Loop: Header=BB254_41 Depth=1
	v_mov_b32_e32 v8, s18
	ds_load_b32 v8, v8
	s_waitcnt lgkmcnt(0)
	v_add_nc_u32_e32 v7, v8, v7
	s_or_b32 exec_lo, exec_lo, s43
	s_and_saveexec_b32 s43, s2
	s_cbranch_execz .LBB254_44
.LBB254_60:                             ;   in Loop: Header=BB254_41 Depth=1
	v_mov_b32_e32 v8, s19
	ds_load_b32 v8, v8
	s_waitcnt lgkmcnt(0)
	v_add_nc_u32_e32 v7, v8, v7
	s_or_b32 exec_lo, exec_lo, s43
	s_and_saveexec_b32 s43, s3
	s_cbranch_execz .LBB254_45
.LBB254_61:                             ;   in Loop: Header=BB254_41 Depth=1
	v_mov_b32_e32 v8, s20
	ds_load_b32 v8, v8
	s_waitcnt lgkmcnt(0)
	v_add_nc_u32_e32 v7, v8, v7
	s_or_b32 exec_lo, exec_lo, s43
	s_and_saveexec_b32 s43, s4
	s_cbranch_execz .LBB254_46
.LBB254_62:                             ;   in Loop: Header=BB254_41 Depth=1
	v_mov_b32_e32 v8, s21
	ds_load_b32 v8, v8
	s_waitcnt lgkmcnt(0)
	v_add_nc_u32_e32 v7, v8, v7
	s_or_b32 exec_lo, exec_lo, s43
	s_and_saveexec_b32 s43, s5
	s_cbranch_execz .LBB254_47
.LBB254_63:                             ;   in Loop: Header=BB254_41 Depth=1
	v_mov_b32_e32 v8, s24
	ds_load_b32 v8, v8
	s_waitcnt lgkmcnt(0)
	v_add_nc_u32_e32 v7, v8, v7
	s_or_b32 exec_lo, exec_lo, s43
	s_and_saveexec_b32 s43, s6
	s_cbranch_execz .LBB254_48
.LBB254_64:                             ;   in Loop: Header=BB254_41 Depth=1
	v_mov_b32_e32 v8, s25
	ds_load_b32 v8, v8
	s_waitcnt lgkmcnt(0)
	v_add_nc_u32_e32 v7, v8, v7
	s_or_b32 exec_lo, exec_lo, s43
	s_and_saveexec_b32 s43, s7
	s_cbranch_execz .LBB254_49
.LBB254_65:                             ;   in Loop: Header=BB254_41 Depth=1
	v_mov_b32_e32 v8, s27
	ds_load_b32 v8, v8
	s_waitcnt lgkmcnt(0)
	v_add_nc_u32_e32 v7, v8, v7
	s_or_b32 exec_lo, exec_lo, s43
	s_and_saveexec_b32 s43, s8
	s_cbranch_execz .LBB254_50
.LBB254_66:                             ;   in Loop: Header=BB254_41 Depth=1
	v_mov_b32_e32 v8, s35
	ds_load_b32 v8, v8
	s_waitcnt lgkmcnt(0)
	v_add_nc_u32_e32 v7, v8, v7
	s_or_b32 exec_lo, exec_lo, s43
	s_and_saveexec_b32 s43, s9
	s_cbranch_execz .LBB254_51
.LBB254_67:                             ;   in Loop: Header=BB254_41 Depth=1
	v_mov_b32_e32 v8, s36
	ds_load_b32 v8, v8
	s_waitcnt lgkmcnt(0)
	v_add_nc_u32_e32 v7, v8, v7
	s_or_b32 exec_lo, exec_lo, s43
	s_and_saveexec_b32 s43, s10
	s_cbranch_execz .LBB254_52
.LBB254_68:                             ;   in Loop: Header=BB254_41 Depth=1
	v_mov_b32_e32 v8, s37
	ds_load_b32 v8, v8
	s_waitcnt lgkmcnt(0)
	v_add_nc_u32_e32 v7, v8, v7
	s_or_b32 exec_lo, exec_lo, s43
	s_and_saveexec_b32 s43, s11
	s_cbranch_execz .LBB254_53
.LBB254_69:                             ;   in Loop: Header=BB254_41 Depth=1
	v_mov_b32_e32 v8, s39
	ds_load_b32 v8, v8
	s_waitcnt lgkmcnt(0)
	v_add_nc_u32_e32 v7, v8, v7
	s_or_b32 exec_lo, exec_lo, s43
	s_and_saveexec_b32 s43, s12
	s_cbranch_execz .LBB254_54
.LBB254_70:                             ;   in Loop: Header=BB254_41 Depth=1
	v_mov_b32_e32 v8, s40
	ds_load_b32 v8, v8
	s_waitcnt lgkmcnt(0)
	v_add_nc_u32_e32 v7, v8, v7
	s_or_b32 exec_lo, exec_lo, s43
	s_and_saveexec_b32 s43, s13
	s_cbranch_execz .LBB254_55
.LBB254_71:                             ;   in Loop: Header=BB254_41 Depth=1
	v_mov_b32_e32 v8, s41
	ds_load_b32 v8, v8
	s_waitcnt lgkmcnt(0)
	v_add_nc_u32_e32 v7, v8, v7
	s_or_b32 exec_lo, exec_lo, s43
	s_and_saveexec_b32 s43, s14
	s_cbranch_execz .LBB254_56
.LBB254_72:                             ;   in Loop: Header=BB254_41 Depth=1
	v_mov_b32_e32 v8, s42
	ds_load_b32 v8, v8
	s_waitcnt lgkmcnt(0)
	v_add_nc_u32_e32 v7, v8, v7
	s_or_b32 exec_lo, exec_lo, s43
	s_and_saveexec_b32 s43, s15
	s_cbranch_execz .LBB254_57
.LBB254_73:                             ;   in Loop: Header=BB254_41 Depth=1
	scratch_load_b128 v[8:11], off, off
	v_add3_u32 v12, v4, -1, v7
	s_delay_alu instid0(VALU_DEP_1) | instskip(SKIP_1) | instid1(VALU_DEP_2)
	v_lshlrev_b32_e32 v13, 4, v12
	v_lshl_add_u32 v12, v12, 2, 0
	v_add3_u32 v13, 0, v13, 0x10000
	ds_store_b32 v12, v6
	s_waitcnt vmcnt(0)
	ds_store_2addr_b64 v13, v[8:9], v[10:11] offset1:1
	s_or_b32 exec_lo, exec_lo, s43
	s_and_saveexec_b32 s15, vcc_lo
	s_cbranch_execz .LBB254_40
.LBB254_74:                             ;   in Loop: Header=BB254_41 Depth=1
	v_mov_b32_e32 v6, s38
	ds_store_b32 v6, v7
	s_branch .LBB254_40
.LBB254_75:                             ;   in Loop: Header=BB254_76 Depth=1
	s_or_b32 exec_lo, exec_lo, s4
	v_add_co_u32 v5, vcc_lo, 0x400, v5
	v_add_co_ci_u32_e32 v6, vcc_lo, 0, v6, vcc_lo
	s_delay_alu instid0(VALU_DEP_1) | instskip(SKIP_1) | instid1(SALU_CYCLE_1)
	v_cmp_le_i64_e32 vcc_lo, s[0:1], v[5:6]
	s_or_b32 s3, vcc_lo, s3
	s_and_not1_b32 exec_lo, exec_lo, s3
	s_cbranch_execz .LBB254_38
.LBB254_76:                             ; =>This Loop Header: Depth=1
                                        ;     Child Loop BB254_78 Depth 2
                                        ;       Child Loop BB254_84 Depth 3
                                        ;       Child Loop BB254_86 Depth 3
	;; [unrolled: 1-line block ×4, first 2 shown]
	v_lshlrev_b64 v[7:8], 4, v[5:6]
	s_mov_b32 s4, 0
	s_delay_alu instid0(VALU_DEP_1) | instskip(NEXT) | instid1(VALU_DEP_2)
	v_add_co_u32 v7, vcc_lo, s20, v7
	v_add_co_ci_u32_e32 v8, vcc_lo, s21, v8, vcc_lo
	global_load_b128 v[9:12], v[7:8], off
	v_lshlrev_b64 v[7:8], 2, v[5:6]
	s_delay_alu instid0(VALU_DEP_1) | instskip(NEXT) | instid1(VALU_DEP_2)
	v_add_co_u32 v7, vcc_lo, s18, v7
	v_add_co_ci_u32_e32 v8, vcc_lo, s19, v8, vcc_lo
	global_load_b32 v13, v[7:8], off
	s_waitcnt vmcnt(1)
	v_mul_f64 v[7:8], v[11:12], -v[1:2]
	v_mul_f64 v[11:12], v[3:4], v[11:12]
	s_waitcnt vmcnt(0)
	v_subrev_nc_u32_e32 v13, s27, v13
	s_delay_alu instid0(VALU_DEP_3) | instskip(NEXT) | instid1(VALU_DEP_3)
	v_fma_f64 v[7:8], v[3:4], v[9:10], v[7:8]
	v_fma_f64 v[9:10], v[1:2], v[9:10], v[11:12]
	s_delay_alu instid0(VALU_DEP_3) | instskip(NEXT) | instid1(VALU_DEP_1)
	v_mul_lo_u32 v11, 0x89, v13
	v_and_b32_e32 v14, 0x3fff, v11
	s_branch .LBB254_78
.LBB254_77:                             ;   in Loop: Header=BB254_78 Depth=2
	s_or_b32 exec_lo, exec_lo, s5
	s_xor_b32 s5, s6, -1
	s_delay_alu instid0(SALU_CYCLE_1) | instskip(NEXT) | instid1(SALU_CYCLE_1)
	s_and_b32 s5, exec_lo, s5
	s_or_b32 s4, s5, s4
	s_delay_alu instid0(SALU_CYCLE_1)
	s_and_not1_b32 exec_lo, exec_lo, s4
	s_cbranch_execz .LBB254_75
.LBB254_78:                             ;   Parent Loop BB254_76 Depth=1
                                        ; =>  This Loop Header: Depth=2
                                        ;       Child Loop BB254_84 Depth 3
                                        ;       Child Loop BB254_86 Depth 3
	;; [unrolled: 1-line block ×4, first 2 shown]
	s_delay_alu instid0(VALU_DEP_1)
	v_lshl_add_u32 v11, v14, 2, 0
	s_mov_b32 s5, exec_lo
                                        ; implicit-def: $sgpr6
	ds_load_b32 v12, v11
	s_waitcnt lgkmcnt(0)
	v_cmpx_ne_u32_e64 v12, v13
	s_xor_b32 s5, exec_lo, s5
	s_cbranch_execz .LBB254_90
; %bb.79:                               ;   in Loop: Header=BB254_78 Depth=2
	s_mov_b32 s7, exec_lo
                                        ; implicit-def: $sgpr6
	v_cmpx_ne_u32_e64 s33, v12
	s_xor_b32 s7, exec_lo, s7
; %bb.80:                               ;   in Loop: Header=BB254_78 Depth=2
	v_add_nc_u32_e32 v11, 1, v14
	s_mov_b32 s6, -1
	s_delay_alu instid0(VALU_DEP_1)
	v_and_b32_e32 v14, 0x3fff, v11
                                        ; implicit-def: $vgpr11
; %bb.81:                               ;   in Loop: Header=BB254_78 Depth=2
	s_and_not1_saveexec_b32 s7, s7
	s_cbranch_execz .LBB254_89
; %bb.82:                               ;   in Loop: Header=BB254_78 Depth=2
	v_mov_b32_e32 v12, s33
	s_mov_b32 s9, -1
	s_mov_b32 s8, exec_lo
	ds_cmpstore_rtn_b32 v11, v11, v13, v12
	s_waitcnt lgkmcnt(0)
	v_cmpx_eq_u32_e64 s33, v11
	s_cbranch_execz .LBB254_88
; %bb.83:                               ;   in Loop: Header=BB254_78 Depth=2
	v_lshlrev_b32_e32 v11, 4, v14
	s_mov_b32 s9, 0
	s_delay_alu instid0(VALU_DEP_1)
	v_add3_u32 v15, 0, v11, 0x10000
	ds_load_b64 v[11:12], v15
.LBB254_84:                             ;   Parent Loop BB254_76 Depth=1
                                        ;     Parent Loop BB254_78 Depth=2
                                        ; =>    This Inner Loop Header: Depth=3
	s_waitcnt lgkmcnt(0)
	v_add_f64 v[16:17], v[11:12], v[7:8]
	ds_cmpstore_rtn_b64 v[16:17], v15, v[16:17], v[11:12]
	s_waitcnt lgkmcnt(0)
	v_cmp_eq_u64_e32 vcc_lo, v[16:17], v[11:12]
	v_dual_mov_b32 v11, v16 :: v_dual_mov_b32 v12, v17
	s_or_b32 s9, vcc_lo, s9
	s_delay_alu instid0(SALU_CYCLE_1)
	s_and_not1_b32 exec_lo, exec_lo, s9
	s_cbranch_execnz .LBB254_84
; %bb.85:                               ;   in Loop: Header=BB254_78 Depth=2
	s_or_b32 exec_lo, exec_lo, s9
	ds_load_b64 v[11:12], v15 offset:8
	s_mov_b32 s9, 0
.LBB254_86:                             ;   Parent Loop BB254_76 Depth=1
                                        ;     Parent Loop BB254_78 Depth=2
                                        ; =>    This Inner Loop Header: Depth=3
	s_waitcnt lgkmcnt(0)
	v_add_f64 v[16:17], v[11:12], v[9:10]
	ds_cmpstore_rtn_b64 v[16:17], v15, v[16:17], v[11:12] offset:8
	s_waitcnt lgkmcnt(0)
	v_cmp_eq_u64_e32 vcc_lo, v[16:17], v[11:12]
	v_dual_mov_b32 v11, v16 :: v_dual_mov_b32 v12, v17
	s_or_b32 s9, vcc_lo, s9
	s_delay_alu instid0(SALU_CYCLE_1)
	s_and_not1_b32 exec_lo, exec_lo, s9
	s_cbranch_execnz .LBB254_86
; %bb.87:                               ;   in Loop: Header=BB254_78 Depth=2
	s_or_b32 exec_lo, exec_lo, s9
	s_delay_alu instid0(SALU_CYCLE_1)
	s_xor_b32 s9, exec_lo, -1
.LBB254_88:                             ;   in Loop: Header=BB254_78 Depth=2
	s_or_b32 exec_lo, exec_lo, s8
	s_delay_alu instid0(SALU_CYCLE_1) | instskip(SKIP_1) | instid1(SALU_CYCLE_1)
	s_and_not1_b32 s6, s6, exec_lo
	s_and_b32 s8, s9, exec_lo
	s_or_b32 s6, s6, s8
.LBB254_89:                             ;   in Loop: Header=BB254_78 Depth=2
	s_or_b32 exec_lo, exec_lo, s7
	s_delay_alu instid0(SALU_CYCLE_1)
	s_and_b32 s6, s6, exec_lo
.LBB254_90:                             ;   in Loop: Header=BB254_78 Depth=2
	s_and_not1_saveexec_b32 s5, s5
	s_cbranch_execz .LBB254_77
; %bb.91:                               ;   in Loop: Header=BB254_78 Depth=2
	v_lshlrev_b32_e32 v11, 4, v14
	s_mov_b32 s7, 0
	s_delay_alu instid0(VALU_DEP_1)
	v_add3_u32 v15, 0, v11, 0x10000
	ds_load_b64 v[11:12], v15
.LBB254_92:                             ;   Parent Loop BB254_76 Depth=1
                                        ;     Parent Loop BB254_78 Depth=2
                                        ; =>    This Inner Loop Header: Depth=3
	s_waitcnt lgkmcnt(0)
	v_add_f64 v[16:17], v[11:12], v[7:8]
	ds_cmpstore_rtn_b64 v[16:17], v15, v[16:17], v[11:12]
	s_waitcnt lgkmcnt(0)
	v_cmp_eq_u64_e32 vcc_lo, v[16:17], v[11:12]
	v_dual_mov_b32 v11, v16 :: v_dual_mov_b32 v12, v17
	s_or_b32 s7, vcc_lo, s7
	s_delay_alu instid0(SALU_CYCLE_1)
	s_and_not1_b32 exec_lo, exec_lo, s7
	s_cbranch_execnz .LBB254_92
; %bb.93:                               ;   in Loop: Header=BB254_78 Depth=2
	s_or_b32 exec_lo, exec_lo, s7
	ds_load_b64 v[11:12], v15 offset:8
	s_mov_b32 s7, 0
.LBB254_94:                             ;   Parent Loop BB254_76 Depth=1
                                        ;     Parent Loop BB254_78 Depth=2
                                        ; =>    This Inner Loop Header: Depth=3
	s_waitcnt lgkmcnt(0)
	v_add_f64 v[16:17], v[11:12], v[9:10]
	ds_cmpstore_rtn_b64 v[16:17], v15, v[16:17], v[11:12] offset:8
	s_waitcnt lgkmcnt(0)
	v_cmp_eq_u64_e32 vcc_lo, v[16:17], v[11:12]
	v_dual_mov_b32 v11, v16 :: v_dual_mov_b32 v12, v17
	s_or_b32 s7, vcc_lo, s7
	s_delay_alu instid0(SALU_CYCLE_1)
	s_and_not1_b32 exec_lo, exec_lo, s7
	s_cbranch_execnz .LBB254_94
; %bb.95:                               ;   in Loop: Header=BB254_78 Depth=2
	s_or_b32 exec_lo, exec_lo, s7
	s_delay_alu instid0(SALU_CYCLE_1)
	s_and_not1_b32 s6, s6, exec_lo
	s_branch .LBB254_77
.LBB254_96:
	s_or_b32 exec_lo, exec_lo, s16
	s_ashr_i32 s35, s34, 31
	s_mov_b32 s4, exec_lo
	s_lshl_b64 s[0:1], s[34:35], 3
	s_delay_alu instid0(SALU_CYCLE_1) | instskip(SKIP_4) | instid1(SALU_CYCLE_1)
	s_add_u32 s0, s22, s0
	s_addc_u32 s1, s23, s1
	s_load_b128 s[0:3], s[0:1], 0x0
	s_waitcnt lgkmcnt(0)
	s_sub_i32 s3, s2, s0
	v_cmpx_gt_i32_e64 s3, v0
	s_cbranch_execz .LBB254_106
; %bb.97:
	s_sub_u32 s4, s0, s26
	s_subb_u32 s5, s1, 0
	s_sub_i32 s0, s0, s2
	s_and_b32 s1, s3, 7
	s_cmp_lt_u32 s0, -7
	s_mov_b32 s8, 0
	s_cselect_b32 s2, -1, 0
	s_and_b32 s6, s3, -8
	s_cmp_lg_u32 s1, 0
	s_cselect_b32 s7, -1, 0
	s_branch .LBB254_99
.LBB254_98:                             ;   in Loop: Header=BB254_99 Depth=1
	v_lshlrev_b32_e32 v4, 4, v0
	s_delay_alu instid0(VALU_DEP_2)
	v_lshlrev_b64 v[8:9], 2, v[1:2]
	v_lshlrev_b64 v[1:2], 4, v[1:2]
	v_add_nc_u32_e32 v0, 0x400, v0
	s_waitcnt lgkmcnt(0)
	v_add_nc_u32_e32 v3, s26, v3
	v_add3_u32 v4, 0, v4, 0x10000
	v_add_co_u32 v8, vcc_lo, s28, v8
	v_add_co_ci_u32_e32 v9, vcc_lo, s29, v9, vcc_lo
	ds_load_2addr_b64 v[4:7], v4 offset1:1
	v_cmp_le_i32_e32 vcc_lo, s3, v0
	v_add_co_u32 v1, s0, s30, v1
	s_delay_alu instid0(VALU_DEP_1)
	v_add_co_ci_u32_e64 v2, s0, s31, v2, s0
	s_or_b32 s8, vcc_lo, s8
	global_store_b32 v[8:9], v3, off
	s_waitcnt lgkmcnt(0)
	global_store_b128 v[1:2], v[4:7], off
	s_and_not1_b32 exec_lo, exec_lo, s8
	s_cbranch_execz .LBB254_106
.LBB254_99:                             ; =>This Loop Header: Depth=1
                                        ;     Child Loop BB254_101 Depth 2
                                        ;     Child Loop BB254_105 Depth 2
	v_lshl_add_u32 v1, v0, 2, 0
	s_and_not1_b32 vcc_lo, exec_lo, s2
	s_mov_b32 s0, 0
	ds_load_b32 v3, v1
	v_dual_mov_b32 v1, s4 :: v_dual_mov_b32 v2, s5
	s_cbranch_vccnz .LBB254_103
; %bb.100:                              ;   in Loop: Header=BB254_99 Depth=1
	v_dual_mov_b32 v1, s4 :: v_dual_mov_b32 v2, s5
	s_mov_b32 s9, 0
	s_mov_b32 s10, 0
.LBB254_101:                            ;   Parent Loop BB254_99 Depth=1
                                        ; =>  This Inner Loop Header: Depth=2
	s_delay_alu instid0(SALU_CYCLE_1)
	v_mov_b32_e32 v10, s10
	s_add_i32 s9, s9, 8
	s_add_i32 s10, s10, 32
	s_cmp_eq_u32 s6, s9
	ds_load_2addr_b32 v[4:5], v10 offset1:1
	ds_load_2addr_b32 v[6:7], v10 offset0:2 offset1:3
	ds_load_2addr_b32 v[8:9], v10 offset0:4 offset1:5
	;; [unrolled: 1-line block ×3, first 2 shown]
	s_waitcnt lgkmcnt(3)
	v_cmp_gt_i32_e32 vcc_lo, v3, v4
	v_cndmask_b32_e64 v4, 0, 1, vcc_lo
	v_cmp_gt_i32_e32 vcc_lo, v3, v5
	v_cndmask_b32_e64 v5, 0, 1, vcc_lo
	s_waitcnt lgkmcnt(2)
	v_cmp_gt_i32_e32 vcc_lo, v3, v6
	v_cndmask_b32_e64 v6, 0, 1, vcc_lo
	v_cmp_gt_i32_e32 vcc_lo, v3, v7
	v_cndmask_b32_e64 v7, 0, 1, vcc_lo
	s_waitcnt lgkmcnt(1)
	v_cmp_gt_i32_e32 vcc_lo, v3, v8
	v_cndmask_b32_e64 v8, 0, 1, vcc_lo
	v_add_co_u32 v1, vcc_lo, v1, v4
	v_add_co_ci_u32_e32 v2, vcc_lo, 0, v2, vcc_lo
	v_cmp_gt_i32_e32 vcc_lo, v3, v9
	s_delay_alu instid0(VALU_DEP_3) | instskip(NEXT) | instid1(VALU_DEP_1)
	v_add_co_u32 v1, s0, v1, v5
	v_add_co_ci_u32_e64 v2, s0, 0, v2, s0
	v_cndmask_b32_e64 v4, 0, 1, vcc_lo
	s_delay_alu instid0(VALU_DEP_3) | instskip(NEXT) | instid1(VALU_DEP_3)
	v_add_co_u32 v1, vcc_lo, v1, v6
	v_add_co_ci_u32_e32 v2, vcc_lo, 0, v2, vcc_lo
	s_waitcnt lgkmcnt(0)
	v_cmp_gt_i32_e32 vcc_lo, v3, v10
	s_delay_alu instid0(VALU_DEP_3) | instskip(NEXT) | instid1(VALU_DEP_1)
	v_add_co_u32 v1, s0, v1, v7
	v_add_co_ci_u32_e64 v2, s0, 0, v2, s0
	v_cndmask_b32_e64 v5, 0, 1, vcc_lo
	s_delay_alu instid0(VALU_DEP_3) | instskip(NEXT) | instid1(VALU_DEP_3)
	v_add_co_u32 v1, vcc_lo, v1, v8
	v_add_co_ci_u32_e32 v2, vcc_lo, 0, v2, vcc_lo
	v_cmp_gt_i32_e32 vcc_lo, v3, v11
	s_delay_alu instid0(VALU_DEP_3) | instskip(NEXT) | instid1(VALU_DEP_1)
	v_add_co_u32 v1, s0, v1, v4
	v_add_co_ci_u32_e64 v2, s0, 0, v2, s0
	v_cndmask_b32_e64 v4, 0, 1, vcc_lo
	s_delay_alu instid0(VALU_DEP_3) | instskip(NEXT) | instid1(VALU_DEP_3)
	v_add_co_u32 v1, vcc_lo, v1, v5
	v_add_co_ci_u32_e32 v2, vcc_lo, 0, v2, vcc_lo
	s_delay_alu instid0(VALU_DEP_2) | instskip(NEXT) | instid1(VALU_DEP_2)
	v_add_co_u32 v1, vcc_lo, v1, v4
	v_add_co_ci_u32_e32 v2, vcc_lo, 0, v2, vcc_lo
	s_cbranch_scc0 .LBB254_101
; %bb.102:                              ;   in Loop: Header=BB254_99 Depth=1
	s_mov_b32 s0, s6
.LBB254_103:                            ;   in Loop: Header=BB254_99 Depth=1
	s_and_not1_b32 vcc_lo, exec_lo, s7
	s_cbranch_vccnz .LBB254_98
; %bb.104:                              ;   in Loop: Header=BB254_99 Depth=1
	s_lshl_b32 s0, s0, 2
	s_mov_b32 s9, s1
	s_add_i32 s0, s0, 0
.LBB254_105:                            ;   Parent Loop BB254_99 Depth=1
                                        ; =>  This Inner Loop Header: Depth=2
	s_delay_alu instid0(SALU_CYCLE_1)
	v_mov_b32_e32 v4, s0
	s_add_i32 s9, s9, -1
	s_add_i32 s0, s0, 4
	s_cmp_lg_u32 s9, 0
	ds_load_b32 v4, v4
	s_waitcnt lgkmcnt(0)
	v_cmp_gt_i32_e32 vcc_lo, v3, v4
	v_cndmask_b32_e64 v4, 0, 1, vcc_lo
	s_delay_alu instid0(VALU_DEP_1)
	v_add_co_u32 v1, vcc_lo, v1, v4
	v_add_co_ci_u32_e32 v2, vcc_lo, 0, v2, vcc_lo
	s_cbranch_scc1 .LBB254_105
	s_branch .LBB254_98
.LBB254_106:
	s_nop 0
	s_sendmsg sendmsg(MSG_DEALLOC_VGPRS)
	s_endpgm
	.section	.rodata,"a",@progbits
	.p2align	6, 0x0
	.amdhsa_kernel _ZN9rocsparseL26csrgemm_fill_block_per_rowILj1024ELj64ELj16384ELj137ELj64Eli21rocsparse_complex_numIdEEEvT5_PKS3_S5_NS_24const_host_device_scalarIT6_EEPKT4_S5_PKS7_SB_S5_SD_S8_SB_S5_SD_SB_PS3_PS7_21rocsparse_index_base_SG_SG_SG_bbb
		.amdhsa_group_segment_fixed_size 0
		.amdhsa_private_segment_fixed_size 40
		.amdhsa_kernarg_size 172
		.amdhsa_user_sgpr_count 15
		.amdhsa_user_sgpr_dispatch_ptr 0
		.amdhsa_user_sgpr_queue_ptr 0
		.amdhsa_user_sgpr_kernarg_segment_ptr 1
		.amdhsa_user_sgpr_dispatch_id 0
		.amdhsa_user_sgpr_private_segment_size 0
		.amdhsa_wavefront_size32 1
		.amdhsa_uses_dynamic_stack 0
		.amdhsa_enable_private_segment 1
		.amdhsa_system_sgpr_workgroup_id_x 1
		.amdhsa_system_sgpr_workgroup_id_y 0
		.amdhsa_system_sgpr_workgroup_id_z 0
		.amdhsa_system_sgpr_workgroup_info 0
		.amdhsa_system_vgpr_workitem_id 0
		.amdhsa_next_free_vgpr 36
		.amdhsa_next_free_sgpr 48
		.amdhsa_reserve_vcc 1
		.amdhsa_float_round_mode_32 0
		.amdhsa_float_round_mode_16_64 0
		.amdhsa_float_denorm_mode_32 3
		.amdhsa_float_denorm_mode_16_64 3
		.amdhsa_dx10_clamp 1
		.amdhsa_ieee_mode 1
		.amdhsa_fp16_overflow 0
		.amdhsa_workgroup_processor_mode 1
		.amdhsa_memory_ordered 1
		.amdhsa_forward_progress 0
		.amdhsa_shared_vgpr_count 0
		.amdhsa_exception_fp_ieee_invalid_op 0
		.amdhsa_exception_fp_denorm_src 0
		.amdhsa_exception_fp_ieee_div_zero 0
		.amdhsa_exception_fp_ieee_overflow 0
		.amdhsa_exception_fp_ieee_underflow 0
		.amdhsa_exception_fp_ieee_inexact 0
		.amdhsa_exception_int_div_zero 0
	.end_amdhsa_kernel
	.section	.text._ZN9rocsparseL26csrgemm_fill_block_per_rowILj1024ELj64ELj16384ELj137ELj64Eli21rocsparse_complex_numIdEEEvT5_PKS3_S5_NS_24const_host_device_scalarIT6_EEPKT4_S5_PKS7_SB_S5_SD_S8_SB_S5_SD_SB_PS3_PS7_21rocsparse_index_base_SG_SG_SG_bbb,"axG",@progbits,_ZN9rocsparseL26csrgemm_fill_block_per_rowILj1024ELj64ELj16384ELj137ELj64Eli21rocsparse_complex_numIdEEEvT5_PKS3_S5_NS_24const_host_device_scalarIT6_EEPKT4_S5_PKS7_SB_S5_SD_S8_SB_S5_SD_SB_PS3_PS7_21rocsparse_index_base_SG_SG_SG_bbb,comdat
.Lfunc_end254:
	.size	_ZN9rocsparseL26csrgemm_fill_block_per_rowILj1024ELj64ELj16384ELj137ELj64Eli21rocsparse_complex_numIdEEEvT5_PKS3_S5_NS_24const_host_device_scalarIT6_EEPKT4_S5_PKS7_SB_S5_SD_S8_SB_S5_SD_SB_PS3_PS7_21rocsparse_index_base_SG_SG_SG_bbb, .Lfunc_end254-_ZN9rocsparseL26csrgemm_fill_block_per_rowILj1024ELj64ELj16384ELj137ELj64Eli21rocsparse_complex_numIdEEEvT5_PKS3_S5_NS_24const_host_device_scalarIT6_EEPKT4_S5_PKS7_SB_S5_SD_S8_SB_S5_SD_SB_PS3_PS7_21rocsparse_index_base_SG_SG_SG_bbb
                                        ; -- End function
	.section	.AMDGPU.csdata,"",@progbits
; Kernel info:
; codeLenInByte = 4568
; NumSgprs: 50
; NumVgprs: 36
; ScratchSize: 40
; MemoryBound: 0
; FloatMode: 240
; IeeeMode: 1
; LDSByteSize: 0 bytes/workgroup (compile time only)
; SGPRBlocks: 6
; VGPRBlocks: 4
; NumSGPRsForWavesPerEU: 50
; NumVGPRsForWavesPerEU: 36
; Occupancy: 16
; WaveLimiterHint : 1
; COMPUTE_PGM_RSRC2:SCRATCH_EN: 1
; COMPUTE_PGM_RSRC2:USER_SGPR: 15
; COMPUTE_PGM_RSRC2:TRAP_HANDLER: 0
; COMPUTE_PGM_RSRC2:TGID_X_EN: 1
; COMPUTE_PGM_RSRC2:TGID_Y_EN: 0
; COMPUTE_PGM_RSRC2:TGID_Z_EN: 0
; COMPUTE_PGM_RSRC2:TIDIG_COMP_CNT: 0
	.section	.text._ZN9rocsparseL26csrgemm_fill_block_per_rowILj1024ELj64ELj32768ELj137ELj32Eli21rocsparse_complex_numIdEEEvT5_PKS3_S5_NS_24const_host_device_scalarIT6_EEPKT4_S5_PKS7_SB_S5_SD_S8_SB_S5_SD_SB_PS3_PS7_21rocsparse_index_base_SG_SG_SG_bbb,"axG",@progbits,_ZN9rocsparseL26csrgemm_fill_block_per_rowILj1024ELj64ELj32768ELj137ELj32Eli21rocsparse_complex_numIdEEEvT5_PKS3_S5_NS_24const_host_device_scalarIT6_EEPKT4_S5_PKS7_SB_S5_SD_S8_SB_S5_SD_SB_PS3_PS7_21rocsparse_index_base_SG_SG_SG_bbb,comdat
	.globl	_ZN9rocsparseL26csrgemm_fill_block_per_rowILj1024ELj64ELj32768ELj137ELj32Eli21rocsparse_complex_numIdEEEvT5_PKS3_S5_NS_24const_host_device_scalarIT6_EEPKT4_S5_PKS7_SB_S5_SD_S8_SB_S5_SD_SB_PS3_PS7_21rocsparse_index_base_SG_SG_SG_bbb ; -- Begin function _ZN9rocsparseL26csrgemm_fill_block_per_rowILj1024ELj64ELj32768ELj137ELj32Eli21rocsparse_complex_numIdEEEvT5_PKS3_S5_NS_24const_host_device_scalarIT6_EEPKT4_S5_PKS7_SB_S5_SD_S8_SB_S5_SD_SB_PS3_PS7_21rocsparse_index_base_SG_SG_SG_bbb
	.p2align	8
	.type	_ZN9rocsparseL26csrgemm_fill_block_per_rowILj1024ELj64ELj32768ELj137ELj32Eli21rocsparse_complex_numIdEEEvT5_PKS3_S5_NS_24const_host_device_scalarIT6_EEPKT4_S5_PKS7_SB_S5_SD_S8_SB_S5_SD_SB_PS3_PS7_21rocsparse_index_base_SG_SG_SG_bbb,@function
_ZN9rocsparseL26csrgemm_fill_block_per_rowILj1024ELj64ELj32768ELj137ELj32Eli21rocsparse_complex_numIdEEEvT5_PKS3_S5_NS_24const_host_device_scalarIT6_EEPKT4_S5_PKS7_SB_S5_SD_S8_SB_S5_SD_SB_PS3_PS7_21rocsparse_index_base_SG_SG_SG_bbb: ; @_ZN9rocsparseL26csrgemm_fill_block_per_rowILj1024ELj64ELj32768ELj137ELj32Eli21rocsparse_complex_numIdEEEvT5_PKS3_S5_NS_24const_host_device_scalarIT6_EEPKT4_S5_PKS7_SB_S5_SD_S8_SB_S5_SD_SB_PS3_PS7_21rocsparse_index_base_SG_SG_SG_bbb
; %bb.0:
	s_clause 0x3
	s_load_b32 s14, s[0:1], 0xa8
	s_load_b128 s[4:7], s[0:1], 0x18
	s_load_b128 s[20:23], s[0:1], 0x58
	;; [unrolled: 1-line block ×3, first 2 shown]
	v_mov_b32_e32 v1, 0
	v_mov_b32_e32 v2, 0
	s_waitcnt lgkmcnt(0)
	s_bitcmp1_b32 s14, 0
	v_mov_b32_e32 v3, s4
	s_cselect_b32 s12, -1, 0
	s_bitcmp1_b32 s14, 16
	v_dual_mov_b32 v6, v2 :: v_dual_mov_b32 v5, v1
	s_cselect_b32 s2, -1, 0
	v_mov_b32_e32 v4, s5
	s_xor_b32 s13, s2, -1
	v_dual_mov_b32 v9, s20 :: v_dual_mov_b32 v10, s21
	v_cndmask_b32_e64 v7, 0, 1, s13
	s_bitcmp0_b32 s14, 0
	s_clause 0x1
	scratch_store_b64 off, v[3:4], off offset:16
	scratch_store_b64 off, v[9:10], off offset:24
	v_cmp_ne_u32_e32 vcc_lo, 1, v7
	v_dual_mov_b32 v8, v2 :: v_dual_mov_b32 v7, v1
	s_cbranch_scc1 .LBB255_3
; %bb.1:
	s_mov_b64 s[8:9], src_private_base
	s_and_b32 s3, s2, exec_lo
	s_cselect_b32 s3, s9, s5
	s_delay_alu instid0(SALU_CYCLE_1) | instskip(SKIP_2) | instid1(VALU_DEP_2)
	v_dual_mov_b32 v3, 16 :: v_dual_mov_b32 v4, s3
	v_dual_mov_b32 v8, s7 :: v_dual_mov_b32 v7, s6
	s_and_b32 vcc_lo, exec_lo, vcc_lo
	v_cndmask_b32_e64 v3, s4, v3, s2
	flat_load_b64 v[5:6], v[3:4]
	s_cbranch_vccnz .LBB255_3
; %bb.2:
	v_dual_mov_b32 v3, s4 :: v_dual_mov_b32 v4, s5
	flat_load_b64 v[7:8], v[3:4] offset:8
.LBB255_3:
	s_clause 0x4
	s_load_b128 s[48:51], s[0:1], 0x88
	s_load_b256 s[36:43], s[0:1], 0x68
	s_load_b128 s[16:19], s[0:1], 0x48
	s_load_b128 s[24:27], s[0:1], 0x8
	s_load_b256 s[4:11], s[0:1], 0x28
	s_bitcmp1_b32 s14, 8
	v_dual_mov_b32 v4, v2 :: v_dual_mov_b32 v3, v1
	s_cselect_b32 s3, -1, 0
	s_bfe_u32 s14, s14, 0x10008
	s_delay_alu instid0(SALU_CYCLE_1)
	s_cmp_eq_u32 s14, 0
	s_cbranch_scc1 .LBB255_6
; %bb.4:
	s_mov_b64 s[28:29], src_private_base
	s_and_b32 s14, s2, exec_lo
	s_cselect_b32 s14, s29, s21
	s_delay_alu instid0(SALU_CYCLE_1) | instskip(SKIP_1) | instid1(VALU_DEP_1)
	v_dual_mov_b32 v1, 24 :: v_dual_mov_b32 v2, s14
	s_and_not1_b32 vcc_lo, exec_lo, s13
	v_cndmask_b32_e64 v1, s20, v1, s2
	flat_load_b64 v[3:4], v[1:2]
	v_dual_mov_b32 v1, s22 :: v_dual_mov_b32 v2, s23
	s_cbranch_vccnz .LBB255_6
; %bb.5:
	v_dual_mov_b32 v1, s20 :: v_dual_mov_b32 v2, s21
	flat_load_b64 v[1:2], v[1:2] offset:8
.LBB255_6:
	s_load_b32 s33, s[0:1], 0x0
	s_mov_b32 s0, 0
	v_or_b32_e32 v25, 0xfffffc00, v0
	v_lshl_add_u32 v26, v0, 2, 0
	s_mov_b32 s1, s0
	s_delay_alu instid0(SALU_CYCLE_1)
	v_dual_mov_b32 v10, s1 :: v_dual_lshlrev_b32 v27, 4, v0
	s_mov_b32 s20, s0
	s_mov_b32 s21, s0
	v_dual_mov_b32 v11, s20 :: v_dual_mov_b32 v14, v26
	v_dual_mov_b32 v9, s0 :: v_dual_mov_b32 v12, s21
	v_add3_u32 v13, v27, 0, 0x20008
	s_waitcnt lgkmcnt(0)
	v_dual_mov_b32 v16, v25 :: v_dual_mov_b32 v15, s33
.LBB255_7:                              ; =>This Inner Loop Header: Depth=1
	s_delay_alu instid0(VALU_DEP_1)
	v_add_nc_u32_e32 v16, 0x400, v16
	ds_store_b32 v14, v15
	v_add_nc_u32_e32 v17, -8, v13
	v_add_nc_u32_e32 v13, 0x4000, v13
	v_add_nc_u32_e32 v14, 0x1000, v14
	v_cmp_lt_u32_e32 vcc_lo, 0x7bff, v16
	ds_store_2addr_b64 v17, v[9:10], v[11:12] offset1:1
	s_or_b32 s0, vcc_lo, s0
	s_delay_alu instid0(SALU_CYCLE_1)
	s_and_not1_b32 exec_lo, exec_lo, s0
	s_cbranch_execnz .LBB255_7
; %bb.8:
	s_or_b32 exec_lo, exec_lo, s0
	s_waitcnt vmcnt(0) lgkmcnt(0)
	s_waitcnt_vscnt null, 0x0
	s_barrier
	buffer_gl0_inv
	s_load_b32 s0, s[24:25], 0x0
	s_mov_b32 s1, 0
	s_waitcnt lgkmcnt(0)
	s_add_i32 s0, s0, s15
	s_delay_alu instid0(SALU_CYCLE_1) | instskip(NEXT) | instid1(SALU_CYCLE_1)
	s_lshl_b64 s[0:1], s[0:1], 2
	s_add_u32 s0, s26, s0
	s_addc_u32 s1, s27, s1
	s_and_b32 vcc_lo, exec_lo, s12
	s_load_b32 s34, s[0:1], 0x0
	s_cbranch_vccz .LBB255_36
; %bb.9:
	s_waitcnt lgkmcnt(0)
	s_ashr_i32 s35, s34, 31
	v_lshrrev_b32_e32 v9, 6, v0
	s_lshl_b64 s[0:1], s[34:35], 3
	s_mov_b32 s2, exec_lo
	s_add_u32 s0, s4, s0
	s_addc_u32 s1, s5, s1
	s_load_b128 s[12:15], s[0:1], 0x0
	v_sub_co_u32 v9, s0, v9, s44
	s_delay_alu instid0(VALU_DEP_1) | instskip(SKIP_1) | instid1(VALU_DEP_2)
	v_sub_co_ci_u32_e64 v10, null, 0, 0, s0
	s_waitcnt lgkmcnt(0)
	v_add_co_u32 v9, vcc_lo, s12, v9
	s_delay_alu instid0(VALU_DEP_2)
	v_add_co_ci_u32_e32 v10, vcc_lo, s13, v10, vcc_lo
	s_sub_u32 s0, s14, s44
	s_subb_u32 s1, s15, 0
	s_delay_alu instid0(VALU_DEP_1) | instid1(SALU_CYCLE_1)
	v_cmpx_gt_i64_e64 s[0:1], v[9:10]
	s_cbranch_execz .LBB255_35
; %bb.10:
	v_and_b32_e32 v11, 63, v0
	s_mov_b32 s5, s45
	s_delay_alu instid0(VALU_DEP_1) | instskip(NEXT) | instid1(VALU_DEP_1)
	v_sub_co_u32 v28, s4, v11, s45
	v_sub_co_ci_u32_e64 v29, null, 0, 0, s4
	s_mov_b32 s4, 0
	s_branch .LBB255_12
.LBB255_11:                             ;   in Loop: Header=BB255_12 Depth=1
	s_or_b32 exec_lo, exec_lo, s12
	v_add_co_u32 v9, vcc_lo, v9, 16
	v_add_co_ci_u32_e32 v10, vcc_lo, 0, v10, vcc_lo
	s_delay_alu instid0(VALU_DEP_1) | instskip(SKIP_1) | instid1(SALU_CYCLE_1)
	v_cmp_le_i64_e32 vcc_lo, s[0:1], v[9:10]
	s_or_b32 s4, vcc_lo, s4
	s_and_not1_b32 exec_lo, exec_lo, s4
	s_cbranch_execz .LBB255_35
.LBB255_12:                             ; =>This Loop Header: Depth=1
                                        ;     Child Loop BB255_15 Depth 2
                                        ;       Child Loop BB255_17 Depth 3
                                        ;         Child Loop BB255_23 Depth 4
                                        ;         Child Loop BB255_25 Depth 4
	;; [unrolled: 1-line block ×4, first 2 shown]
	v_lshlrev_b64 v[11:12], 2, v[9:10]
	s_mov_b32 s12, exec_lo
	s_delay_alu instid0(VALU_DEP_1) | instskip(NEXT) | instid1(VALU_DEP_2)
	v_add_co_u32 v11, vcc_lo, s6, v11
	v_add_co_ci_u32_e32 v12, vcc_lo, s7, v12, vcc_lo
	global_load_b32 v11, v[11:12], off
	s_waitcnt vmcnt(0)
	v_subrev_nc_u32_e32 v11, s44, v11
	s_delay_alu instid0(VALU_DEP_1) | instskip(NEXT) | instid1(VALU_DEP_1)
	v_ashrrev_i32_e32 v12, 31, v11
	v_lshlrev_b64 v[11:12], 3, v[11:12]
	s_delay_alu instid0(VALU_DEP_1) | instskip(NEXT) | instid1(VALU_DEP_2)
	v_add_co_u32 v11, vcc_lo, s10, v11
	v_add_co_ci_u32_e32 v12, vcc_lo, s11, v12, vcc_lo
	global_load_b128 v[13:16], v[11:12], off
	s_waitcnt vmcnt(0)
	v_sub_co_u32 v11, vcc_lo, v15, s5
	v_subrev_co_ci_u32_e32 v12, vcc_lo, 0, v16, vcc_lo
	v_add_co_u32 v13, vcc_lo, v13, v28
	v_add_co_ci_u32_e32 v14, vcc_lo, v14, v29, vcc_lo
	s_delay_alu instid0(VALU_DEP_1)
	v_cmpx_lt_i64_e64 v[13:14], v[11:12]
	s_cbranch_execz .LBB255_11
; %bb.13:                               ;   in Loop: Header=BB255_12 Depth=1
	v_lshlrev_b64 v[15:16], 4, v[9:10]
	s_mov_b32 s13, 0
	s_delay_alu instid0(VALU_DEP_1) | instskip(NEXT) | instid1(VALU_DEP_2)
	v_add_co_u32 v15, vcc_lo, s8, v15
	v_add_co_ci_u32_e32 v16, vcc_lo, s9, v16, vcc_lo
	global_load_b128 v[17:20], v[15:16], off
	s_waitcnt vmcnt(0)
	v_mul_f64 v[15:16], v[19:20], -v[7:8]
	v_mul_f64 v[19:20], v[5:6], v[19:20]
	s_delay_alu instid0(VALU_DEP_2) | instskip(NEXT) | instid1(VALU_DEP_2)
	v_fma_f64 v[15:16], v[5:6], v[17:18], v[15:16]
	v_fma_f64 v[17:18], v[7:8], v[17:18], v[19:20]
	s_branch .LBB255_15
.LBB255_14:                             ;   in Loop: Header=BB255_15 Depth=2
	s_or_b32 exec_lo, exec_lo, s14
	v_add_co_u32 v13, vcc_lo, v13, 64
	v_add_co_ci_u32_e32 v14, vcc_lo, 0, v14, vcc_lo
	s_delay_alu instid0(VALU_DEP_1) | instskip(SKIP_1) | instid1(SALU_CYCLE_1)
	v_cmp_ge_i64_e32 vcc_lo, v[13:14], v[11:12]
	s_or_b32 s13, vcc_lo, s13
	s_and_not1_b32 exec_lo, exec_lo, s13
	s_cbranch_execz .LBB255_11
.LBB255_15:                             ;   Parent Loop BB255_12 Depth=1
                                        ; =>  This Loop Header: Depth=2
                                        ;       Child Loop BB255_17 Depth 3
                                        ;         Child Loop BB255_23 Depth 4
                                        ;         Child Loop BB255_25 Depth 4
	;; [unrolled: 1-line block ×4, first 2 shown]
	v_lshlrev_b64 v[19:20], 4, v[13:14]
	s_mov_b32 s14, 0
	s_delay_alu instid0(VALU_DEP_1) | instskip(NEXT) | instid1(VALU_DEP_2)
	v_add_co_u32 v19, vcc_lo, s18, v19
	v_add_co_ci_u32_e32 v20, vcc_lo, s19, v20, vcc_lo
	global_load_b128 v[21:24], v[19:20], off
	v_lshlrev_b64 v[19:20], 2, v[13:14]
	s_delay_alu instid0(VALU_DEP_1) | instskip(NEXT) | instid1(VALU_DEP_2)
	v_add_co_u32 v19, vcc_lo, s16, v19
	v_add_co_ci_u32_e32 v20, vcc_lo, s17, v20, vcc_lo
	global_load_b32 v30, v[19:20], off
	s_waitcnt vmcnt(1)
	v_mul_f64 v[19:20], v[23:24], -v[17:18]
	v_mul_f64 v[23:24], v[15:16], v[23:24]
	s_waitcnt vmcnt(0)
	v_subrev_nc_u32_e32 v30, s45, v30
	s_delay_alu instid0(VALU_DEP_3) | instskip(NEXT) | instid1(VALU_DEP_3)
	v_fma_f64 v[19:20], v[15:16], v[21:22], v[19:20]
	v_fma_f64 v[21:22], v[17:18], v[21:22], v[23:24]
	s_delay_alu instid0(VALU_DEP_3) | instskip(NEXT) | instid1(VALU_DEP_1)
	v_mul_lo_u32 v23, 0x89, v30
	v_and_b32_e32 v31, 0x7fff, v23
	s_branch .LBB255_17
.LBB255_16:                             ;   in Loop: Header=BB255_17 Depth=3
	s_or_b32 exec_lo, exec_lo, s15
	s_xor_b32 s15, s20, -1
	s_delay_alu instid0(SALU_CYCLE_1) | instskip(NEXT) | instid1(SALU_CYCLE_1)
	s_and_b32 s15, exec_lo, s15
	s_or_b32 s14, s15, s14
	s_delay_alu instid0(SALU_CYCLE_1)
	s_and_not1_b32 exec_lo, exec_lo, s14
	s_cbranch_execz .LBB255_14
.LBB255_17:                             ;   Parent Loop BB255_12 Depth=1
                                        ;     Parent Loop BB255_15 Depth=2
                                        ; =>    This Loop Header: Depth=3
                                        ;         Child Loop BB255_23 Depth 4
                                        ;         Child Loop BB255_25 Depth 4
	;; [unrolled: 1-line block ×4, first 2 shown]
	s_delay_alu instid0(VALU_DEP_1)
	v_lshl_add_u32 v23, v31, 2, 0
	s_mov_b32 s15, exec_lo
                                        ; implicit-def: $sgpr20
	ds_load_b32 v24, v23
	s_waitcnt lgkmcnt(0)
	v_cmpx_ne_u32_e64 v24, v30
	s_xor_b32 s15, exec_lo, s15
	s_cbranch_execz .LBB255_29
; %bb.18:                               ;   in Loop: Header=BB255_17 Depth=3
	s_mov_b32 s21, exec_lo
                                        ; implicit-def: $sgpr20
	v_cmpx_ne_u32_e64 s33, v24
	s_xor_b32 s21, exec_lo, s21
; %bb.19:                               ;   in Loop: Header=BB255_17 Depth=3
	v_add_nc_u32_e32 v23, 1, v31
	s_mov_b32 s20, -1
	s_delay_alu instid0(VALU_DEP_1)
	v_and_b32_e32 v31, 0x7fff, v23
                                        ; implicit-def: $vgpr23
; %bb.20:                               ;   in Loop: Header=BB255_17 Depth=3
	s_and_not1_saveexec_b32 s21, s21
	s_cbranch_execz .LBB255_28
; %bb.21:                               ;   in Loop: Header=BB255_17 Depth=3
	v_mov_b32_e32 v24, s33
	s_mov_b32 s23, -1
	s_mov_b32 s22, exec_lo
	ds_cmpstore_rtn_b32 v23, v23, v30, v24
	s_waitcnt lgkmcnt(0)
	v_cmpx_eq_u32_e64 s33, v23
	s_cbranch_execz .LBB255_27
; %bb.22:                               ;   in Loop: Header=BB255_17 Depth=3
	v_lshlrev_b32_e32 v23, 4, v31
	s_mov_b32 s23, 0
	s_delay_alu instid0(VALU_DEP_1)
	v_add3_u32 v32, 0, v23, 0x20000
	ds_load_b64 v[23:24], v32
.LBB255_23:                             ;   Parent Loop BB255_12 Depth=1
                                        ;     Parent Loop BB255_15 Depth=2
                                        ;       Parent Loop BB255_17 Depth=3
                                        ; =>      This Inner Loop Header: Depth=4
	s_waitcnt lgkmcnt(0)
	v_add_f64 v[33:34], v[23:24], v[19:20]
	ds_cmpstore_rtn_b64 v[33:34], v32, v[33:34], v[23:24]
	s_waitcnt lgkmcnt(0)
	v_cmp_eq_u64_e32 vcc_lo, v[33:34], v[23:24]
	v_dual_mov_b32 v23, v33 :: v_dual_mov_b32 v24, v34
	s_or_b32 s23, vcc_lo, s23
	s_delay_alu instid0(SALU_CYCLE_1)
	s_and_not1_b32 exec_lo, exec_lo, s23
	s_cbranch_execnz .LBB255_23
; %bb.24:                               ;   in Loop: Header=BB255_17 Depth=3
	s_or_b32 exec_lo, exec_lo, s23
	ds_load_b64 v[23:24], v32 offset:8
	s_mov_b32 s23, 0
.LBB255_25:                             ;   Parent Loop BB255_12 Depth=1
                                        ;     Parent Loop BB255_15 Depth=2
                                        ;       Parent Loop BB255_17 Depth=3
                                        ; =>      This Inner Loop Header: Depth=4
	s_waitcnt lgkmcnt(0)
	v_add_f64 v[33:34], v[23:24], v[21:22]
	ds_cmpstore_rtn_b64 v[33:34], v32, v[33:34], v[23:24] offset:8
	s_waitcnt lgkmcnt(0)
	v_cmp_eq_u64_e32 vcc_lo, v[33:34], v[23:24]
	v_dual_mov_b32 v23, v33 :: v_dual_mov_b32 v24, v34
	s_or_b32 s23, vcc_lo, s23
	s_delay_alu instid0(SALU_CYCLE_1)
	s_and_not1_b32 exec_lo, exec_lo, s23
	s_cbranch_execnz .LBB255_25
; %bb.26:                               ;   in Loop: Header=BB255_17 Depth=3
	s_or_b32 exec_lo, exec_lo, s23
	s_delay_alu instid0(SALU_CYCLE_1)
	s_xor_b32 s23, exec_lo, -1
.LBB255_27:                             ;   in Loop: Header=BB255_17 Depth=3
	s_or_b32 exec_lo, exec_lo, s22
	s_delay_alu instid0(SALU_CYCLE_1) | instskip(SKIP_1) | instid1(SALU_CYCLE_1)
	s_and_not1_b32 s20, s20, exec_lo
	s_and_b32 s22, s23, exec_lo
	s_or_b32 s20, s20, s22
.LBB255_28:                             ;   in Loop: Header=BB255_17 Depth=3
	s_or_b32 exec_lo, exec_lo, s21
	s_delay_alu instid0(SALU_CYCLE_1)
	s_and_b32 s20, s20, exec_lo
.LBB255_29:                             ;   in Loop: Header=BB255_17 Depth=3
	s_and_not1_saveexec_b32 s15, s15
	s_cbranch_execz .LBB255_16
; %bb.30:                               ;   in Loop: Header=BB255_17 Depth=3
	v_lshlrev_b32_e32 v23, 4, v31
	s_mov_b32 s21, 0
	s_delay_alu instid0(VALU_DEP_1)
	v_add3_u32 v32, 0, v23, 0x20000
	ds_load_b64 v[23:24], v32
.LBB255_31:                             ;   Parent Loop BB255_12 Depth=1
                                        ;     Parent Loop BB255_15 Depth=2
                                        ;       Parent Loop BB255_17 Depth=3
                                        ; =>      This Inner Loop Header: Depth=4
	s_waitcnt lgkmcnt(0)
	v_add_f64 v[33:34], v[23:24], v[19:20]
	ds_cmpstore_rtn_b64 v[33:34], v32, v[33:34], v[23:24]
	s_waitcnt lgkmcnt(0)
	v_cmp_eq_u64_e32 vcc_lo, v[33:34], v[23:24]
	v_dual_mov_b32 v23, v33 :: v_dual_mov_b32 v24, v34
	s_or_b32 s21, vcc_lo, s21
	s_delay_alu instid0(SALU_CYCLE_1)
	s_and_not1_b32 exec_lo, exec_lo, s21
	s_cbranch_execnz .LBB255_31
; %bb.32:                               ;   in Loop: Header=BB255_17 Depth=3
	s_or_b32 exec_lo, exec_lo, s21
	ds_load_b64 v[23:24], v32 offset:8
	s_mov_b32 s21, 0
.LBB255_33:                             ;   Parent Loop BB255_12 Depth=1
                                        ;     Parent Loop BB255_15 Depth=2
                                        ;       Parent Loop BB255_17 Depth=3
                                        ; =>      This Inner Loop Header: Depth=4
	s_waitcnt lgkmcnt(0)
	v_add_f64 v[33:34], v[23:24], v[21:22]
	ds_cmpstore_rtn_b64 v[33:34], v32, v[33:34], v[23:24] offset:8
	s_waitcnt lgkmcnt(0)
	v_cmp_eq_u64_e32 vcc_lo, v[33:34], v[23:24]
	v_dual_mov_b32 v23, v33 :: v_dual_mov_b32 v24, v34
	s_or_b32 s21, vcc_lo, s21
	s_delay_alu instid0(SALU_CYCLE_1)
	s_and_not1_b32 exec_lo, exec_lo, s21
	s_cbranch_execnz .LBB255_33
; %bb.34:                               ;   in Loop: Header=BB255_17 Depth=3
	s_or_b32 exec_lo, exec_lo, s21
	s_delay_alu instid0(SALU_CYCLE_1)
	s_and_not1_b32 s20, s20, exec_lo
	s_branch .LBB255_16
.LBB255_35:
	s_or_b32 exec_lo, exec_lo, s2
.LBB255_36:
	s_delay_alu instid0(SALU_CYCLE_1)
	s_and_not1_b32 vcc_lo, exec_lo, s3
	s_cbranch_vccnz .LBB255_39
; %bb.37:
	s_waitcnt lgkmcnt(0)
	s_ashr_i32 s35, s34, 31
	v_sub_co_u32 v5, s4, v0, s47
	s_lshl_b64 s[0:1], s[34:35], 3
	v_sub_co_ci_u32_e64 v6, null, 0, 0, s4
	s_add_u32 s0, s36, s0
	s_addc_u32 s1, s37, s1
	s_load_b128 s[0:3], s[0:1], 0x0
	s_waitcnt lgkmcnt(0)
	v_add_co_u32 v5, vcc_lo, s0, v5
	v_add_co_ci_u32_e32 v6, vcc_lo, s1, v6, vcc_lo
	s_sub_u32 s0, s2, s47
	s_subb_u32 s1, s3, 0
	s_mov_b32 s3, 0
	s_mov_b32 s2, exec_lo
	v_cmpx_gt_i64_e64 s[0:1], v[5:6]
	s_cbranch_execnz .LBB255_108
.LBB255_38:
	s_or_b32 exec_lo, exec_lo, s2
.LBB255_39:
	v_mbcnt_lo_u32_b32 v1, -1, 0
	v_lshrrev_b32_e32 v2, 3, v0
	s_add_i32 s70, 0, 0xa007c
	v_cmp_eq_u32_e32 vcc_lo, 0x3ff, v0
	v_cmp_lt_u32_e64 s0, 31, v0
	v_xor_b32_e32 v1, 63, v1
	v_dual_mov_b32 v4, 0 :: v_dual_and_b32 v3, 0x7c, v2
	v_cmp_lt_u32_e64 s1, 63, v0
	v_cmp_lt_u32_e64 s2, 0x5f, v0
	s_delay_alu instid0(VALU_DEP_4) | instskip(NEXT) | instid1(VALU_DEP_4)
	v_lshrrev_b64 v[1:2], v1, -1
	v_add3_u32 v2, 0, 0xa0000, v3
	v_cmp_lt_u32_e64 s3, 0x7f, v0
	v_cmp_lt_u32_e64 s4, 0x9f, v0
	;; [unrolled: 1-line block ×28, first 2 shown]
	v_add3_u32 v3, v27, 0, 0x20000
	v_mov_b32_e32 v5, s70
	s_mov_b32 s35, 0
	s_add_i32 s36, 0, 0xa0000
	s_add_i32 s37, 0, 0xa0004
	;; [unrolled: 1-line block ×31, first 2 shown]
	s_waitcnt lgkmcnt(0)
	s_barrier
	buffer_gl0_inv
	s_branch .LBB255_41
.LBB255_40:                             ;   in Loop: Header=BB255_41 Depth=1
	s_or_b32 exec_lo, exec_lo, s31
	s_waitcnt lgkmcnt(0)
	s_barrier
	buffer_gl0_inv
	ds_load_b32 v6, v5
	v_add_nc_u32_e32 v25, 0x400, v25
	v_add_nc_u32_e32 v3, 0x4000, v3
	;; [unrolled: 1-line block ×3, first 2 shown]
	s_delay_alu instid0(VALU_DEP_3) | instskip(NEXT) | instid1(VALU_DEP_1)
	v_cmp_lt_u32_e64 s31, 0x7bff, v25
	s_or_b32 s35, s31, s35
	s_waitcnt lgkmcnt(0)
	v_add_nc_u32_e32 v4, v6, v4
	s_and_not1_b32 exec_lo, exec_lo, s35
	s_cbranch_execz .LBB255_128
.LBB255_41:                             ; =>This Inner Loop Header: Depth=1
	ds_load_b32 v6, v26
	ds_load_2addr_b64 v[7:10], v3 offset1:1
	s_waitcnt lgkmcnt(1)
	v_cmp_gt_i32_e64 s31, s33, v6
	s_waitcnt lgkmcnt(0)
	scratch_store_b128 off, v[7:10], off
	s_waitcnt_vscnt null, 0x0
	s_barrier
	buffer_gl0_inv
	s_bcnt1_i32_b32 s75, s31
	s_delay_alu instid0(SALU_CYCLE_1) | instskip(NEXT) | instid1(VALU_DEP_1)
	v_dual_mov_b32 v8, s75 :: v_dual_and_b32 v7, s31, v1
	v_bcnt_u32_b32 v7, v7, 0
	ds_store_b32 v2, v8
	s_waitcnt lgkmcnt(0)
	s_barrier
	buffer_gl0_inv
	s_and_saveexec_b32 s75, s0
	s_cbranch_execnz .LBB255_74
; %bb.42:                               ;   in Loop: Header=BB255_41 Depth=1
	s_or_b32 exec_lo, exec_lo, s75
	s_and_saveexec_b32 s75, s1
	s_cbranch_execnz .LBB255_75
.LBB255_43:                             ;   in Loop: Header=BB255_41 Depth=1
	s_or_b32 exec_lo, exec_lo, s75
	s_and_saveexec_b32 s75, s2
	s_cbranch_execnz .LBB255_76
.LBB255_44:                             ;   in Loop: Header=BB255_41 Depth=1
	s_or_b32 exec_lo, exec_lo, s75
	s_and_saveexec_b32 s75, s3
	s_cbranch_execnz .LBB255_77
.LBB255_45:                             ;   in Loop: Header=BB255_41 Depth=1
	s_or_b32 exec_lo, exec_lo, s75
	s_and_saveexec_b32 s75, s4
	s_cbranch_execnz .LBB255_78
.LBB255_46:                             ;   in Loop: Header=BB255_41 Depth=1
	s_or_b32 exec_lo, exec_lo, s75
	s_and_saveexec_b32 s75, s5
	s_cbranch_execnz .LBB255_79
.LBB255_47:                             ;   in Loop: Header=BB255_41 Depth=1
	s_or_b32 exec_lo, exec_lo, s75
	s_and_saveexec_b32 s75, s6
	s_cbranch_execnz .LBB255_80
.LBB255_48:                             ;   in Loop: Header=BB255_41 Depth=1
	s_or_b32 exec_lo, exec_lo, s75
	s_and_saveexec_b32 s75, s7
	s_cbranch_execnz .LBB255_81
.LBB255_49:                             ;   in Loop: Header=BB255_41 Depth=1
	s_or_b32 exec_lo, exec_lo, s75
	s_and_saveexec_b32 s75, s8
	s_cbranch_execnz .LBB255_82
.LBB255_50:                             ;   in Loop: Header=BB255_41 Depth=1
	s_or_b32 exec_lo, exec_lo, s75
	s_and_saveexec_b32 s75, s9
	s_cbranch_execnz .LBB255_83
.LBB255_51:                             ;   in Loop: Header=BB255_41 Depth=1
	s_or_b32 exec_lo, exec_lo, s75
	s_and_saveexec_b32 s75, s10
	s_cbranch_execnz .LBB255_84
.LBB255_52:                             ;   in Loop: Header=BB255_41 Depth=1
	s_or_b32 exec_lo, exec_lo, s75
	s_and_saveexec_b32 s75, s11
	s_cbranch_execnz .LBB255_85
.LBB255_53:                             ;   in Loop: Header=BB255_41 Depth=1
	s_or_b32 exec_lo, exec_lo, s75
	s_and_saveexec_b32 s75, s12
	s_cbranch_execnz .LBB255_86
.LBB255_54:                             ;   in Loop: Header=BB255_41 Depth=1
	s_or_b32 exec_lo, exec_lo, s75
	s_and_saveexec_b32 s75, s13
	s_cbranch_execnz .LBB255_87
.LBB255_55:                             ;   in Loop: Header=BB255_41 Depth=1
	s_or_b32 exec_lo, exec_lo, s75
	s_and_saveexec_b32 s75, s14
	s_cbranch_execnz .LBB255_88
.LBB255_56:                             ;   in Loop: Header=BB255_41 Depth=1
	s_or_b32 exec_lo, exec_lo, s75
	s_and_saveexec_b32 s75, s15
	s_cbranch_execnz .LBB255_89
.LBB255_57:                             ;   in Loop: Header=BB255_41 Depth=1
	s_or_b32 exec_lo, exec_lo, s75
	s_and_saveexec_b32 s75, s16
	s_cbranch_execnz .LBB255_90
.LBB255_58:                             ;   in Loop: Header=BB255_41 Depth=1
	s_or_b32 exec_lo, exec_lo, s75
	s_and_saveexec_b32 s75, s17
	s_cbranch_execnz .LBB255_91
.LBB255_59:                             ;   in Loop: Header=BB255_41 Depth=1
	s_or_b32 exec_lo, exec_lo, s75
	s_and_saveexec_b32 s75, s18
	s_cbranch_execnz .LBB255_92
.LBB255_60:                             ;   in Loop: Header=BB255_41 Depth=1
	s_or_b32 exec_lo, exec_lo, s75
	s_and_saveexec_b32 s75, s19
	s_cbranch_execnz .LBB255_93
.LBB255_61:                             ;   in Loop: Header=BB255_41 Depth=1
	s_or_b32 exec_lo, exec_lo, s75
	s_and_saveexec_b32 s75, s20
	s_cbranch_execnz .LBB255_94
.LBB255_62:                             ;   in Loop: Header=BB255_41 Depth=1
	s_or_b32 exec_lo, exec_lo, s75
	s_and_saveexec_b32 s75, s21
	s_cbranch_execnz .LBB255_95
.LBB255_63:                             ;   in Loop: Header=BB255_41 Depth=1
	s_or_b32 exec_lo, exec_lo, s75
	s_and_saveexec_b32 s75, s22
	s_cbranch_execnz .LBB255_96
.LBB255_64:                             ;   in Loop: Header=BB255_41 Depth=1
	s_or_b32 exec_lo, exec_lo, s75
	s_and_saveexec_b32 s75, s23
	s_cbranch_execnz .LBB255_97
.LBB255_65:                             ;   in Loop: Header=BB255_41 Depth=1
	s_or_b32 exec_lo, exec_lo, s75
	s_and_saveexec_b32 s75, s24
	s_cbranch_execnz .LBB255_98
.LBB255_66:                             ;   in Loop: Header=BB255_41 Depth=1
	s_or_b32 exec_lo, exec_lo, s75
	s_and_saveexec_b32 s75, s25
	s_cbranch_execnz .LBB255_99
.LBB255_67:                             ;   in Loop: Header=BB255_41 Depth=1
	s_or_b32 exec_lo, exec_lo, s75
	s_and_saveexec_b32 s75, s26
	s_cbranch_execnz .LBB255_100
.LBB255_68:                             ;   in Loop: Header=BB255_41 Depth=1
	s_or_b32 exec_lo, exec_lo, s75
	s_and_saveexec_b32 s75, s27
	s_cbranch_execnz .LBB255_101
.LBB255_69:                             ;   in Loop: Header=BB255_41 Depth=1
	s_or_b32 exec_lo, exec_lo, s75
	s_and_saveexec_b32 s75, s28
	s_cbranch_execnz .LBB255_102
.LBB255_70:                             ;   in Loop: Header=BB255_41 Depth=1
	s_or_b32 exec_lo, exec_lo, s75
	s_and_saveexec_b32 s75, s29
	s_cbranch_execnz .LBB255_103
.LBB255_71:                             ;   in Loop: Header=BB255_41 Depth=1
	s_or_b32 exec_lo, exec_lo, s75
	s_and_saveexec_b32 s75, s30
	s_cbranch_execnz .LBB255_104
.LBB255_72:                             ;   in Loop: Header=BB255_41 Depth=1
	s_or_b32 exec_lo, exec_lo, s75
	s_and_saveexec_b32 s75, s31
	s_cbranch_execnz .LBB255_105
.LBB255_73:                             ;   in Loop: Header=BB255_41 Depth=1
	s_or_b32 exec_lo, exec_lo, s75
	s_and_saveexec_b32 s31, vcc_lo
	s_cbranch_execz .LBB255_40
	s_branch .LBB255_106
.LBB255_74:                             ;   in Loop: Header=BB255_41 Depth=1
	v_mov_b32_e32 v8, s36
	ds_load_b32 v8, v8
	s_waitcnt lgkmcnt(0)
	v_add_nc_u32_e32 v7, v8, v7
	s_or_b32 exec_lo, exec_lo, s75
	s_and_saveexec_b32 s75, s1
	s_cbranch_execz .LBB255_43
.LBB255_75:                             ;   in Loop: Header=BB255_41 Depth=1
	v_mov_b32_e32 v8, s37
	ds_load_b32 v8, v8
	s_waitcnt lgkmcnt(0)
	v_add_nc_u32_e32 v7, v8, v7
	s_or_b32 exec_lo, exec_lo, s75
	s_and_saveexec_b32 s75, s2
	s_cbranch_execz .LBB255_44
.LBB255_76:                             ;   in Loop: Header=BB255_41 Depth=1
	v_mov_b32_e32 v8, s38
	ds_load_b32 v8, v8
	s_waitcnt lgkmcnt(0)
	v_add_nc_u32_e32 v7, v8, v7
	s_or_b32 exec_lo, exec_lo, s75
	s_and_saveexec_b32 s75, s3
	s_cbranch_execz .LBB255_45
.LBB255_77:                             ;   in Loop: Header=BB255_41 Depth=1
	v_mov_b32_e32 v8, s39
	ds_load_b32 v8, v8
	s_waitcnt lgkmcnt(0)
	v_add_nc_u32_e32 v7, v8, v7
	s_or_b32 exec_lo, exec_lo, s75
	s_and_saveexec_b32 s75, s4
	s_cbranch_execz .LBB255_46
.LBB255_78:                             ;   in Loop: Header=BB255_41 Depth=1
	v_mov_b32_e32 v8, s40
	ds_load_b32 v8, v8
	s_waitcnt lgkmcnt(0)
	v_add_nc_u32_e32 v7, v8, v7
	s_or_b32 exec_lo, exec_lo, s75
	s_and_saveexec_b32 s75, s5
	s_cbranch_execz .LBB255_47
.LBB255_79:                             ;   in Loop: Header=BB255_41 Depth=1
	v_mov_b32_e32 v8, s41
	ds_load_b32 v8, v8
	s_waitcnt lgkmcnt(0)
	v_add_nc_u32_e32 v7, v8, v7
	s_or_b32 exec_lo, exec_lo, s75
	s_and_saveexec_b32 s75, s6
	s_cbranch_execz .LBB255_48
.LBB255_80:                             ;   in Loop: Header=BB255_41 Depth=1
	v_mov_b32_e32 v8, s44
	ds_load_b32 v8, v8
	s_waitcnt lgkmcnt(0)
	v_add_nc_u32_e32 v7, v8, v7
	s_or_b32 exec_lo, exec_lo, s75
	s_and_saveexec_b32 s75, s7
	s_cbranch_execz .LBB255_49
.LBB255_81:                             ;   in Loop: Header=BB255_41 Depth=1
	v_mov_b32_e32 v8, s45
	ds_load_b32 v8, v8
	s_waitcnt lgkmcnt(0)
	v_add_nc_u32_e32 v7, v8, v7
	s_or_b32 exec_lo, exec_lo, s75
	s_and_saveexec_b32 s75, s8
	s_cbranch_execz .LBB255_50
.LBB255_82:                             ;   in Loop: Header=BB255_41 Depth=1
	v_mov_b32_e32 v8, s47
	ds_load_b32 v8, v8
	s_waitcnt lgkmcnt(0)
	v_add_nc_u32_e32 v7, v8, v7
	s_or_b32 exec_lo, exec_lo, s75
	s_and_saveexec_b32 s75, s9
	s_cbranch_execz .LBB255_51
.LBB255_83:                             ;   in Loop: Header=BB255_41 Depth=1
	v_mov_b32_e32 v8, s52
	ds_load_b32 v8, v8
	s_waitcnt lgkmcnt(0)
	v_add_nc_u32_e32 v7, v8, v7
	s_or_b32 exec_lo, exec_lo, s75
	s_and_saveexec_b32 s75, s10
	s_cbranch_execz .LBB255_52
.LBB255_84:                             ;   in Loop: Header=BB255_41 Depth=1
	v_mov_b32_e32 v8, s53
	ds_load_b32 v8, v8
	s_waitcnt lgkmcnt(0)
	v_add_nc_u32_e32 v7, v8, v7
	s_or_b32 exec_lo, exec_lo, s75
	s_and_saveexec_b32 s75, s11
	s_cbranch_execz .LBB255_53
.LBB255_85:                             ;   in Loop: Header=BB255_41 Depth=1
	v_mov_b32_e32 v8, s54
	ds_load_b32 v8, v8
	s_waitcnt lgkmcnt(0)
	v_add_nc_u32_e32 v7, v8, v7
	s_or_b32 exec_lo, exec_lo, s75
	s_and_saveexec_b32 s75, s12
	s_cbranch_execz .LBB255_54
.LBB255_86:                             ;   in Loop: Header=BB255_41 Depth=1
	v_mov_b32_e32 v8, s55
	ds_load_b32 v8, v8
	s_waitcnt lgkmcnt(0)
	v_add_nc_u32_e32 v7, v8, v7
	s_or_b32 exec_lo, exec_lo, s75
	s_and_saveexec_b32 s75, s13
	s_cbranch_execz .LBB255_55
.LBB255_87:                             ;   in Loop: Header=BB255_41 Depth=1
	v_mov_b32_e32 v8, s56
	ds_load_b32 v8, v8
	s_waitcnt lgkmcnt(0)
	v_add_nc_u32_e32 v7, v8, v7
	s_or_b32 exec_lo, exec_lo, s75
	s_and_saveexec_b32 s75, s14
	s_cbranch_execz .LBB255_56
.LBB255_88:                             ;   in Loop: Header=BB255_41 Depth=1
	v_mov_b32_e32 v8, s57
	ds_load_b32 v8, v8
	s_waitcnt lgkmcnt(0)
	v_add_nc_u32_e32 v7, v8, v7
	s_or_b32 exec_lo, exec_lo, s75
	s_and_saveexec_b32 s75, s15
	s_cbranch_execz .LBB255_57
.LBB255_89:                             ;   in Loop: Header=BB255_41 Depth=1
	v_mov_b32_e32 v8, s58
	ds_load_b32 v8, v8
	s_waitcnt lgkmcnt(0)
	v_add_nc_u32_e32 v7, v8, v7
	s_or_b32 exec_lo, exec_lo, s75
	s_and_saveexec_b32 s75, s16
	s_cbranch_execz .LBB255_58
.LBB255_90:                             ;   in Loop: Header=BB255_41 Depth=1
	v_mov_b32_e32 v8, s59
	ds_load_b32 v8, v8
	s_waitcnt lgkmcnt(0)
	v_add_nc_u32_e32 v7, v8, v7
	s_or_b32 exec_lo, exec_lo, s75
	s_and_saveexec_b32 s75, s17
	s_cbranch_execz .LBB255_59
.LBB255_91:                             ;   in Loop: Header=BB255_41 Depth=1
	v_mov_b32_e32 v8, s60
	ds_load_b32 v8, v8
	s_waitcnt lgkmcnt(0)
	v_add_nc_u32_e32 v7, v8, v7
	s_or_b32 exec_lo, exec_lo, s75
	s_and_saveexec_b32 s75, s18
	s_cbranch_execz .LBB255_60
.LBB255_92:                             ;   in Loop: Header=BB255_41 Depth=1
	v_mov_b32_e32 v8, s61
	ds_load_b32 v8, v8
	s_waitcnt lgkmcnt(0)
	v_add_nc_u32_e32 v7, v8, v7
	s_or_b32 exec_lo, exec_lo, s75
	s_and_saveexec_b32 s75, s19
	s_cbranch_execz .LBB255_61
.LBB255_93:                             ;   in Loop: Header=BB255_41 Depth=1
	v_mov_b32_e32 v8, s62
	ds_load_b32 v8, v8
	s_waitcnt lgkmcnt(0)
	v_add_nc_u32_e32 v7, v8, v7
	s_or_b32 exec_lo, exec_lo, s75
	s_and_saveexec_b32 s75, s20
	s_cbranch_execz .LBB255_62
.LBB255_94:                             ;   in Loop: Header=BB255_41 Depth=1
	v_mov_b32_e32 v8, s63
	ds_load_b32 v8, v8
	s_waitcnt lgkmcnt(0)
	v_add_nc_u32_e32 v7, v8, v7
	s_or_b32 exec_lo, exec_lo, s75
	s_and_saveexec_b32 s75, s21
	s_cbranch_execz .LBB255_63
.LBB255_95:                             ;   in Loop: Header=BB255_41 Depth=1
	v_mov_b32_e32 v8, s64
	ds_load_b32 v8, v8
	s_waitcnt lgkmcnt(0)
	v_add_nc_u32_e32 v7, v8, v7
	s_or_b32 exec_lo, exec_lo, s75
	s_and_saveexec_b32 s75, s22
	s_cbranch_execz .LBB255_64
.LBB255_96:                             ;   in Loop: Header=BB255_41 Depth=1
	v_mov_b32_e32 v8, s65
	ds_load_b32 v8, v8
	s_waitcnt lgkmcnt(0)
	v_add_nc_u32_e32 v7, v8, v7
	s_or_b32 exec_lo, exec_lo, s75
	s_and_saveexec_b32 s75, s23
	s_cbranch_execz .LBB255_65
.LBB255_97:                             ;   in Loop: Header=BB255_41 Depth=1
	v_mov_b32_e32 v8, s66
	ds_load_b32 v8, v8
	s_waitcnt lgkmcnt(0)
	v_add_nc_u32_e32 v7, v8, v7
	s_or_b32 exec_lo, exec_lo, s75
	s_and_saveexec_b32 s75, s24
	s_cbranch_execz .LBB255_66
.LBB255_98:                             ;   in Loop: Header=BB255_41 Depth=1
	v_mov_b32_e32 v8, s67
	ds_load_b32 v8, v8
	s_waitcnt lgkmcnt(0)
	v_add_nc_u32_e32 v7, v8, v7
	s_or_b32 exec_lo, exec_lo, s75
	s_and_saveexec_b32 s75, s25
	s_cbranch_execz .LBB255_67
.LBB255_99:                             ;   in Loop: Header=BB255_41 Depth=1
	v_mov_b32_e32 v8, s68
	ds_load_b32 v8, v8
	s_waitcnt lgkmcnt(0)
	v_add_nc_u32_e32 v7, v8, v7
	s_or_b32 exec_lo, exec_lo, s75
	s_and_saveexec_b32 s75, s26
	s_cbranch_execz .LBB255_68
.LBB255_100:                            ;   in Loop: Header=BB255_41 Depth=1
	v_mov_b32_e32 v8, s69
	ds_load_b32 v8, v8
	s_waitcnt lgkmcnt(0)
	v_add_nc_u32_e32 v7, v8, v7
	s_or_b32 exec_lo, exec_lo, s75
	s_and_saveexec_b32 s75, s27
	s_cbranch_execz .LBB255_69
.LBB255_101:                            ;   in Loop: Header=BB255_41 Depth=1
	v_mov_b32_e32 v8, s71
	ds_load_b32 v8, v8
	s_waitcnt lgkmcnt(0)
	v_add_nc_u32_e32 v7, v8, v7
	s_or_b32 exec_lo, exec_lo, s75
	s_and_saveexec_b32 s75, s28
	s_cbranch_execz .LBB255_70
.LBB255_102:                            ;   in Loop: Header=BB255_41 Depth=1
	v_mov_b32_e32 v8, s72
	ds_load_b32 v8, v8
	s_waitcnt lgkmcnt(0)
	v_add_nc_u32_e32 v7, v8, v7
	s_or_b32 exec_lo, exec_lo, s75
	s_and_saveexec_b32 s75, s29
	s_cbranch_execz .LBB255_71
.LBB255_103:                            ;   in Loop: Header=BB255_41 Depth=1
	v_mov_b32_e32 v8, s73
	ds_load_b32 v8, v8
	s_waitcnt lgkmcnt(0)
	v_add_nc_u32_e32 v7, v8, v7
	s_or_b32 exec_lo, exec_lo, s75
	s_and_saveexec_b32 s75, s30
	s_cbranch_execz .LBB255_72
.LBB255_104:                            ;   in Loop: Header=BB255_41 Depth=1
	v_mov_b32_e32 v8, s74
	ds_load_b32 v8, v8
	s_waitcnt lgkmcnt(0)
	v_add_nc_u32_e32 v7, v8, v7
	s_or_b32 exec_lo, exec_lo, s75
	s_and_saveexec_b32 s75, s31
	s_cbranch_execz .LBB255_73
.LBB255_105:                            ;   in Loop: Header=BB255_41 Depth=1
	scratch_load_b128 v[8:11], off, off
	v_add3_u32 v12, v4, -1, v7
	s_delay_alu instid0(VALU_DEP_1) | instskip(SKIP_1) | instid1(VALU_DEP_2)
	v_lshlrev_b32_e32 v13, 4, v12
	v_lshl_add_u32 v12, v12, 2, 0
	v_add3_u32 v13, 0, v13, 0x20000
	ds_store_b32 v12, v6
	s_waitcnt vmcnt(0)
	ds_store_2addr_b64 v13, v[8:9], v[10:11] offset1:1
	s_or_b32 exec_lo, exec_lo, s75
	s_and_saveexec_b32 s31, vcc_lo
	s_cbranch_execz .LBB255_40
.LBB255_106:                            ;   in Loop: Header=BB255_41 Depth=1
	v_mov_b32_e32 v6, s70
	ds_store_b32 v6, v7
	s_branch .LBB255_40
.LBB255_107:                            ;   in Loop: Header=BB255_108 Depth=1
	s_or_b32 exec_lo, exec_lo, s4
	v_add_co_u32 v5, vcc_lo, 0x400, v5
	v_add_co_ci_u32_e32 v6, vcc_lo, 0, v6, vcc_lo
	s_delay_alu instid0(VALU_DEP_1) | instskip(SKIP_1) | instid1(SALU_CYCLE_1)
	v_cmp_le_i64_e32 vcc_lo, s[0:1], v[5:6]
	s_or_b32 s3, vcc_lo, s3
	s_and_not1_b32 exec_lo, exec_lo, s3
	s_cbranch_execz .LBB255_38
.LBB255_108:                            ; =>This Loop Header: Depth=1
                                        ;     Child Loop BB255_110 Depth 2
                                        ;       Child Loop BB255_116 Depth 3
                                        ;       Child Loop BB255_118 Depth 3
	;; [unrolled: 1-line block ×4, first 2 shown]
	v_lshlrev_b64 v[7:8], 4, v[5:6]
	s_mov_b32 s4, 0
	s_delay_alu instid0(VALU_DEP_1) | instskip(NEXT) | instid1(VALU_DEP_2)
	v_add_co_u32 v7, vcc_lo, s40, v7
	v_add_co_ci_u32_e32 v8, vcc_lo, s41, v8, vcc_lo
	global_load_b128 v[9:12], v[7:8], off
	v_lshlrev_b64 v[7:8], 2, v[5:6]
	s_delay_alu instid0(VALU_DEP_1) | instskip(NEXT) | instid1(VALU_DEP_2)
	v_add_co_u32 v7, vcc_lo, s38, v7
	v_add_co_ci_u32_e32 v8, vcc_lo, s39, v8, vcc_lo
	global_load_b32 v13, v[7:8], off
	s_waitcnt vmcnt(1)
	v_mul_f64 v[7:8], v[11:12], -v[1:2]
	v_mul_f64 v[11:12], v[3:4], v[11:12]
	s_waitcnt vmcnt(0)
	v_subrev_nc_u32_e32 v13, s47, v13
	s_delay_alu instid0(VALU_DEP_3) | instskip(NEXT) | instid1(VALU_DEP_3)
	v_fma_f64 v[7:8], v[3:4], v[9:10], v[7:8]
	v_fma_f64 v[9:10], v[1:2], v[9:10], v[11:12]
	s_delay_alu instid0(VALU_DEP_3) | instskip(NEXT) | instid1(VALU_DEP_1)
	v_mul_lo_u32 v11, 0x89, v13
	v_and_b32_e32 v14, 0x7fff, v11
	s_branch .LBB255_110
.LBB255_109:                            ;   in Loop: Header=BB255_110 Depth=2
	s_or_b32 exec_lo, exec_lo, s5
	s_xor_b32 s5, s6, -1
	s_delay_alu instid0(SALU_CYCLE_1) | instskip(NEXT) | instid1(SALU_CYCLE_1)
	s_and_b32 s5, exec_lo, s5
	s_or_b32 s4, s5, s4
	s_delay_alu instid0(SALU_CYCLE_1)
	s_and_not1_b32 exec_lo, exec_lo, s4
	s_cbranch_execz .LBB255_107
.LBB255_110:                            ;   Parent Loop BB255_108 Depth=1
                                        ; =>  This Loop Header: Depth=2
                                        ;       Child Loop BB255_116 Depth 3
                                        ;       Child Loop BB255_118 Depth 3
                                        ;       Child Loop BB255_124 Depth 3
                                        ;       Child Loop BB255_126 Depth 3
	s_delay_alu instid0(VALU_DEP_1)
	v_lshl_add_u32 v11, v14, 2, 0
	s_mov_b32 s5, exec_lo
                                        ; implicit-def: $sgpr6
	ds_load_b32 v12, v11
	s_waitcnt lgkmcnt(0)
	v_cmpx_ne_u32_e64 v12, v13
	s_xor_b32 s5, exec_lo, s5
	s_cbranch_execz .LBB255_122
; %bb.111:                              ;   in Loop: Header=BB255_110 Depth=2
	s_mov_b32 s7, exec_lo
                                        ; implicit-def: $sgpr6
	v_cmpx_ne_u32_e64 s33, v12
	s_xor_b32 s7, exec_lo, s7
; %bb.112:                              ;   in Loop: Header=BB255_110 Depth=2
	v_add_nc_u32_e32 v11, 1, v14
	s_mov_b32 s6, -1
	s_delay_alu instid0(VALU_DEP_1)
	v_and_b32_e32 v14, 0x7fff, v11
                                        ; implicit-def: $vgpr11
; %bb.113:                              ;   in Loop: Header=BB255_110 Depth=2
	s_and_not1_saveexec_b32 s7, s7
	s_cbranch_execz .LBB255_121
; %bb.114:                              ;   in Loop: Header=BB255_110 Depth=2
	v_mov_b32_e32 v12, s33
	s_mov_b32 s9, -1
	s_mov_b32 s8, exec_lo
	ds_cmpstore_rtn_b32 v11, v11, v13, v12
	s_waitcnt lgkmcnt(0)
	v_cmpx_eq_u32_e64 s33, v11
	s_cbranch_execz .LBB255_120
; %bb.115:                              ;   in Loop: Header=BB255_110 Depth=2
	v_lshlrev_b32_e32 v11, 4, v14
	s_mov_b32 s9, 0
	s_delay_alu instid0(VALU_DEP_1)
	v_add3_u32 v15, 0, v11, 0x20000
	ds_load_b64 v[11:12], v15
.LBB255_116:                            ;   Parent Loop BB255_108 Depth=1
                                        ;     Parent Loop BB255_110 Depth=2
                                        ; =>    This Inner Loop Header: Depth=3
	s_waitcnt lgkmcnt(0)
	v_add_f64 v[16:17], v[11:12], v[7:8]
	ds_cmpstore_rtn_b64 v[16:17], v15, v[16:17], v[11:12]
	s_waitcnt lgkmcnt(0)
	v_cmp_eq_u64_e32 vcc_lo, v[16:17], v[11:12]
	v_dual_mov_b32 v11, v16 :: v_dual_mov_b32 v12, v17
	s_or_b32 s9, vcc_lo, s9
	s_delay_alu instid0(SALU_CYCLE_1)
	s_and_not1_b32 exec_lo, exec_lo, s9
	s_cbranch_execnz .LBB255_116
; %bb.117:                              ;   in Loop: Header=BB255_110 Depth=2
	s_or_b32 exec_lo, exec_lo, s9
	ds_load_b64 v[11:12], v15 offset:8
	s_mov_b32 s9, 0
.LBB255_118:                            ;   Parent Loop BB255_108 Depth=1
                                        ;     Parent Loop BB255_110 Depth=2
                                        ; =>    This Inner Loop Header: Depth=3
	s_waitcnt lgkmcnt(0)
	v_add_f64 v[16:17], v[11:12], v[9:10]
	ds_cmpstore_rtn_b64 v[16:17], v15, v[16:17], v[11:12] offset:8
	s_waitcnt lgkmcnt(0)
	v_cmp_eq_u64_e32 vcc_lo, v[16:17], v[11:12]
	v_dual_mov_b32 v11, v16 :: v_dual_mov_b32 v12, v17
	s_or_b32 s9, vcc_lo, s9
	s_delay_alu instid0(SALU_CYCLE_1)
	s_and_not1_b32 exec_lo, exec_lo, s9
	s_cbranch_execnz .LBB255_118
; %bb.119:                              ;   in Loop: Header=BB255_110 Depth=2
	s_or_b32 exec_lo, exec_lo, s9
	s_delay_alu instid0(SALU_CYCLE_1)
	s_xor_b32 s9, exec_lo, -1
.LBB255_120:                            ;   in Loop: Header=BB255_110 Depth=2
	s_or_b32 exec_lo, exec_lo, s8
	s_delay_alu instid0(SALU_CYCLE_1) | instskip(SKIP_1) | instid1(SALU_CYCLE_1)
	s_and_not1_b32 s6, s6, exec_lo
	s_and_b32 s8, s9, exec_lo
	s_or_b32 s6, s6, s8
.LBB255_121:                            ;   in Loop: Header=BB255_110 Depth=2
	s_or_b32 exec_lo, exec_lo, s7
	s_delay_alu instid0(SALU_CYCLE_1)
	s_and_b32 s6, s6, exec_lo
.LBB255_122:                            ;   in Loop: Header=BB255_110 Depth=2
	s_and_not1_saveexec_b32 s5, s5
	s_cbranch_execz .LBB255_109
; %bb.123:                              ;   in Loop: Header=BB255_110 Depth=2
	v_lshlrev_b32_e32 v11, 4, v14
	s_mov_b32 s7, 0
	s_delay_alu instid0(VALU_DEP_1)
	v_add3_u32 v15, 0, v11, 0x20000
	ds_load_b64 v[11:12], v15
.LBB255_124:                            ;   Parent Loop BB255_108 Depth=1
                                        ;     Parent Loop BB255_110 Depth=2
                                        ; =>    This Inner Loop Header: Depth=3
	s_waitcnt lgkmcnt(0)
	v_add_f64 v[16:17], v[11:12], v[7:8]
	ds_cmpstore_rtn_b64 v[16:17], v15, v[16:17], v[11:12]
	s_waitcnt lgkmcnt(0)
	v_cmp_eq_u64_e32 vcc_lo, v[16:17], v[11:12]
	v_dual_mov_b32 v11, v16 :: v_dual_mov_b32 v12, v17
	s_or_b32 s7, vcc_lo, s7
	s_delay_alu instid0(SALU_CYCLE_1)
	s_and_not1_b32 exec_lo, exec_lo, s7
	s_cbranch_execnz .LBB255_124
; %bb.125:                              ;   in Loop: Header=BB255_110 Depth=2
	s_or_b32 exec_lo, exec_lo, s7
	ds_load_b64 v[11:12], v15 offset:8
	s_mov_b32 s7, 0
.LBB255_126:                            ;   Parent Loop BB255_108 Depth=1
                                        ;     Parent Loop BB255_110 Depth=2
                                        ; =>    This Inner Loop Header: Depth=3
	s_waitcnt lgkmcnt(0)
	v_add_f64 v[16:17], v[11:12], v[9:10]
	ds_cmpstore_rtn_b64 v[16:17], v15, v[16:17], v[11:12] offset:8
	s_waitcnt lgkmcnt(0)
	v_cmp_eq_u64_e32 vcc_lo, v[16:17], v[11:12]
	v_dual_mov_b32 v11, v16 :: v_dual_mov_b32 v12, v17
	s_or_b32 s7, vcc_lo, s7
	s_delay_alu instid0(SALU_CYCLE_1)
	s_and_not1_b32 exec_lo, exec_lo, s7
	s_cbranch_execnz .LBB255_126
; %bb.127:                              ;   in Loop: Header=BB255_110 Depth=2
	s_or_b32 exec_lo, exec_lo, s7
	s_delay_alu instid0(SALU_CYCLE_1)
	s_and_not1_b32 s6, s6, exec_lo
	s_branch .LBB255_109
.LBB255_128:
	s_or_b32 exec_lo, exec_lo, s35
	s_ashr_i32 s35, s34, 31
	s_mov_b32 s4, exec_lo
	s_lshl_b64 s[0:1], s[34:35], 3
	s_delay_alu instid0(SALU_CYCLE_1) | instskip(SKIP_4) | instid1(SALU_CYCLE_1)
	s_add_u32 s0, s42, s0
	s_addc_u32 s1, s43, s1
	s_load_b128 s[0:3], s[0:1], 0x0
	s_waitcnt lgkmcnt(0)
	s_sub_i32 s3, s2, s0
	v_cmpx_gt_i32_e64 s3, v0
	s_cbranch_execz .LBB255_138
; %bb.129:
	s_sub_u32 s4, s0, s46
	s_subb_u32 s5, s1, 0
	s_sub_i32 s0, s0, s2
	s_and_b32 s1, s3, 7
	s_cmp_lt_u32 s0, -7
	s_mov_b32 s8, 0
	s_cselect_b32 s2, -1, 0
	s_and_b32 s6, s3, -8
	s_cmp_lg_u32 s1, 0
	s_cselect_b32 s7, -1, 0
	s_branch .LBB255_131
.LBB255_130:                            ;   in Loop: Header=BB255_131 Depth=1
	v_lshlrev_b32_e32 v4, 4, v0
	s_delay_alu instid0(VALU_DEP_2)
	v_lshlrev_b64 v[8:9], 2, v[1:2]
	v_lshlrev_b64 v[1:2], 4, v[1:2]
	v_add_nc_u32_e32 v0, 0x400, v0
	s_waitcnt lgkmcnt(0)
	v_add_nc_u32_e32 v3, s46, v3
	v_add3_u32 v4, 0, v4, 0x20000
	v_add_co_u32 v8, vcc_lo, s48, v8
	v_add_co_ci_u32_e32 v9, vcc_lo, s49, v9, vcc_lo
	ds_load_2addr_b64 v[4:7], v4 offset1:1
	v_cmp_le_i32_e32 vcc_lo, s3, v0
	v_add_co_u32 v1, s0, s50, v1
	s_delay_alu instid0(VALU_DEP_1)
	v_add_co_ci_u32_e64 v2, s0, s51, v2, s0
	s_or_b32 s8, vcc_lo, s8
	global_store_b32 v[8:9], v3, off
	s_waitcnt lgkmcnt(0)
	global_store_b128 v[1:2], v[4:7], off
	s_and_not1_b32 exec_lo, exec_lo, s8
	s_cbranch_execz .LBB255_138
.LBB255_131:                            ; =>This Loop Header: Depth=1
                                        ;     Child Loop BB255_133 Depth 2
                                        ;     Child Loop BB255_137 Depth 2
	v_lshl_add_u32 v1, v0, 2, 0
	s_and_not1_b32 vcc_lo, exec_lo, s2
	s_mov_b32 s0, 0
	ds_load_b32 v3, v1
	v_dual_mov_b32 v1, s4 :: v_dual_mov_b32 v2, s5
	s_cbranch_vccnz .LBB255_135
; %bb.132:                              ;   in Loop: Header=BB255_131 Depth=1
	v_dual_mov_b32 v1, s4 :: v_dual_mov_b32 v2, s5
	s_mov_b32 s9, 0
	s_mov_b32 s10, 0
.LBB255_133:                            ;   Parent Loop BB255_131 Depth=1
                                        ; =>  This Inner Loop Header: Depth=2
	s_delay_alu instid0(SALU_CYCLE_1)
	v_mov_b32_e32 v10, s10
	s_add_i32 s9, s9, 8
	s_add_i32 s10, s10, 32
	s_cmp_eq_u32 s6, s9
	ds_load_2addr_b32 v[4:5], v10 offset1:1
	ds_load_2addr_b32 v[6:7], v10 offset0:2 offset1:3
	ds_load_2addr_b32 v[8:9], v10 offset0:4 offset1:5
	;; [unrolled: 1-line block ×3, first 2 shown]
	s_waitcnt lgkmcnt(3)
	v_cmp_gt_i32_e32 vcc_lo, v3, v4
	v_cndmask_b32_e64 v4, 0, 1, vcc_lo
	v_cmp_gt_i32_e32 vcc_lo, v3, v5
	v_cndmask_b32_e64 v5, 0, 1, vcc_lo
	s_waitcnt lgkmcnt(2)
	v_cmp_gt_i32_e32 vcc_lo, v3, v6
	v_cndmask_b32_e64 v6, 0, 1, vcc_lo
	v_cmp_gt_i32_e32 vcc_lo, v3, v7
	v_cndmask_b32_e64 v7, 0, 1, vcc_lo
	s_waitcnt lgkmcnt(1)
	v_cmp_gt_i32_e32 vcc_lo, v3, v8
	v_cndmask_b32_e64 v8, 0, 1, vcc_lo
	v_add_co_u32 v1, vcc_lo, v1, v4
	v_add_co_ci_u32_e32 v2, vcc_lo, 0, v2, vcc_lo
	v_cmp_gt_i32_e32 vcc_lo, v3, v9
	s_delay_alu instid0(VALU_DEP_3) | instskip(NEXT) | instid1(VALU_DEP_1)
	v_add_co_u32 v1, s0, v1, v5
	v_add_co_ci_u32_e64 v2, s0, 0, v2, s0
	v_cndmask_b32_e64 v4, 0, 1, vcc_lo
	s_delay_alu instid0(VALU_DEP_3) | instskip(NEXT) | instid1(VALU_DEP_3)
	v_add_co_u32 v1, vcc_lo, v1, v6
	v_add_co_ci_u32_e32 v2, vcc_lo, 0, v2, vcc_lo
	s_waitcnt lgkmcnt(0)
	v_cmp_gt_i32_e32 vcc_lo, v3, v10
	s_delay_alu instid0(VALU_DEP_3) | instskip(NEXT) | instid1(VALU_DEP_1)
	v_add_co_u32 v1, s0, v1, v7
	v_add_co_ci_u32_e64 v2, s0, 0, v2, s0
	v_cndmask_b32_e64 v5, 0, 1, vcc_lo
	s_delay_alu instid0(VALU_DEP_3) | instskip(NEXT) | instid1(VALU_DEP_3)
	v_add_co_u32 v1, vcc_lo, v1, v8
	v_add_co_ci_u32_e32 v2, vcc_lo, 0, v2, vcc_lo
	v_cmp_gt_i32_e32 vcc_lo, v3, v11
	s_delay_alu instid0(VALU_DEP_3) | instskip(NEXT) | instid1(VALU_DEP_1)
	v_add_co_u32 v1, s0, v1, v4
	v_add_co_ci_u32_e64 v2, s0, 0, v2, s0
	v_cndmask_b32_e64 v4, 0, 1, vcc_lo
	s_delay_alu instid0(VALU_DEP_3) | instskip(NEXT) | instid1(VALU_DEP_3)
	v_add_co_u32 v1, vcc_lo, v1, v5
	v_add_co_ci_u32_e32 v2, vcc_lo, 0, v2, vcc_lo
	s_delay_alu instid0(VALU_DEP_2) | instskip(NEXT) | instid1(VALU_DEP_2)
	v_add_co_u32 v1, vcc_lo, v1, v4
	v_add_co_ci_u32_e32 v2, vcc_lo, 0, v2, vcc_lo
	s_cbranch_scc0 .LBB255_133
; %bb.134:                              ;   in Loop: Header=BB255_131 Depth=1
	s_mov_b32 s0, s6
.LBB255_135:                            ;   in Loop: Header=BB255_131 Depth=1
	s_and_not1_b32 vcc_lo, exec_lo, s7
	s_cbranch_vccnz .LBB255_130
; %bb.136:                              ;   in Loop: Header=BB255_131 Depth=1
	s_lshl_b32 s0, s0, 2
	s_mov_b32 s9, s1
	s_add_i32 s0, s0, 0
.LBB255_137:                            ;   Parent Loop BB255_131 Depth=1
                                        ; =>  This Inner Loop Header: Depth=2
	s_delay_alu instid0(SALU_CYCLE_1)
	v_mov_b32_e32 v4, s0
	s_add_i32 s9, s9, -1
	s_add_i32 s0, s0, 4
	s_cmp_lg_u32 s9, 0
	ds_load_b32 v4, v4
	s_waitcnt lgkmcnt(0)
	v_cmp_gt_i32_e32 vcc_lo, v3, v4
	v_cndmask_b32_e64 v4, 0, 1, vcc_lo
	s_delay_alu instid0(VALU_DEP_1)
	v_add_co_u32 v1, vcc_lo, v1, v4
	v_add_co_ci_u32_e32 v2, vcc_lo, 0, v2, vcc_lo
	s_cbranch_scc1 .LBB255_137
	s_branch .LBB255_130
.LBB255_138:
	s_nop 0
	s_sendmsg sendmsg(MSG_DEALLOC_VGPRS)
	s_endpgm
	.section	.rodata,"a",@progbits
	.p2align	6, 0x0
	.amdhsa_kernel _ZN9rocsparseL26csrgemm_fill_block_per_rowILj1024ELj64ELj32768ELj137ELj32Eli21rocsparse_complex_numIdEEEvT5_PKS3_S5_NS_24const_host_device_scalarIT6_EEPKT4_S5_PKS7_SB_S5_SD_S8_SB_S5_SD_SB_PS3_PS7_21rocsparse_index_base_SG_SG_SG_bbb
		.amdhsa_group_segment_fixed_size 0
		.amdhsa_private_segment_fixed_size 40
		.amdhsa_kernarg_size 172
		.amdhsa_user_sgpr_count 15
		.amdhsa_user_sgpr_dispatch_ptr 0
		.amdhsa_user_sgpr_queue_ptr 0
		.amdhsa_user_sgpr_kernarg_segment_ptr 1
		.amdhsa_user_sgpr_dispatch_id 0
		.amdhsa_user_sgpr_private_segment_size 0
		.amdhsa_wavefront_size32 1
		.amdhsa_uses_dynamic_stack 0
		.amdhsa_enable_private_segment 1
		.amdhsa_system_sgpr_workgroup_id_x 1
		.amdhsa_system_sgpr_workgroup_id_y 0
		.amdhsa_system_sgpr_workgroup_id_z 0
		.amdhsa_system_sgpr_workgroup_info 0
		.amdhsa_system_vgpr_workitem_id 0
		.amdhsa_next_free_vgpr 35
		.amdhsa_next_free_sgpr 76
		.amdhsa_reserve_vcc 1
		.amdhsa_float_round_mode_32 0
		.amdhsa_float_round_mode_16_64 0
		.amdhsa_float_denorm_mode_32 3
		.amdhsa_float_denorm_mode_16_64 3
		.amdhsa_dx10_clamp 1
		.amdhsa_ieee_mode 1
		.amdhsa_fp16_overflow 0
		.amdhsa_workgroup_processor_mode 1
		.amdhsa_memory_ordered 1
		.amdhsa_forward_progress 0
		.amdhsa_shared_vgpr_count 0
		.amdhsa_exception_fp_ieee_invalid_op 0
		.amdhsa_exception_fp_denorm_src 0
		.amdhsa_exception_fp_ieee_div_zero 0
		.amdhsa_exception_fp_ieee_overflow 0
		.amdhsa_exception_fp_ieee_underflow 0
		.amdhsa_exception_fp_ieee_inexact 0
		.amdhsa_exception_int_div_zero 0
	.end_amdhsa_kernel
	.section	.text._ZN9rocsparseL26csrgemm_fill_block_per_rowILj1024ELj64ELj32768ELj137ELj32Eli21rocsparse_complex_numIdEEEvT5_PKS3_S5_NS_24const_host_device_scalarIT6_EEPKT4_S5_PKS7_SB_S5_SD_S8_SB_S5_SD_SB_PS3_PS7_21rocsparse_index_base_SG_SG_SG_bbb,"axG",@progbits,_ZN9rocsparseL26csrgemm_fill_block_per_rowILj1024ELj64ELj32768ELj137ELj32Eli21rocsparse_complex_numIdEEEvT5_PKS3_S5_NS_24const_host_device_scalarIT6_EEPKT4_S5_PKS7_SB_S5_SD_S8_SB_S5_SD_SB_PS3_PS7_21rocsparse_index_base_SG_SG_SG_bbb,comdat
.Lfunc_end255:
	.size	_ZN9rocsparseL26csrgemm_fill_block_per_rowILj1024ELj64ELj32768ELj137ELj32Eli21rocsparse_complex_numIdEEEvT5_PKS3_S5_NS_24const_host_device_scalarIT6_EEPKT4_S5_PKS7_SB_S5_SD_S8_SB_S5_SD_SB_PS3_PS7_21rocsparse_index_base_SG_SG_SG_bbb, .Lfunc_end255-_ZN9rocsparseL26csrgemm_fill_block_per_rowILj1024ELj64ELj32768ELj137ELj32Eli21rocsparse_complex_numIdEEEvT5_PKS3_S5_NS_24const_host_device_scalarIT6_EEPKT4_S5_PKS7_SB_S5_SD_S8_SB_S5_SD_SB_PS3_PS7_21rocsparse_index_base_SG_SG_SG_bbb
                                        ; -- End function
	.section	.AMDGPU.csdata,"",@progbits
; Kernel info:
; codeLenInByte = 5592
; NumSgprs: 78
; NumVgprs: 35
; ScratchSize: 40
; MemoryBound: 0
; FloatMode: 240
; IeeeMode: 1
; LDSByteSize: 0 bytes/workgroup (compile time only)
; SGPRBlocks: 9
; VGPRBlocks: 4
; NumSGPRsForWavesPerEU: 78
; NumVGPRsForWavesPerEU: 35
; Occupancy: 16
; WaveLimiterHint : 1
; COMPUTE_PGM_RSRC2:SCRATCH_EN: 1
; COMPUTE_PGM_RSRC2:USER_SGPR: 15
; COMPUTE_PGM_RSRC2:TRAP_HANDLER: 0
; COMPUTE_PGM_RSRC2:TGID_X_EN: 1
; COMPUTE_PGM_RSRC2:TGID_Y_EN: 0
; COMPUTE_PGM_RSRC2:TGID_Z_EN: 0
; COMPUTE_PGM_RSRC2:TIDIG_COMP_CNT: 0
	.section	.text._ZN9rocsparseL26csrgemm_fill_block_per_rowILj1024ELj64ELj32768ELj137ELj64Eli21rocsparse_complex_numIdEEEvT5_PKS3_S5_NS_24const_host_device_scalarIT6_EEPKT4_S5_PKS7_SB_S5_SD_S8_SB_S5_SD_SB_PS3_PS7_21rocsparse_index_base_SG_SG_SG_bbb,"axG",@progbits,_ZN9rocsparseL26csrgemm_fill_block_per_rowILj1024ELj64ELj32768ELj137ELj64Eli21rocsparse_complex_numIdEEEvT5_PKS3_S5_NS_24const_host_device_scalarIT6_EEPKT4_S5_PKS7_SB_S5_SD_S8_SB_S5_SD_SB_PS3_PS7_21rocsparse_index_base_SG_SG_SG_bbb,comdat
	.globl	_ZN9rocsparseL26csrgemm_fill_block_per_rowILj1024ELj64ELj32768ELj137ELj64Eli21rocsparse_complex_numIdEEEvT5_PKS3_S5_NS_24const_host_device_scalarIT6_EEPKT4_S5_PKS7_SB_S5_SD_S8_SB_S5_SD_SB_PS3_PS7_21rocsparse_index_base_SG_SG_SG_bbb ; -- Begin function _ZN9rocsparseL26csrgemm_fill_block_per_rowILj1024ELj64ELj32768ELj137ELj64Eli21rocsparse_complex_numIdEEEvT5_PKS3_S5_NS_24const_host_device_scalarIT6_EEPKT4_S5_PKS7_SB_S5_SD_S8_SB_S5_SD_SB_PS3_PS7_21rocsparse_index_base_SG_SG_SG_bbb
	.p2align	8
	.type	_ZN9rocsparseL26csrgemm_fill_block_per_rowILj1024ELj64ELj32768ELj137ELj64Eli21rocsparse_complex_numIdEEEvT5_PKS3_S5_NS_24const_host_device_scalarIT6_EEPKT4_S5_PKS7_SB_S5_SD_S8_SB_S5_SD_SB_PS3_PS7_21rocsparse_index_base_SG_SG_SG_bbb,@function
_ZN9rocsparseL26csrgemm_fill_block_per_rowILj1024ELj64ELj32768ELj137ELj64Eli21rocsparse_complex_numIdEEEvT5_PKS3_S5_NS_24const_host_device_scalarIT6_EEPKT4_S5_PKS7_SB_S5_SD_S8_SB_S5_SD_SB_PS3_PS7_21rocsparse_index_base_SG_SG_SG_bbb: ; @_ZN9rocsparseL26csrgemm_fill_block_per_rowILj1024ELj64ELj32768ELj137ELj64Eli21rocsparse_complex_numIdEEEvT5_PKS3_S5_NS_24const_host_device_scalarIT6_EEPKT4_S5_PKS7_SB_S5_SD_S8_SB_S5_SD_SB_PS3_PS7_21rocsparse_index_base_SG_SG_SG_bbb
; %bb.0:
	s_clause 0x3
	s_load_b32 s14, s[0:1], 0xa8
	s_load_b128 s[4:7], s[0:1], 0x18
	s_load_b128 s[40:43], s[0:1], 0x58
	;; [unrolled: 1-line block ×3, first 2 shown]
	v_mov_b32_e32 v1, 0
	v_mov_b32_e32 v2, 0
	s_waitcnt lgkmcnt(0)
	s_bitcmp1_b32 s14, 0
	v_mov_b32_e32 v3, s4
	s_cselect_b32 s12, -1, 0
	s_bitcmp1_b32 s14, 16
	v_dual_mov_b32 v6, v2 :: v_dual_mov_b32 v5, v1
	s_cselect_b32 s2, -1, 0
	v_mov_b32_e32 v4, s5
	s_xor_b32 s13, s2, -1
	v_dual_mov_b32 v9, s40 :: v_dual_mov_b32 v10, s41
	v_cndmask_b32_e64 v7, 0, 1, s13
	s_bitcmp0_b32 s14, 0
	s_clause 0x1
	scratch_store_b64 off, v[3:4], off offset:16
	scratch_store_b64 off, v[9:10], off offset:24
	v_cmp_ne_u32_e32 vcc_lo, 1, v7
	v_dual_mov_b32 v8, v2 :: v_dual_mov_b32 v7, v1
	s_cbranch_scc1 .LBB256_3
; %bb.1:
	s_mov_b64 s[8:9], src_private_base
	s_and_b32 s3, s2, exec_lo
	s_cselect_b32 s3, s9, s5
	s_delay_alu instid0(SALU_CYCLE_1) | instskip(SKIP_2) | instid1(VALU_DEP_2)
	v_dual_mov_b32 v3, 16 :: v_dual_mov_b32 v4, s3
	v_dual_mov_b32 v8, s7 :: v_dual_mov_b32 v7, s6
	s_and_b32 vcc_lo, exec_lo, vcc_lo
	v_cndmask_b32_e64 v3, s4, v3, s2
	flat_load_b64 v[5:6], v[3:4]
	s_cbranch_vccnz .LBB256_3
; %bb.2:
	v_dual_mov_b32 v3, s4 :: v_dual_mov_b32 v4, s5
	flat_load_b64 v[7:8], v[3:4] offset:8
.LBB256_3:
	s_clause 0x4
	s_load_b128 s[28:31], s[0:1], 0x88
	s_load_b256 s[16:23], s[0:1], 0x68
	s_load_b128 s[36:39], s[0:1], 0x48
	s_load_b128 s[44:47], s[0:1], 0x8
	s_load_b256 s[4:11], s[0:1], 0x28
	s_bitcmp1_b32 s14, 8
	v_dual_mov_b32 v4, v2 :: v_dual_mov_b32 v3, v1
	s_cselect_b32 s3, -1, 0
	s_bfe_u32 s14, s14, 0x10008
	s_delay_alu instid0(SALU_CYCLE_1)
	s_cmp_eq_u32 s14, 0
	s_cbranch_scc1 .LBB256_6
; %bb.4:
	s_mov_b64 s[34:35], src_private_base
	s_and_b32 s14, s2, exec_lo
	s_cselect_b32 s14, s35, s41
	s_delay_alu instid0(SALU_CYCLE_1) | instskip(SKIP_1) | instid1(VALU_DEP_1)
	v_dual_mov_b32 v1, 24 :: v_dual_mov_b32 v2, s14
	s_and_not1_b32 vcc_lo, exec_lo, s13
	v_cndmask_b32_e64 v1, s40, v1, s2
	flat_load_b64 v[3:4], v[1:2]
	v_dual_mov_b32 v1, s42 :: v_dual_mov_b32 v2, s43
	s_cbranch_vccnz .LBB256_6
; %bb.5:
	v_dual_mov_b32 v1, s40 :: v_dual_mov_b32 v2, s41
	flat_load_b64 v[1:2], v[1:2] offset:8
.LBB256_6:
	s_load_b32 s33, s[0:1], 0x0
	s_mov_b32 s0, 0
	v_or_b32_e32 v25, 0xfffffc00, v0
	v_lshl_add_u32 v26, v0, 2, 0
	s_mov_b32 s1, s0
	s_delay_alu instid0(SALU_CYCLE_1)
	v_dual_mov_b32 v10, s1 :: v_dual_lshlrev_b32 v27, 4, v0
	s_mov_b32 s34, s0
	s_mov_b32 s35, s0
	v_dual_mov_b32 v11, s34 :: v_dual_mov_b32 v14, v26
	v_dual_mov_b32 v9, s0 :: v_dual_mov_b32 v12, s35
	v_add3_u32 v13, v27, 0, 0x20008
	s_waitcnt lgkmcnt(0)
	v_dual_mov_b32 v16, v25 :: v_dual_mov_b32 v15, s33
.LBB256_7:                              ; =>This Inner Loop Header: Depth=1
	s_delay_alu instid0(VALU_DEP_1)
	v_add_nc_u32_e32 v16, 0x400, v16
	ds_store_b32 v14, v15
	v_add_nc_u32_e32 v17, -8, v13
	v_add_nc_u32_e32 v13, 0x4000, v13
	v_add_nc_u32_e32 v14, 0x1000, v14
	v_cmp_lt_u32_e32 vcc_lo, 0x7bff, v16
	ds_store_2addr_b64 v17, v[9:10], v[11:12] offset1:1
	s_or_b32 s0, vcc_lo, s0
	s_delay_alu instid0(SALU_CYCLE_1)
	s_and_not1_b32 exec_lo, exec_lo, s0
	s_cbranch_execnz .LBB256_7
; %bb.8:
	s_or_b32 exec_lo, exec_lo, s0
	s_waitcnt vmcnt(0) lgkmcnt(0)
	s_waitcnt_vscnt null, 0x0
	s_barrier
	buffer_gl0_inv
	s_load_b32 s0, s[44:45], 0x0
	s_mov_b32 s1, 0
	v_lshrrev_b32_e32 v28, 6, v0
	s_waitcnt lgkmcnt(0)
	s_add_i32 s0, s0, s15
	s_delay_alu instid0(SALU_CYCLE_1) | instskip(NEXT) | instid1(SALU_CYCLE_1)
	s_lshl_b64 s[0:1], s[0:1], 2
	s_add_u32 s0, s46, s0
	s_addc_u32 s1, s47, s1
	s_and_b32 vcc_lo, exec_lo, s12
	s_load_b32 s34, s[0:1], 0x0
	s_cbranch_vccz .LBB256_36
; %bb.9:
	s_waitcnt lgkmcnt(0)
	s_ashr_i32 s35, s34, 31
	s_mov_b32 s2, exec_lo
	s_lshl_b64 s[0:1], s[34:35], 3
	s_delay_alu instid0(SALU_CYCLE_1) | instskip(SKIP_3) | instid1(VALU_DEP_1)
	s_add_u32 s0, s4, s0
	s_addc_u32 s1, s5, s1
	s_load_b128 s[12:15], s[0:1], 0x0
	v_sub_co_u32 v9, s0, v28, s24
	v_sub_co_ci_u32_e64 v10, null, 0, 0, s0
	s_waitcnt lgkmcnt(0)
	s_delay_alu instid0(VALU_DEP_2) | instskip(NEXT) | instid1(VALU_DEP_2)
	v_add_co_u32 v9, vcc_lo, s12, v9
	v_add_co_ci_u32_e32 v10, vcc_lo, s13, v10, vcc_lo
	s_sub_u32 s0, s14, s24
	s_subb_u32 s1, s15, 0
	s_delay_alu instid0(VALU_DEP_1) | instid1(SALU_CYCLE_1)
	v_cmpx_gt_i64_e64 s[0:1], v[9:10]
	s_cbranch_execz .LBB256_35
; %bb.10:
	v_and_b32_e32 v11, 63, v0
	s_mov_b32 s5, s25
	s_delay_alu instid0(VALU_DEP_1) | instskip(NEXT) | instid1(VALU_DEP_1)
	v_sub_co_u32 v29, s4, v11, s25
	v_sub_co_ci_u32_e64 v30, null, 0, 0, s4
	s_mov_b32 s4, 0
	s_branch .LBB256_12
.LBB256_11:                             ;   in Loop: Header=BB256_12 Depth=1
	s_or_b32 exec_lo, exec_lo, s12
	v_add_co_u32 v9, vcc_lo, v9, 16
	v_add_co_ci_u32_e32 v10, vcc_lo, 0, v10, vcc_lo
	s_delay_alu instid0(VALU_DEP_1) | instskip(SKIP_1) | instid1(SALU_CYCLE_1)
	v_cmp_le_i64_e32 vcc_lo, s[0:1], v[9:10]
	s_or_b32 s4, vcc_lo, s4
	s_and_not1_b32 exec_lo, exec_lo, s4
	s_cbranch_execz .LBB256_35
.LBB256_12:                             ; =>This Loop Header: Depth=1
                                        ;     Child Loop BB256_15 Depth 2
                                        ;       Child Loop BB256_17 Depth 3
                                        ;         Child Loop BB256_23 Depth 4
                                        ;         Child Loop BB256_25 Depth 4
	;; [unrolled: 1-line block ×4, first 2 shown]
	v_lshlrev_b64 v[11:12], 2, v[9:10]
	s_mov_b32 s12, exec_lo
	s_delay_alu instid0(VALU_DEP_1) | instskip(NEXT) | instid1(VALU_DEP_2)
	v_add_co_u32 v11, vcc_lo, s6, v11
	v_add_co_ci_u32_e32 v12, vcc_lo, s7, v12, vcc_lo
	global_load_b32 v11, v[11:12], off
	s_waitcnt vmcnt(0)
	v_subrev_nc_u32_e32 v11, s24, v11
	s_delay_alu instid0(VALU_DEP_1) | instskip(NEXT) | instid1(VALU_DEP_1)
	v_ashrrev_i32_e32 v12, 31, v11
	v_lshlrev_b64 v[11:12], 3, v[11:12]
	s_delay_alu instid0(VALU_DEP_1) | instskip(NEXT) | instid1(VALU_DEP_2)
	v_add_co_u32 v11, vcc_lo, s10, v11
	v_add_co_ci_u32_e32 v12, vcc_lo, s11, v12, vcc_lo
	global_load_b128 v[13:16], v[11:12], off
	s_waitcnt vmcnt(0)
	v_sub_co_u32 v11, vcc_lo, v15, s5
	v_subrev_co_ci_u32_e32 v12, vcc_lo, 0, v16, vcc_lo
	v_add_co_u32 v13, vcc_lo, v13, v29
	v_add_co_ci_u32_e32 v14, vcc_lo, v14, v30, vcc_lo
	s_delay_alu instid0(VALU_DEP_1)
	v_cmpx_lt_i64_e64 v[13:14], v[11:12]
	s_cbranch_execz .LBB256_11
; %bb.13:                               ;   in Loop: Header=BB256_12 Depth=1
	v_lshlrev_b64 v[15:16], 4, v[9:10]
	s_mov_b32 s13, 0
	s_delay_alu instid0(VALU_DEP_1) | instskip(NEXT) | instid1(VALU_DEP_2)
	v_add_co_u32 v15, vcc_lo, s8, v15
	v_add_co_ci_u32_e32 v16, vcc_lo, s9, v16, vcc_lo
	global_load_b128 v[17:20], v[15:16], off
	s_waitcnt vmcnt(0)
	v_mul_f64 v[15:16], v[19:20], -v[7:8]
	v_mul_f64 v[19:20], v[5:6], v[19:20]
	s_delay_alu instid0(VALU_DEP_2) | instskip(NEXT) | instid1(VALU_DEP_2)
	v_fma_f64 v[15:16], v[5:6], v[17:18], v[15:16]
	v_fma_f64 v[17:18], v[7:8], v[17:18], v[19:20]
	s_branch .LBB256_15
.LBB256_14:                             ;   in Loop: Header=BB256_15 Depth=2
	s_or_b32 exec_lo, exec_lo, s14
	v_add_co_u32 v13, vcc_lo, v13, 64
	v_add_co_ci_u32_e32 v14, vcc_lo, 0, v14, vcc_lo
	s_delay_alu instid0(VALU_DEP_1) | instskip(SKIP_1) | instid1(SALU_CYCLE_1)
	v_cmp_ge_i64_e32 vcc_lo, v[13:14], v[11:12]
	s_or_b32 s13, vcc_lo, s13
	s_and_not1_b32 exec_lo, exec_lo, s13
	s_cbranch_execz .LBB256_11
.LBB256_15:                             ;   Parent Loop BB256_12 Depth=1
                                        ; =>  This Loop Header: Depth=2
                                        ;       Child Loop BB256_17 Depth 3
                                        ;         Child Loop BB256_23 Depth 4
                                        ;         Child Loop BB256_25 Depth 4
	;; [unrolled: 1-line block ×4, first 2 shown]
	v_lshlrev_b64 v[19:20], 4, v[13:14]
	s_mov_b32 s14, 0
	s_delay_alu instid0(VALU_DEP_1) | instskip(NEXT) | instid1(VALU_DEP_2)
	v_add_co_u32 v19, vcc_lo, s38, v19
	v_add_co_ci_u32_e32 v20, vcc_lo, s39, v20, vcc_lo
	global_load_b128 v[21:24], v[19:20], off
	v_lshlrev_b64 v[19:20], 2, v[13:14]
	s_delay_alu instid0(VALU_DEP_1) | instskip(NEXT) | instid1(VALU_DEP_2)
	v_add_co_u32 v19, vcc_lo, s36, v19
	v_add_co_ci_u32_e32 v20, vcc_lo, s37, v20, vcc_lo
	global_load_b32 v31, v[19:20], off
	s_waitcnt vmcnt(1)
	v_mul_f64 v[19:20], v[23:24], -v[17:18]
	v_mul_f64 v[23:24], v[15:16], v[23:24]
	s_waitcnt vmcnt(0)
	v_subrev_nc_u32_e32 v31, s25, v31
	s_delay_alu instid0(VALU_DEP_3) | instskip(NEXT) | instid1(VALU_DEP_3)
	v_fma_f64 v[19:20], v[15:16], v[21:22], v[19:20]
	v_fma_f64 v[21:22], v[17:18], v[21:22], v[23:24]
	s_delay_alu instid0(VALU_DEP_3) | instskip(NEXT) | instid1(VALU_DEP_1)
	v_mul_lo_u32 v23, 0x89, v31
	v_and_b32_e32 v32, 0x7fff, v23
	s_branch .LBB256_17
.LBB256_16:                             ;   in Loop: Header=BB256_17 Depth=3
	s_or_b32 exec_lo, exec_lo, s15
	s_xor_b32 s15, s35, -1
	s_delay_alu instid0(SALU_CYCLE_1) | instskip(NEXT) | instid1(SALU_CYCLE_1)
	s_and_b32 s15, exec_lo, s15
	s_or_b32 s14, s15, s14
	s_delay_alu instid0(SALU_CYCLE_1)
	s_and_not1_b32 exec_lo, exec_lo, s14
	s_cbranch_execz .LBB256_14
.LBB256_17:                             ;   Parent Loop BB256_12 Depth=1
                                        ;     Parent Loop BB256_15 Depth=2
                                        ; =>    This Loop Header: Depth=3
                                        ;         Child Loop BB256_23 Depth 4
                                        ;         Child Loop BB256_25 Depth 4
	;; [unrolled: 1-line block ×4, first 2 shown]
	s_delay_alu instid0(VALU_DEP_1)
	v_lshl_add_u32 v23, v32, 2, 0
	s_mov_b32 s15, exec_lo
                                        ; implicit-def: $sgpr35
	ds_load_b32 v24, v23
	s_waitcnt lgkmcnt(0)
	v_cmpx_ne_u32_e64 v24, v31
	s_xor_b32 s15, exec_lo, s15
	s_cbranch_execz .LBB256_29
; %bb.18:                               ;   in Loop: Header=BB256_17 Depth=3
	s_mov_b32 s40, exec_lo
                                        ; implicit-def: $sgpr35
	v_cmpx_ne_u32_e64 s33, v24
	s_xor_b32 s40, exec_lo, s40
; %bb.19:                               ;   in Loop: Header=BB256_17 Depth=3
	v_add_nc_u32_e32 v23, 1, v32
	s_mov_b32 s35, -1
	s_delay_alu instid0(VALU_DEP_1)
	v_and_b32_e32 v32, 0x7fff, v23
                                        ; implicit-def: $vgpr23
; %bb.20:                               ;   in Loop: Header=BB256_17 Depth=3
	s_and_not1_saveexec_b32 s40, s40
	s_cbranch_execz .LBB256_28
; %bb.21:                               ;   in Loop: Header=BB256_17 Depth=3
	v_mov_b32_e32 v24, s33
	s_mov_b32 s42, -1
	s_mov_b32 s41, exec_lo
	ds_cmpstore_rtn_b32 v23, v23, v31, v24
	s_waitcnt lgkmcnt(0)
	v_cmpx_eq_u32_e64 s33, v23
	s_cbranch_execz .LBB256_27
; %bb.22:                               ;   in Loop: Header=BB256_17 Depth=3
	v_lshlrev_b32_e32 v23, 4, v32
	s_mov_b32 s42, 0
	s_delay_alu instid0(VALU_DEP_1)
	v_add3_u32 v33, 0, v23, 0x20000
	ds_load_b64 v[23:24], v33
.LBB256_23:                             ;   Parent Loop BB256_12 Depth=1
                                        ;     Parent Loop BB256_15 Depth=2
                                        ;       Parent Loop BB256_17 Depth=3
                                        ; =>      This Inner Loop Header: Depth=4
	s_waitcnt lgkmcnt(0)
	v_add_f64 v[34:35], v[23:24], v[19:20]
	ds_cmpstore_rtn_b64 v[34:35], v33, v[34:35], v[23:24]
	s_waitcnt lgkmcnt(0)
	v_cmp_eq_u64_e32 vcc_lo, v[34:35], v[23:24]
	v_dual_mov_b32 v23, v34 :: v_dual_mov_b32 v24, v35
	s_or_b32 s42, vcc_lo, s42
	s_delay_alu instid0(SALU_CYCLE_1)
	s_and_not1_b32 exec_lo, exec_lo, s42
	s_cbranch_execnz .LBB256_23
; %bb.24:                               ;   in Loop: Header=BB256_17 Depth=3
	s_or_b32 exec_lo, exec_lo, s42
	ds_load_b64 v[23:24], v33 offset:8
	s_mov_b32 s42, 0
.LBB256_25:                             ;   Parent Loop BB256_12 Depth=1
                                        ;     Parent Loop BB256_15 Depth=2
                                        ;       Parent Loop BB256_17 Depth=3
                                        ; =>      This Inner Loop Header: Depth=4
	s_waitcnt lgkmcnt(0)
	v_add_f64 v[34:35], v[23:24], v[21:22]
	ds_cmpstore_rtn_b64 v[34:35], v33, v[34:35], v[23:24] offset:8
	s_waitcnt lgkmcnt(0)
	v_cmp_eq_u64_e32 vcc_lo, v[34:35], v[23:24]
	v_dual_mov_b32 v23, v34 :: v_dual_mov_b32 v24, v35
	s_or_b32 s42, vcc_lo, s42
	s_delay_alu instid0(SALU_CYCLE_1)
	s_and_not1_b32 exec_lo, exec_lo, s42
	s_cbranch_execnz .LBB256_25
; %bb.26:                               ;   in Loop: Header=BB256_17 Depth=3
	s_or_b32 exec_lo, exec_lo, s42
	s_delay_alu instid0(SALU_CYCLE_1)
	s_xor_b32 s42, exec_lo, -1
.LBB256_27:                             ;   in Loop: Header=BB256_17 Depth=3
	s_or_b32 exec_lo, exec_lo, s41
	s_delay_alu instid0(SALU_CYCLE_1) | instskip(SKIP_1) | instid1(SALU_CYCLE_1)
	s_and_not1_b32 s35, s35, exec_lo
	s_and_b32 s41, s42, exec_lo
	s_or_b32 s35, s35, s41
.LBB256_28:                             ;   in Loop: Header=BB256_17 Depth=3
	s_or_b32 exec_lo, exec_lo, s40
	s_delay_alu instid0(SALU_CYCLE_1)
	s_and_b32 s35, s35, exec_lo
.LBB256_29:                             ;   in Loop: Header=BB256_17 Depth=3
	s_and_not1_saveexec_b32 s15, s15
	s_cbranch_execz .LBB256_16
; %bb.30:                               ;   in Loop: Header=BB256_17 Depth=3
	v_lshlrev_b32_e32 v23, 4, v32
	s_mov_b32 s40, 0
	s_delay_alu instid0(VALU_DEP_1)
	v_add3_u32 v33, 0, v23, 0x20000
	ds_load_b64 v[23:24], v33
.LBB256_31:                             ;   Parent Loop BB256_12 Depth=1
                                        ;     Parent Loop BB256_15 Depth=2
                                        ;       Parent Loop BB256_17 Depth=3
                                        ; =>      This Inner Loop Header: Depth=4
	s_waitcnt lgkmcnt(0)
	v_add_f64 v[34:35], v[23:24], v[19:20]
	ds_cmpstore_rtn_b64 v[34:35], v33, v[34:35], v[23:24]
	s_waitcnt lgkmcnt(0)
	v_cmp_eq_u64_e32 vcc_lo, v[34:35], v[23:24]
	v_dual_mov_b32 v23, v34 :: v_dual_mov_b32 v24, v35
	s_or_b32 s40, vcc_lo, s40
	s_delay_alu instid0(SALU_CYCLE_1)
	s_and_not1_b32 exec_lo, exec_lo, s40
	s_cbranch_execnz .LBB256_31
; %bb.32:                               ;   in Loop: Header=BB256_17 Depth=3
	s_or_b32 exec_lo, exec_lo, s40
	ds_load_b64 v[23:24], v33 offset:8
	s_mov_b32 s40, 0
.LBB256_33:                             ;   Parent Loop BB256_12 Depth=1
                                        ;     Parent Loop BB256_15 Depth=2
                                        ;       Parent Loop BB256_17 Depth=3
                                        ; =>      This Inner Loop Header: Depth=4
	s_waitcnt lgkmcnt(0)
	v_add_f64 v[34:35], v[23:24], v[21:22]
	ds_cmpstore_rtn_b64 v[34:35], v33, v[34:35], v[23:24] offset:8
	s_waitcnt lgkmcnt(0)
	v_cmp_eq_u64_e32 vcc_lo, v[34:35], v[23:24]
	v_dual_mov_b32 v23, v34 :: v_dual_mov_b32 v24, v35
	s_or_b32 s40, vcc_lo, s40
	s_delay_alu instid0(SALU_CYCLE_1)
	s_and_not1_b32 exec_lo, exec_lo, s40
	s_cbranch_execnz .LBB256_33
; %bb.34:                               ;   in Loop: Header=BB256_17 Depth=3
	s_or_b32 exec_lo, exec_lo, s40
	s_delay_alu instid0(SALU_CYCLE_1)
	s_and_not1_b32 s35, s35, exec_lo
	s_branch .LBB256_16
.LBB256_35:
	s_or_b32 exec_lo, exec_lo, s2
.LBB256_36:
	s_delay_alu instid0(SALU_CYCLE_1)
	s_and_not1_b32 vcc_lo, exec_lo, s3
	s_cbranch_vccnz .LBB256_39
; %bb.37:
	s_waitcnt lgkmcnt(0)
	s_ashr_i32 s35, s34, 31
	v_sub_co_u32 v5, s4, v0, s27
	s_lshl_b64 s[0:1], s[34:35], 3
	v_sub_co_ci_u32_e64 v6, null, 0, 0, s4
	s_add_u32 s0, s16, s0
	s_addc_u32 s1, s17, s1
	s_load_b128 s[0:3], s[0:1], 0x0
	s_waitcnt lgkmcnt(0)
	v_add_co_u32 v5, vcc_lo, s0, v5
	v_add_co_ci_u32_e32 v6, vcc_lo, s1, v6, vcc_lo
	s_sub_u32 s0, s2, s27
	s_subb_u32 s1, s3, 0
	s_mov_b32 s3, 0
	s_mov_b32 s2, exec_lo
	v_cmpx_gt_i64_e64 s[0:1], v[5:6]
	s_cbranch_execnz .LBB256_76
.LBB256_38:
	s_or_b32 exec_lo, exec_lo, s2
.LBB256_39:
	v_mbcnt_lo_u32_b32 v1, -1, 0
	s_add_i32 s38, 0, 0xa003c
	s_delay_alu instid0(SALU_CYCLE_1) | instskip(SKIP_1) | instid1(VALU_DEP_3)
	v_dual_mov_b32 v5, s38 :: v_dual_lshlrev_b32 v2, 2, v28
	v_cmp_eq_u32_e32 vcc_lo, 0x3ff, v0
	v_xor_b32_e32 v1, 63, v1
	v_cmp_lt_u32_e64 s0, 63, v0
	s_delay_alu instid0(VALU_DEP_4)
	v_add3_u32 v3, 0, 0xa0000, v2
	v_cmp_lt_u32_e64 s1, 0x7f, v0
	v_cmp_lt_u32_e64 s2, 0xbf, v0
	v_lshrrev_b64 v[1:2], v1, -1
	v_cmp_lt_u32_e64 s3, 0xff, v0
	v_cmp_lt_u32_e64 s4, 0x13f, v0
	;; [unrolled: 1-line block ×12, first 2 shown]
	v_add3_u32 v2, v27, 0, 0x20000
	v_mov_b32_e32 v4, 0
	s_mov_b32 s16, 0
	s_add_i32 s17, 0, 0xa0000
	s_add_i32 s18, 0, 0xa0004
	;; [unrolled: 1-line block ×15, first 2 shown]
	s_waitcnt lgkmcnt(0)
	s_barrier
	buffer_gl0_inv
	s_branch .LBB256_41
.LBB256_40:                             ;   in Loop: Header=BB256_41 Depth=1
	s_or_b32 exec_lo, exec_lo, s15
	s_waitcnt lgkmcnt(0)
	s_barrier
	buffer_gl0_inv
	ds_load_b32 v6, v5
	v_add_nc_u32_e32 v25, 0x400, v25
	v_add_nc_u32_e32 v2, 0x4000, v2
	;; [unrolled: 1-line block ×3, first 2 shown]
	s_delay_alu instid0(VALU_DEP_3) | instskip(NEXT) | instid1(VALU_DEP_1)
	v_cmp_lt_u32_e64 s15, 0x7bff, v25
	s_or_b32 s16, s15, s16
	s_waitcnt lgkmcnt(0)
	v_add_nc_u32_e32 v4, v6, v4
	s_and_not1_b32 exec_lo, exec_lo, s16
	s_cbranch_execz .LBB256_96
.LBB256_41:                             ; =>This Inner Loop Header: Depth=1
	ds_load_b32 v6, v26
	ds_load_2addr_b64 v[7:10], v2 offset1:1
	s_waitcnt lgkmcnt(1)
	v_cmp_gt_i32_e64 s15, s33, v6
	s_waitcnt lgkmcnt(0)
	scratch_store_b128 off, v[7:10], off
	s_waitcnt_vscnt null, 0x0
	s_barrier
	buffer_gl0_inv
	s_bcnt1_i32_b32 s43, s15
	s_delay_alu instid0(SALU_CYCLE_1) | instskip(NEXT) | instid1(VALU_DEP_1)
	v_dual_mov_b32 v8, s43 :: v_dual_and_b32 v7, s15, v1
	v_bcnt_u32_b32 v7, v7, 0
	ds_store_b32 v3, v8
	s_waitcnt lgkmcnt(0)
	s_barrier
	buffer_gl0_inv
	s_and_saveexec_b32 s43, s0
	s_cbranch_execnz .LBB256_58
; %bb.42:                               ;   in Loop: Header=BB256_41 Depth=1
	s_or_b32 exec_lo, exec_lo, s43
	s_and_saveexec_b32 s43, s1
	s_cbranch_execnz .LBB256_59
.LBB256_43:                             ;   in Loop: Header=BB256_41 Depth=1
	s_or_b32 exec_lo, exec_lo, s43
	s_and_saveexec_b32 s43, s2
	s_cbranch_execnz .LBB256_60
.LBB256_44:                             ;   in Loop: Header=BB256_41 Depth=1
	s_or_b32 exec_lo, exec_lo, s43
	s_and_saveexec_b32 s43, s3
	s_cbranch_execnz .LBB256_61
.LBB256_45:                             ;   in Loop: Header=BB256_41 Depth=1
	s_or_b32 exec_lo, exec_lo, s43
	s_and_saveexec_b32 s43, s4
	s_cbranch_execnz .LBB256_62
.LBB256_46:                             ;   in Loop: Header=BB256_41 Depth=1
	s_or_b32 exec_lo, exec_lo, s43
	s_and_saveexec_b32 s43, s5
	s_cbranch_execnz .LBB256_63
.LBB256_47:                             ;   in Loop: Header=BB256_41 Depth=1
	s_or_b32 exec_lo, exec_lo, s43
	s_and_saveexec_b32 s43, s6
	s_cbranch_execnz .LBB256_64
.LBB256_48:                             ;   in Loop: Header=BB256_41 Depth=1
	s_or_b32 exec_lo, exec_lo, s43
	s_and_saveexec_b32 s43, s7
	s_cbranch_execnz .LBB256_65
.LBB256_49:                             ;   in Loop: Header=BB256_41 Depth=1
	s_or_b32 exec_lo, exec_lo, s43
	s_and_saveexec_b32 s43, s8
	s_cbranch_execnz .LBB256_66
.LBB256_50:                             ;   in Loop: Header=BB256_41 Depth=1
	s_or_b32 exec_lo, exec_lo, s43
	s_and_saveexec_b32 s43, s9
	s_cbranch_execnz .LBB256_67
.LBB256_51:                             ;   in Loop: Header=BB256_41 Depth=1
	s_or_b32 exec_lo, exec_lo, s43
	s_and_saveexec_b32 s43, s10
	s_cbranch_execnz .LBB256_68
.LBB256_52:                             ;   in Loop: Header=BB256_41 Depth=1
	s_or_b32 exec_lo, exec_lo, s43
	s_and_saveexec_b32 s43, s11
	s_cbranch_execnz .LBB256_69
.LBB256_53:                             ;   in Loop: Header=BB256_41 Depth=1
	s_or_b32 exec_lo, exec_lo, s43
	s_and_saveexec_b32 s43, s12
	s_cbranch_execnz .LBB256_70
.LBB256_54:                             ;   in Loop: Header=BB256_41 Depth=1
	s_or_b32 exec_lo, exec_lo, s43
	s_and_saveexec_b32 s43, s13
	s_cbranch_execnz .LBB256_71
.LBB256_55:                             ;   in Loop: Header=BB256_41 Depth=1
	s_or_b32 exec_lo, exec_lo, s43
	s_and_saveexec_b32 s43, s14
	s_cbranch_execnz .LBB256_72
.LBB256_56:                             ;   in Loop: Header=BB256_41 Depth=1
	s_or_b32 exec_lo, exec_lo, s43
	s_and_saveexec_b32 s43, s15
	s_cbranch_execnz .LBB256_73
.LBB256_57:                             ;   in Loop: Header=BB256_41 Depth=1
	s_or_b32 exec_lo, exec_lo, s43
	s_and_saveexec_b32 s15, vcc_lo
	s_cbranch_execz .LBB256_40
	s_branch .LBB256_74
.LBB256_58:                             ;   in Loop: Header=BB256_41 Depth=1
	v_mov_b32_e32 v8, s17
	ds_load_b32 v8, v8
	s_waitcnt lgkmcnt(0)
	v_add_nc_u32_e32 v7, v8, v7
	s_or_b32 exec_lo, exec_lo, s43
	s_and_saveexec_b32 s43, s1
	s_cbranch_execz .LBB256_43
.LBB256_59:                             ;   in Loop: Header=BB256_41 Depth=1
	v_mov_b32_e32 v8, s18
	ds_load_b32 v8, v8
	s_waitcnt lgkmcnt(0)
	v_add_nc_u32_e32 v7, v8, v7
	s_or_b32 exec_lo, exec_lo, s43
	s_and_saveexec_b32 s43, s2
	s_cbranch_execz .LBB256_44
.LBB256_60:                             ;   in Loop: Header=BB256_41 Depth=1
	v_mov_b32_e32 v8, s19
	ds_load_b32 v8, v8
	s_waitcnt lgkmcnt(0)
	v_add_nc_u32_e32 v7, v8, v7
	s_or_b32 exec_lo, exec_lo, s43
	s_and_saveexec_b32 s43, s3
	s_cbranch_execz .LBB256_45
.LBB256_61:                             ;   in Loop: Header=BB256_41 Depth=1
	v_mov_b32_e32 v8, s20
	ds_load_b32 v8, v8
	s_waitcnt lgkmcnt(0)
	v_add_nc_u32_e32 v7, v8, v7
	s_or_b32 exec_lo, exec_lo, s43
	s_and_saveexec_b32 s43, s4
	s_cbranch_execz .LBB256_46
.LBB256_62:                             ;   in Loop: Header=BB256_41 Depth=1
	v_mov_b32_e32 v8, s21
	ds_load_b32 v8, v8
	s_waitcnt lgkmcnt(0)
	v_add_nc_u32_e32 v7, v8, v7
	s_or_b32 exec_lo, exec_lo, s43
	s_and_saveexec_b32 s43, s5
	s_cbranch_execz .LBB256_47
.LBB256_63:                             ;   in Loop: Header=BB256_41 Depth=1
	v_mov_b32_e32 v8, s24
	ds_load_b32 v8, v8
	s_waitcnt lgkmcnt(0)
	v_add_nc_u32_e32 v7, v8, v7
	s_or_b32 exec_lo, exec_lo, s43
	s_and_saveexec_b32 s43, s6
	s_cbranch_execz .LBB256_48
.LBB256_64:                             ;   in Loop: Header=BB256_41 Depth=1
	v_mov_b32_e32 v8, s25
	ds_load_b32 v8, v8
	s_waitcnt lgkmcnt(0)
	v_add_nc_u32_e32 v7, v8, v7
	s_or_b32 exec_lo, exec_lo, s43
	s_and_saveexec_b32 s43, s7
	s_cbranch_execz .LBB256_49
.LBB256_65:                             ;   in Loop: Header=BB256_41 Depth=1
	v_mov_b32_e32 v8, s27
	ds_load_b32 v8, v8
	s_waitcnt lgkmcnt(0)
	v_add_nc_u32_e32 v7, v8, v7
	s_or_b32 exec_lo, exec_lo, s43
	s_and_saveexec_b32 s43, s8
	s_cbranch_execz .LBB256_50
.LBB256_66:                             ;   in Loop: Header=BB256_41 Depth=1
	v_mov_b32_e32 v8, s35
	ds_load_b32 v8, v8
	s_waitcnt lgkmcnt(0)
	v_add_nc_u32_e32 v7, v8, v7
	s_or_b32 exec_lo, exec_lo, s43
	s_and_saveexec_b32 s43, s9
	s_cbranch_execz .LBB256_51
.LBB256_67:                             ;   in Loop: Header=BB256_41 Depth=1
	v_mov_b32_e32 v8, s36
	ds_load_b32 v8, v8
	s_waitcnt lgkmcnt(0)
	v_add_nc_u32_e32 v7, v8, v7
	s_or_b32 exec_lo, exec_lo, s43
	s_and_saveexec_b32 s43, s10
	s_cbranch_execz .LBB256_52
.LBB256_68:                             ;   in Loop: Header=BB256_41 Depth=1
	v_mov_b32_e32 v8, s37
	ds_load_b32 v8, v8
	s_waitcnt lgkmcnt(0)
	v_add_nc_u32_e32 v7, v8, v7
	s_or_b32 exec_lo, exec_lo, s43
	s_and_saveexec_b32 s43, s11
	s_cbranch_execz .LBB256_53
.LBB256_69:                             ;   in Loop: Header=BB256_41 Depth=1
	v_mov_b32_e32 v8, s39
	ds_load_b32 v8, v8
	s_waitcnt lgkmcnt(0)
	v_add_nc_u32_e32 v7, v8, v7
	s_or_b32 exec_lo, exec_lo, s43
	s_and_saveexec_b32 s43, s12
	s_cbranch_execz .LBB256_54
.LBB256_70:                             ;   in Loop: Header=BB256_41 Depth=1
	v_mov_b32_e32 v8, s40
	ds_load_b32 v8, v8
	s_waitcnt lgkmcnt(0)
	v_add_nc_u32_e32 v7, v8, v7
	s_or_b32 exec_lo, exec_lo, s43
	s_and_saveexec_b32 s43, s13
	s_cbranch_execz .LBB256_55
.LBB256_71:                             ;   in Loop: Header=BB256_41 Depth=1
	v_mov_b32_e32 v8, s41
	ds_load_b32 v8, v8
	s_waitcnt lgkmcnt(0)
	v_add_nc_u32_e32 v7, v8, v7
	s_or_b32 exec_lo, exec_lo, s43
	s_and_saveexec_b32 s43, s14
	s_cbranch_execz .LBB256_56
.LBB256_72:                             ;   in Loop: Header=BB256_41 Depth=1
	v_mov_b32_e32 v8, s42
	ds_load_b32 v8, v8
	s_waitcnt lgkmcnt(0)
	v_add_nc_u32_e32 v7, v8, v7
	s_or_b32 exec_lo, exec_lo, s43
	s_and_saveexec_b32 s43, s15
	s_cbranch_execz .LBB256_57
.LBB256_73:                             ;   in Loop: Header=BB256_41 Depth=1
	scratch_load_b128 v[8:11], off, off
	v_add3_u32 v12, v4, -1, v7
	s_delay_alu instid0(VALU_DEP_1) | instskip(SKIP_1) | instid1(VALU_DEP_2)
	v_lshlrev_b32_e32 v13, 4, v12
	v_lshl_add_u32 v12, v12, 2, 0
	v_add3_u32 v13, 0, v13, 0x20000
	ds_store_b32 v12, v6
	s_waitcnt vmcnt(0)
	ds_store_2addr_b64 v13, v[8:9], v[10:11] offset1:1
	s_or_b32 exec_lo, exec_lo, s43
	s_and_saveexec_b32 s15, vcc_lo
	s_cbranch_execz .LBB256_40
.LBB256_74:                             ;   in Loop: Header=BB256_41 Depth=1
	v_mov_b32_e32 v6, s38
	ds_store_b32 v6, v7
	s_branch .LBB256_40
.LBB256_75:                             ;   in Loop: Header=BB256_76 Depth=1
	s_or_b32 exec_lo, exec_lo, s4
	v_add_co_u32 v5, vcc_lo, 0x400, v5
	v_add_co_ci_u32_e32 v6, vcc_lo, 0, v6, vcc_lo
	s_delay_alu instid0(VALU_DEP_1) | instskip(SKIP_1) | instid1(SALU_CYCLE_1)
	v_cmp_le_i64_e32 vcc_lo, s[0:1], v[5:6]
	s_or_b32 s3, vcc_lo, s3
	s_and_not1_b32 exec_lo, exec_lo, s3
	s_cbranch_execz .LBB256_38
.LBB256_76:                             ; =>This Loop Header: Depth=1
                                        ;     Child Loop BB256_78 Depth 2
                                        ;       Child Loop BB256_84 Depth 3
                                        ;       Child Loop BB256_86 Depth 3
	;; [unrolled: 1-line block ×4, first 2 shown]
	v_lshlrev_b64 v[7:8], 4, v[5:6]
	s_mov_b32 s4, 0
	s_delay_alu instid0(VALU_DEP_1) | instskip(NEXT) | instid1(VALU_DEP_2)
	v_add_co_u32 v7, vcc_lo, s20, v7
	v_add_co_ci_u32_e32 v8, vcc_lo, s21, v8, vcc_lo
	global_load_b128 v[9:12], v[7:8], off
	v_lshlrev_b64 v[7:8], 2, v[5:6]
	s_delay_alu instid0(VALU_DEP_1) | instskip(NEXT) | instid1(VALU_DEP_2)
	v_add_co_u32 v7, vcc_lo, s18, v7
	v_add_co_ci_u32_e32 v8, vcc_lo, s19, v8, vcc_lo
	global_load_b32 v13, v[7:8], off
	s_waitcnt vmcnt(1)
	v_mul_f64 v[7:8], v[11:12], -v[1:2]
	v_mul_f64 v[11:12], v[3:4], v[11:12]
	s_waitcnt vmcnt(0)
	v_subrev_nc_u32_e32 v13, s27, v13
	s_delay_alu instid0(VALU_DEP_3) | instskip(NEXT) | instid1(VALU_DEP_3)
	v_fma_f64 v[7:8], v[3:4], v[9:10], v[7:8]
	v_fma_f64 v[9:10], v[1:2], v[9:10], v[11:12]
	s_delay_alu instid0(VALU_DEP_3) | instskip(NEXT) | instid1(VALU_DEP_1)
	v_mul_lo_u32 v11, 0x89, v13
	v_and_b32_e32 v14, 0x7fff, v11
	s_branch .LBB256_78
.LBB256_77:                             ;   in Loop: Header=BB256_78 Depth=2
	s_or_b32 exec_lo, exec_lo, s5
	s_xor_b32 s5, s6, -1
	s_delay_alu instid0(SALU_CYCLE_1) | instskip(NEXT) | instid1(SALU_CYCLE_1)
	s_and_b32 s5, exec_lo, s5
	s_or_b32 s4, s5, s4
	s_delay_alu instid0(SALU_CYCLE_1)
	s_and_not1_b32 exec_lo, exec_lo, s4
	s_cbranch_execz .LBB256_75
.LBB256_78:                             ;   Parent Loop BB256_76 Depth=1
                                        ; =>  This Loop Header: Depth=2
                                        ;       Child Loop BB256_84 Depth 3
                                        ;       Child Loop BB256_86 Depth 3
                                        ;       Child Loop BB256_92 Depth 3
                                        ;       Child Loop BB256_94 Depth 3
	s_delay_alu instid0(VALU_DEP_1)
	v_lshl_add_u32 v11, v14, 2, 0
	s_mov_b32 s5, exec_lo
                                        ; implicit-def: $sgpr6
	ds_load_b32 v12, v11
	s_waitcnt lgkmcnt(0)
	v_cmpx_ne_u32_e64 v12, v13
	s_xor_b32 s5, exec_lo, s5
	s_cbranch_execz .LBB256_90
; %bb.79:                               ;   in Loop: Header=BB256_78 Depth=2
	s_mov_b32 s7, exec_lo
                                        ; implicit-def: $sgpr6
	v_cmpx_ne_u32_e64 s33, v12
	s_xor_b32 s7, exec_lo, s7
; %bb.80:                               ;   in Loop: Header=BB256_78 Depth=2
	v_add_nc_u32_e32 v11, 1, v14
	s_mov_b32 s6, -1
	s_delay_alu instid0(VALU_DEP_1)
	v_and_b32_e32 v14, 0x7fff, v11
                                        ; implicit-def: $vgpr11
; %bb.81:                               ;   in Loop: Header=BB256_78 Depth=2
	s_and_not1_saveexec_b32 s7, s7
	s_cbranch_execz .LBB256_89
; %bb.82:                               ;   in Loop: Header=BB256_78 Depth=2
	v_mov_b32_e32 v12, s33
	s_mov_b32 s9, -1
	s_mov_b32 s8, exec_lo
	ds_cmpstore_rtn_b32 v11, v11, v13, v12
	s_waitcnt lgkmcnt(0)
	v_cmpx_eq_u32_e64 s33, v11
	s_cbranch_execz .LBB256_88
; %bb.83:                               ;   in Loop: Header=BB256_78 Depth=2
	v_lshlrev_b32_e32 v11, 4, v14
	s_mov_b32 s9, 0
	s_delay_alu instid0(VALU_DEP_1)
	v_add3_u32 v15, 0, v11, 0x20000
	ds_load_b64 v[11:12], v15
.LBB256_84:                             ;   Parent Loop BB256_76 Depth=1
                                        ;     Parent Loop BB256_78 Depth=2
                                        ; =>    This Inner Loop Header: Depth=3
	s_waitcnt lgkmcnt(0)
	v_add_f64 v[16:17], v[11:12], v[7:8]
	ds_cmpstore_rtn_b64 v[16:17], v15, v[16:17], v[11:12]
	s_waitcnt lgkmcnt(0)
	v_cmp_eq_u64_e32 vcc_lo, v[16:17], v[11:12]
	v_dual_mov_b32 v11, v16 :: v_dual_mov_b32 v12, v17
	s_or_b32 s9, vcc_lo, s9
	s_delay_alu instid0(SALU_CYCLE_1)
	s_and_not1_b32 exec_lo, exec_lo, s9
	s_cbranch_execnz .LBB256_84
; %bb.85:                               ;   in Loop: Header=BB256_78 Depth=2
	s_or_b32 exec_lo, exec_lo, s9
	ds_load_b64 v[11:12], v15 offset:8
	s_mov_b32 s9, 0
.LBB256_86:                             ;   Parent Loop BB256_76 Depth=1
                                        ;     Parent Loop BB256_78 Depth=2
                                        ; =>    This Inner Loop Header: Depth=3
	s_waitcnt lgkmcnt(0)
	v_add_f64 v[16:17], v[11:12], v[9:10]
	ds_cmpstore_rtn_b64 v[16:17], v15, v[16:17], v[11:12] offset:8
	s_waitcnt lgkmcnt(0)
	v_cmp_eq_u64_e32 vcc_lo, v[16:17], v[11:12]
	v_dual_mov_b32 v11, v16 :: v_dual_mov_b32 v12, v17
	s_or_b32 s9, vcc_lo, s9
	s_delay_alu instid0(SALU_CYCLE_1)
	s_and_not1_b32 exec_lo, exec_lo, s9
	s_cbranch_execnz .LBB256_86
; %bb.87:                               ;   in Loop: Header=BB256_78 Depth=2
	s_or_b32 exec_lo, exec_lo, s9
	s_delay_alu instid0(SALU_CYCLE_1)
	s_xor_b32 s9, exec_lo, -1
.LBB256_88:                             ;   in Loop: Header=BB256_78 Depth=2
	s_or_b32 exec_lo, exec_lo, s8
	s_delay_alu instid0(SALU_CYCLE_1) | instskip(SKIP_1) | instid1(SALU_CYCLE_1)
	s_and_not1_b32 s6, s6, exec_lo
	s_and_b32 s8, s9, exec_lo
	s_or_b32 s6, s6, s8
.LBB256_89:                             ;   in Loop: Header=BB256_78 Depth=2
	s_or_b32 exec_lo, exec_lo, s7
	s_delay_alu instid0(SALU_CYCLE_1)
	s_and_b32 s6, s6, exec_lo
.LBB256_90:                             ;   in Loop: Header=BB256_78 Depth=2
	s_and_not1_saveexec_b32 s5, s5
	s_cbranch_execz .LBB256_77
; %bb.91:                               ;   in Loop: Header=BB256_78 Depth=2
	v_lshlrev_b32_e32 v11, 4, v14
	s_mov_b32 s7, 0
	s_delay_alu instid0(VALU_DEP_1)
	v_add3_u32 v15, 0, v11, 0x20000
	ds_load_b64 v[11:12], v15
.LBB256_92:                             ;   Parent Loop BB256_76 Depth=1
                                        ;     Parent Loop BB256_78 Depth=2
                                        ; =>    This Inner Loop Header: Depth=3
	s_waitcnt lgkmcnt(0)
	v_add_f64 v[16:17], v[11:12], v[7:8]
	ds_cmpstore_rtn_b64 v[16:17], v15, v[16:17], v[11:12]
	s_waitcnt lgkmcnt(0)
	v_cmp_eq_u64_e32 vcc_lo, v[16:17], v[11:12]
	v_dual_mov_b32 v11, v16 :: v_dual_mov_b32 v12, v17
	s_or_b32 s7, vcc_lo, s7
	s_delay_alu instid0(SALU_CYCLE_1)
	s_and_not1_b32 exec_lo, exec_lo, s7
	s_cbranch_execnz .LBB256_92
; %bb.93:                               ;   in Loop: Header=BB256_78 Depth=2
	s_or_b32 exec_lo, exec_lo, s7
	ds_load_b64 v[11:12], v15 offset:8
	s_mov_b32 s7, 0
.LBB256_94:                             ;   Parent Loop BB256_76 Depth=1
                                        ;     Parent Loop BB256_78 Depth=2
                                        ; =>    This Inner Loop Header: Depth=3
	s_waitcnt lgkmcnt(0)
	v_add_f64 v[16:17], v[11:12], v[9:10]
	ds_cmpstore_rtn_b64 v[16:17], v15, v[16:17], v[11:12] offset:8
	s_waitcnt lgkmcnt(0)
	v_cmp_eq_u64_e32 vcc_lo, v[16:17], v[11:12]
	v_dual_mov_b32 v11, v16 :: v_dual_mov_b32 v12, v17
	s_or_b32 s7, vcc_lo, s7
	s_delay_alu instid0(SALU_CYCLE_1)
	s_and_not1_b32 exec_lo, exec_lo, s7
	s_cbranch_execnz .LBB256_94
; %bb.95:                               ;   in Loop: Header=BB256_78 Depth=2
	s_or_b32 exec_lo, exec_lo, s7
	s_delay_alu instid0(SALU_CYCLE_1)
	s_and_not1_b32 s6, s6, exec_lo
	s_branch .LBB256_77
.LBB256_96:
	s_or_b32 exec_lo, exec_lo, s16
	s_ashr_i32 s35, s34, 31
	s_mov_b32 s4, exec_lo
	s_lshl_b64 s[0:1], s[34:35], 3
	s_delay_alu instid0(SALU_CYCLE_1) | instskip(SKIP_4) | instid1(SALU_CYCLE_1)
	s_add_u32 s0, s22, s0
	s_addc_u32 s1, s23, s1
	s_load_b128 s[0:3], s[0:1], 0x0
	s_waitcnt lgkmcnt(0)
	s_sub_i32 s3, s2, s0
	v_cmpx_gt_i32_e64 s3, v0
	s_cbranch_execz .LBB256_106
; %bb.97:
	s_sub_u32 s4, s0, s26
	s_subb_u32 s5, s1, 0
	s_sub_i32 s0, s0, s2
	s_and_b32 s1, s3, 7
	s_cmp_lt_u32 s0, -7
	s_mov_b32 s8, 0
	s_cselect_b32 s2, -1, 0
	s_and_b32 s6, s3, -8
	s_cmp_lg_u32 s1, 0
	s_cselect_b32 s7, -1, 0
	s_branch .LBB256_99
.LBB256_98:                             ;   in Loop: Header=BB256_99 Depth=1
	v_lshlrev_b32_e32 v4, 4, v0
	s_delay_alu instid0(VALU_DEP_2)
	v_lshlrev_b64 v[8:9], 2, v[1:2]
	v_lshlrev_b64 v[1:2], 4, v[1:2]
	v_add_nc_u32_e32 v0, 0x400, v0
	s_waitcnt lgkmcnt(0)
	v_add_nc_u32_e32 v3, s26, v3
	v_add3_u32 v4, 0, v4, 0x20000
	v_add_co_u32 v8, vcc_lo, s28, v8
	v_add_co_ci_u32_e32 v9, vcc_lo, s29, v9, vcc_lo
	ds_load_2addr_b64 v[4:7], v4 offset1:1
	v_cmp_le_i32_e32 vcc_lo, s3, v0
	v_add_co_u32 v1, s0, s30, v1
	s_delay_alu instid0(VALU_DEP_1)
	v_add_co_ci_u32_e64 v2, s0, s31, v2, s0
	s_or_b32 s8, vcc_lo, s8
	global_store_b32 v[8:9], v3, off
	s_waitcnt lgkmcnt(0)
	global_store_b128 v[1:2], v[4:7], off
	s_and_not1_b32 exec_lo, exec_lo, s8
	s_cbranch_execz .LBB256_106
.LBB256_99:                             ; =>This Loop Header: Depth=1
                                        ;     Child Loop BB256_101 Depth 2
                                        ;     Child Loop BB256_105 Depth 2
	v_lshl_add_u32 v1, v0, 2, 0
	s_and_not1_b32 vcc_lo, exec_lo, s2
	s_mov_b32 s0, 0
	ds_load_b32 v3, v1
	v_dual_mov_b32 v1, s4 :: v_dual_mov_b32 v2, s5
	s_cbranch_vccnz .LBB256_103
; %bb.100:                              ;   in Loop: Header=BB256_99 Depth=1
	v_dual_mov_b32 v1, s4 :: v_dual_mov_b32 v2, s5
	s_mov_b32 s9, 0
	s_mov_b32 s10, 0
.LBB256_101:                            ;   Parent Loop BB256_99 Depth=1
                                        ; =>  This Inner Loop Header: Depth=2
	s_delay_alu instid0(SALU_CYCLE_1)
	v_mov_b32_e32 v10, s10
	s_add_i32 s9, s9, 8
	s_add_i32 s10, s10, 32
	s_cmp_eq_u32 s6, s9
	ds_load_2addr_b32 v[4:5], v10 offset1:1
	ds_load_2addr_b32 v[6:7], v10 offset0:2 offset1:3
	ds_load_2addr_b32 v[8:9], v10 offset0:4 offset1:5
	;; [unrolled: 1-line block ×3, first 2 shown]
	s_waitcnt lgkmcnt(3)
	v_cmp_gt_i32_e32 vcc_lo, v3, v4
	v_cndmask_b32_e64 v4, 0, 1, vcc_lo
	v_cmp_gt_i32_e32 vcc_lo, v3, v5
	v_cndmask_b32_e64 v5, 0, 1, vcc_lo
	s_waitcnt lgkmcnt(2)
	v_cmp_gt_i32_e32 vcc_lo, v3, v6
	v_cndmask_b32_e64 v6, 0, 1, vcc_lo
	v_cmp_gt_i32_e32 vcc_lo, v3, v7
	v_cndmask_b32_e64 v7, 0, 1, vcc_lo
	s_waitcnt lgkmcnt(1)
	v_cmp_gt_i32_e32 vcc_lo, v3, v8
	v_cndmask_b32_e64 v8, 0, 1, vcc_lo
	v_add_co_u32 v1, vcc_lo, v1, v4
	v_add_co_ci_u32_e32 v2, vcc_lo, 0, v2, vcc_lo
	v_cmp_gt_i32_e32 vcc_lo, v3, v9
	s_delay_alu instid0(VALU_DEP_3) | instskip(NEXT) | instid1(VALU_DEP_1)
	v_add_co_u32 v1, s0, v1, v5
	v_add_co_ci_u32_e64 v2, s0, 0, v2, s0
	v_cndmask_b32_e64 v4, 0, 1, vcc_lo
	s_delay_alu instid0(VALU_DEP_3) | instskip(NEXT) | instid1(VALU_DEP_3)
	v_add_co_u32 v1, vcc_lo, v1, v6
	v_add_co_ci_u32_e32 v2, vcc_lo, 0, v2, vcc_lo
	s_waitcnt lgkmcnt(0)
	v_cmp_gt_i32_e32 vcc_lo, v3, v10
	s_delay_alu instid0(VALU_DEP_3) | instskip(NEXT) | instid1(VALU_DEP_1)
	v_add_co_u32 v1, s0, v1, v7
	v_add_co_ci_u32_e64 v2, s0, 0, v2, s0
	v_cndmask_b32_e64 v5, 0, 1, vcc_lo
	s_delay_alu instid0(VALU_DEP_3) | instskip(NEXT) | instid1(VALU_DEP_3)
	v_add_co_u32 v1, vcc_lo, v1, v8
	v_add_co_ci_u32_e32 v2, vcc_lo, 0, v2, vcc_lo
	v_cmp_gt_i32_e32 vcc_lo, v3, v11
	s_delay_alu instid0(VALU_DEP_3) | instskip(NEXT) | instid1(VALU_DEP_1)
	v_add_co_u32 v1, s0, v1, v4
	v_add_co_ci_u32_e64 v2, s0, 0, v2, s0
	v_cndmask_b32_e64 v4, 0, 1, vcc_lo
	s_delay_alu instid0(VALU_DEP_3) | instskip(NEXT) | instid1(VALU_DEP_3)
	v_add_co_u32 v1, vcc_lo, v1, v5
	v_add_co_ci_u32_e32 v2, vcc_lo, 0, v2, vcc_lo
	s_delay_alu instid0(VALU_DEP_2) | instskip(NEXT) | instid1(VALU_DEP_2)
	v_add_co_u32 v1, vcc_lo, v1, v4
	v_add_co_ci_u32_e32 v2, vcc_lo, 0, v2, vcc_lo
	s_cbranch_scc0 .LBB256_101
; %bb.102:                              ;   in Loop: Header=BB256_99 Depth=1
	s_mov_b32 s0, s6
.LBB256_103:                            ;   in Loop: Header=BB256_99 Depth=1
	s_and_not1_b32 vcc_lo, exec_lo, s7
	s_cbranch_vccnz .LBB256_98
; %bb.104:                              ;   in Loop: Header=BB256_99 Depth=1
	s_lshl_b32 s0, s0, 2
	s_mov_b32 s9, s1
	s_add_i32 s0, s0, 0
.LBB256_105:                            ;   Parent Loop BB256_99 Depth=1
                                        ; =>  This Inner Loop Header: Depth=2
	s_delay_alu instid0(SALU_CYCLE_1)
	v_mov_b32_e32 v4, s0
	s_add_i32 s9, s9, -1
	s_add_i32 s0, s0, 4
	s_cmp_lg_u32 s9, 0
	ds_load_b32 v4, v4
	s_waitcnt lgkmcnt(0)
	v_cmp_gt_i32_e32 vcc_lo, v3, v4
	v_cndmask_b32_e64 v4, 0, 1, vcc_lo
	s_delay_alu instid0(VALU_DEP_1)
	v_add_co_u32 v1, vcc_lo, v1, v4
	v_add_co_ci_u32_e32 v2, vcc_lo, 0, v2, vcc_lo
	s_cbranch_scc1 .LBB256_105
	s_branch .LBB256_98
.LBB256_106:
	s_nop 0
	s_sendmsg sendmsg(MSG_DEALLOC_VGPRS)
	s_endpgm
	.section	.rodata,"a",@progbits
	.p2align	6, 0x0
	.amdhsa_kernel _ZN9rocsparseL26csrgemm_fill_block_per_rowILj1024ELj64ELj32768ELj137ELj64Eli21rocsparse_complex_numIdEEEvT5_PKS3_S5_NS_24const_host_device_scalarIT6_EEPKT4_S5_PKS7_SB_S5_SD_S8_SB_S5_SD_SB_PS3_PS7_21rocsparse_index_base_SG_SG_SG_bbb
		.amdhsa_group_segment_fixed_size 0
		.amdhsa_private_segment_fixed_size 40
		.amdhsa_kernarg_size 172
		.amdhsa_user_sgpr_count 15
		.amdhsa_user_sgpr_dispatch_ptr 0
		.amdhsa_user_sgpr_queue_ptr 0
		.amdhsa_user_sgpr_kernarg_segment_ptr 1
		.amdhsa_user_sgpr_dispatch_id 0
		.amdhsa_user_sgpr_private_segment_size 0
		.amdhsa_wavefront_size32 1
		.amdhsa_uses_dynamic_stack 0
		.amdhsa_enable_private_segment 1
		.amdhsa_system_sgpr_workgroup_id_x 1
		.amdhsa_system_sgpr_workgroup_id_y 0
		.amdhsa_system_sgpr_workgroup_id_z 0
		.amdhsa_system_sgpr_workgroup_info 0
		.amdhsa_system_vgpr_workitem_id 0
		.amdhsa_next_free_vgpr 36
		.amdhsa_next_free_sgpr 48
		.amdhsa_reserve_vcc 1
		.amdhsa_float_round_mode_32 0
		.amdhsa_float_round_mode_16_64 0
		.amdhsa_float_denorm_mode_32 3
		.amdhsa_float_denorm_mode_16_64 3
		.amdhsa_dx10_clamp 1
		.amdhsa_ieee_mode 1
		.amdhsa_fp16_overflow 0
		.amdhsa_workgroup_processor_mode 1
		.amdhsa_memory_ordered 1
		.amdhsa_forward_progress 0
		.amdhsa_shared_vgpr_count 0
		.amdhsa_exception_fp_ieee_invalid_op 0
		.amdhsa_exception_fp_denorm_src 0
		.amdhsa_exception_fp_ieee_div_zero 0
		.amdhsa_exception_fp_ieee_overflow 0
		.amdhsa_exception_fp_ieee_underflow 0
		.amdhsa_exception_fp_ieee_inexact 0
		.amdhsa_exception_int_div_zero 0
	.end_amdhsa_kernel
	.section	.text._ZN9rocsparseL26csrgemm_fill_block_per_rowILj1024ELj64ELj32768ELj137ELj64Eli21rocsparse_complex_numIdEEEvT5_PKS3_S5_NS_24const_host_device_scalarIT6_EEPKT4_S5_PKS7_SB_S5_SD_S8_SB_S5_SD_SB_PS3_PS7_21rocsparse_index_base_SG_SG_SG_bbb,"axG",@progbits,_ZN9rocsparseL26csrgemm_fill_block_per_rowILj1024ELj64ELj32768ELj137ELj64Eli21rocsparse_complex_numIdEEEvT5_PKS3_S5_NS_24const_host_device_scalarIT6_EEPKT4_S5_PKS7_SB_S5_SD_S8_SB_S5_SD_SB_PS3_PS7_21rocsparse_index_base_SG_SG_SG_bbb,comdat
.Lfunc_end256:
	.size	_ZN9rocsparseL26csrgemm_fill_block_per_rowILj1024ELj64ELj32768ELj137ELj64Eli21rocsparse_complex_numIdEEEvT5_PKS3_S5_NS_24const_host_device_scalarIT6_EEPKT4_S5_PKS7_SB_S5_SD_S8_SB_S5_SD_SB_PS3_PS7_21rocsparse_index_base_SG_SG_SG_bbb, .Lfunc_end256-_ZN9rocsparseL26csrgemm_fill_block_per_rowILj1024ELj64ELj32768ELj137ELj64Eli21rocsparse_complex_numIdEEEvT5_PKS3_S5_NS_24const_host_device_scalarIT6_EEPKT4_S5_PKS7_SB_S5_SD_S8_SB_S5_SD_SB_PS3_PS7_21rocsparse_index_base_SG_SG_SG_bbb
                                        ; -- End function
	.section	.AMDGPU.csdata,"",@progbits
; Kernel info:
; codeLenInByte = 4568
; NumSgprs: 50
; NumVgprs: 36
; ScratchSize: 40
; MemoryBound: 0
; FloatMode: 240
; IeeeMode: 1
; LDSByteSize: 0 bytes/workgroup (compile time only)
; SGPRBlocks: 6
; VGPRBlocks: 4
; NumSGPRsForWavesPerEU: 50
; NumVGPRsForWavesPerEU: 36
; Occupancy: 16
; WaveLimiterHint : 1
; COMPUTE_PGM_RSRC2:SCRATCH_EN: 1
; COMPUTE_PGM_RSRC2:USER_SGPR: 15
; COMPUTE_PGM_RSRC2:TRAP_HANDLER: 0
; COMPUTE_PGM_RSRC2:TGID_X_EN: 1
; COMPUTE_PGM_RSRC2:TGID_Y_EN: 0
; COMPUTE_PGM_RSRC2:TGID_Z_EN: 0
; COMPUTE_PGM_RSRC2:TIDIG_COMP_CNT: 0
	.section	.text._ZN9rocsparseL36csrgemm_fill_block_per_row_multipassILj512ELj16ELj2048ELj32Eli21rocsparse_complex_numIdEEEvT4_PKS3_S5_NS_24const_host_device_scalarIT5_EEPKT3_S5_PKS7_SB_S5_SD_S8_SB_S5_SD_SB_PS3_PS7_PS9_21rocsparse_index_base_SH_SH_SH_bbb,"axG",@progbits,_ZN9rocsparseL36csrgemm_fill_block_per_row_multipassILj512ELj16ELj2048ELj32Eli21rocsparse_complex_numIdEEEvT4_PKS3_S5_NS_24const_host_device_scalarIT5_EEPKT3_S5_PKS7_SB_S5_SD_S8_SB_S5_SD_SB_PS3_PS7_PS9_21rocsparse_index_base_SH_SH_SH_bbb,comdat
	.globl	_ZN9rocsparseL36csrgemm_fill_block_per_row_multipassILj512ELj16ELj2048ELj32Eli21rocsparse_complex_numIdEEEvT4_PKS3_S5_NS_24const_host_device_scalarIT5_EEPKT3_S5_PKS7_SB_S5_SD_S8_SB_S5_SD_SB_PS3_PS7_PS9_21rocsparse_index_base_SH_SH_SH_bbb ; -- Begin function _ZN9rocsparseL36csrgemm_fill_block_per_row_multipassILj512ELj16ELj2048ELj32Eli21rocsparse_complex_numIdEEEvT4_PKS3_S5_NS_24const_host_device_scalarIT5_EEPKT3_S5_PKS7_SB_S5_SD_S8_SB_S5_SD_SB_PS3_PS7_PS9_21rocsparse_index_base_SH_SH_SH_bbb
	.p2align	8
	.type	_ZN9rocsparseL36csrgemm_fill_block_per_row_multipassILj512ELj16ELj2048ELj32Eli21rocsparse_complex_numIdEEEvT4_PKS3_S5_NS_24const_host_device_scalarIT5_EEPKT3_S5_PKS7_SB_S5_SD_S8_SB_S5_SD_SB_PS3_PS7_PS9_21rocsparse_index_base_SH_SH_SH_bbb,@function
_ZN9rocsparseL36csrgemm_fill_block_per_row_multipassILj512ELj16ELj2048ELj32Eli21rocsparse_complex_numIdEEEvT4_PKS3_S5_NS_24const_host_device_scalarIT5_EEPKT3_S5_PKS7_SB_S5_SD_S8_SB_S5_SD_SB_PS3_PS7_PS9_21rocsparse_index_base_SH_SH_SH_bbb: ; @_ZN9rocsparseL36csrgemm_fill_block_per_row_multipassILj512ELj16ELj2048ELj32Eli21rocsparse_complex_numIdEEEvT4_PKS3_S5_NS_24const_host_device_scalarIT5_EEPKT3_S5_PKS7_SB_S5_SD_S8_SB_S5_SD_SB_PS3_PS7_PS9_21rocsparse_index_base_SH_SH_SH_bbb
; %bb.0:
	s_clause 0x3
	s_load_b32 s5, s[2:3], 0xb0
	s_load_b256 s[16:23], s[2:3], 0x8
	s_load_b128 s[8:11], s[2:3], 0x58
	s_load_b128 s[28:31], s[2:3], 0xa0
	v_mov_b32_e32 v8, 0
	v_mov_b32_e32 v9, 0
	s_waitcnt lgkmcnt(0)
	s_bitcmp1_b32 s5, 0
	v_dual_mov_b32 v1, s20 :: v_dual_mov_b32 v2, s21
	s_cselect_b32 s14, -1, 0
	s_bitcmp1_b32 s5, 16
	v_dual_mov_b32 v11, v9 :: v_dual_mov_b32 v10, v8
	s_cselect_b32 s4, -1, 0
	v_dual_mov_b32 v13, v9 :: v_dual_mov_b32 v12, v8
	v_dual_mov_b32 v3, s8 :: v_dual_mov_b32 v4, s9
	s_xor_b32 s24, s4, -1
	s_bitcmp0_b32 s5, 0
	s_clause 0x1
	scratch_store_b64 off, v[1:2], off
	scratch_store_b64 off, v[3:4], off offset:8
	s_cbranch_scc1 .LBB257_3
; %bb.1:
	s_mov_b64 s[6:7], src_private_base
	s_and_b32 s6, s4, exec_lo
	s_cselect_b32 s6, s7, s21
	s_delay_alu instid0(SALU_CYCLE_1) | instskip(SKIP_2) | instid1(VALU_DEP_2)
	v_dual_mov_b32 v1, 0 :: v_dual_mov_b32 v2, s6
	v_dual_mov_b32 v12, s22 :: v_dual_mov_b32 v13, s23
	s_and_not1_b32 vcc_lo, exec_lo, s24
	v_cndmask_b32_e64 v1, s20, v1, s4
	flat_load_b64 v[10:11], v[1:2]
	s_cbranch_vccnz .LBB257_3
; %bb.2:
	v_dual_mov_b32 v1, s20 :: v_dual_mov_b32 v2, s21
	flat_load_b64 v[12:13], v[1:2] offset:8
.LBB257_3:
	s_load_b64 s[12:13], s[2:3], 0x28
	s_bitcmp1_b32 s5, 8
	v_dual_mov_b32 v15, v9 :: v_dual_mov_b32 v14, v8
	s_cselect_b32 s33, -1, 0
	s_bfe_u32 s5, s5, 0x10008
	s_mov_b64 s[6:7], 0
	s_cmp_eq_u32 s5, 0
	s_cbranch_scc1 .LBB257_6
; %bb.4:
	s_mov_b64 s[20:21], src_private_base
	s_and_b32 s5, s4, exec_lo
	s_cselect_b32 s5, s21, s9
	s_delay_alu instid0(SALU_CYCLE_1) | instskip(SKIP_2) | instid1(VALU_DEP_2)
	v_dual_mov_b32 v1, 8 :: v_dual_mov_b32 v2, s5
	v_dual_mov_b32 v8, s10 :: v_dual_mov_b32 v9, s11
	s_and_not1_b32 vcc_lo, exec_lo, s24
	v_cndmask_b32_e64 v1, s8, v1, s4
	flat_load_b64 v[14:15], v[1:2]
	s_cbranch_vccnz .LBB257_6
; %bb.5:
	v_dual_mov_b32 v1, s8 :: v_dual_mov_b32 v2, s9
	flat_load_b64 v[8:9], v[1:2] offset:8
.LBB257_6:
	s_load_b32 s4, s[16:17], 0x0
	s_mov_b32 s5, 0
	s_waitcnt lgkmcnt(0)
	s_add_i32 s4, s4, s15
	s_delay_alu instid0(SALU_CYCLE_1) | instskip(NEXT) | instid1(SALU_CYCLE_1)
	s_lshl_b64 s[4:5], s[4:5], 2
	s_add_u32 s4, s18, s4
	s_addc_u32 s5, s19, s5
	s_and_not1_b32 vcc_lo, exec_lo, s14
	s_load_b32 s4, s[4:5], 0x0
	s_cbranch_vccz .LBB257_9
; %bb.7:
	s_and_not1_b32 vcc_lo, exec_lo, s14
	s_mov_b64 s[34:35], 0
	s_cbranch_vccz .LBB257_10
.LBB257_8:
	s_load_b32 s52, s[2:3], 0x0
	s_waitcnt lgkmcnt(0)
	s_cmp_lt_i32 s52, 1
	s_cbranch_scc0 .LBB257_11
	s_branch .LBB257_72
.LBB257_9:
	s_waitcnt lgkmcnt(0)
	s_ashr_i32 s5, s4, 31
	s_delay_alu instid0(SALU_CYCLE_1) | instskip(NEXT) | instid1(SALU_CYCLE_1)
	s_lshl_b64 s[6:7], s[4:5], 3
	s_add_u32 s6, s12, s6
	s_addc_u32 s7, s13, s7
	s_load_b64 s[6:7], s[6:7], 0x0
	s_waitcnt lgkmcnt(0)
	s_sub_u32 s6, s6, s28
	s_subb_u32 s7, s7, 0
	s_and_not1_b32 vcc_lo, exec_lo, s14
	s_mov_b64 s[34:35], 0
	s_cbranch_vccnz .LBB257_8
.LBB257_10:
	s_waitcnt lgkmcnt(0)
	s_ashr_i32 s5, s4, 31
	s_delay_alu instid0(SALU_CYCLE_1) | instskip(NEXT) | instid1(SALU_CYCLE_1)
	s_lshl_b64 s[8:9], s[4:5], 3
	s_add_u32 s8, s12, s8
	s_addc_u32 s9, s13, s9
	s_load_b64 s[8:9], s[8:9], 0x8
	s_waitcnt lgkmcnt(0)
	s_sub_u32 s34, s8, s28
	s_subb_u32 s35, s9, 0
	s_load_b32 s52, s[2:3], 0x0
	s_waitcnt lgkmcnt(0)
	s_cmp_lt_i32 s52, 1
	s_cbranch_scc1 .LBB257_72
.LBB257_11:
	s_load_b64 s[0:1], s[0:1], 0x4
	s_clause 0x4
	s_load_b256 s[20:27], s[2:3], 0x68
	s_load_b64 s[48:49], s[2:3], 0x98
	s_load_b128 s[44:47], s[2:3], 0x88
	s_load_b64 s[50:51], s[2:3], 0x50
	s_load_b256 s[36:43], s[2:3], 0x30
	s_ashr_i32 s5, s4, 31
	v_and_b32_e32 v39, 0x3ff, v0
	s_lshl_b64 s[2:3], s[4:5], 3
	v_bfe_u32 v1, v0, 10, 10
	v_mbcnt_lo_u32_b32 v3, -1, 0
	v_bfe_u32 v2, v0, 20, 10
	v_mov_b32_e32 v0, 0
	v_lshrrev_b32_e32 v4, 4, v39
	v_dual_mov_b32 v53, 0x800 :: v_dual_and_b32 v40, 15, v39
	v_xor_b32_e32 v5, 8, v3
	v_xor_b32_e32 v6, 4, v3
	v_xor_b32_e32 v7, 2, v3
	v_sub_co_u32 v41, s9, v39, s31
	s_waitcnt lgkmcnt(0)
	s_lshr_b32 s8, s0, 16
	s_add_u32 s4, s26, s2
	s_addc_u32 s5, s27, s3
	s_mul_i32 s8, s8, s1
	s_load_b64 s[4:5], s[4:5], 0x0
	v_mul_lo_u32 v18, s8, v39
	v_mul_u32_u24_e32 v1, s1, v1
	v_cmp_gt_i32_e32 vcc_lo, 32, v5
	v_add_co_u32 v16, s1, s6, v4
	s_delay_alu instid0(VALU_DEP_1) | instskip(SKIP_3) | instid1(VALU_DEP_4)
	v_add_co_ci_u32_e64 v17, null, s7, 0, s1
	v_cndmask_b32_e32 v4, v3, v5, vcc_lo
	v_add3_u32 v1, v18, v1, v2
	v_xor_b32_e32 v2, 1, v3
	v_cmp_gt_i64_e32 vcc_lo, s[34:35], v[16:17]
	v_lshrrev_b32_e32 v5, 3, v39
	v_cmp_eq_u32_e64 s0, 0, v39
	v_lshl_add_u32 v44, v1, 4, 0x8808
	v_sub_co_ci_u32_e64 v42, null, 0, 0, s9
	v_cmp_eq_u32_e64 s1, 15, v40
	v_and_b32_e32 v48, 60, v5
	v_cmp_gt_u32_e64 s6, 0x80, v39
	s_waitcnt lgkmcnt(0)
	s_sub_u32 s18, s4, s30
	s_subb_u32 s19, s5, 0
	s_add_u32 s26, s20, s2
	v_cmp_gt_i32_e64 s2, 32, v6
	v_lshlrev_b32_e32 v43, 2, v4
	s_addc_u32 s27, s21, s3
	s_and_b32 s55, s14, vcc_lo
	s_add_u32 s56, s40, 8
	v_cndmask_b32_e64 v1, v3, v6, s2
	v_cmp_gt_i32_e64 s2, 32, v7
	s_addc_u32 s57, s41, 0
	v_cmp_gt_u32_e64 s3, 32, v39
	v_cmp_gt_u32_e64 s4, 64, v39
	v_lshlrev_b32_e32 v45, 2, v1
	v_cndmask_b32_e64 v4, v3, v7, s2
	v_cmp_gt_i32_e64 s2, 32, v2
	v_cmp_gt_u32_e64 s5, 0x60, v39
	v_cmp_gt_u32_e64 s7, 0xa0, v39
	;; [unrolled: 1-line block ×3, first 2 shown]
	v_lshlrev_b32_e32 v46, 2, v4
	v_cndmask_b32_e64 v2, v3, v2, s2
	v_xor_b32_e32 v3, 63, v3
	v_cmp_eq_u32_e64 s2, 0x1ff, v39
	v_cmp_gt_u32_e64 s9, 0xe0, v39
	v_cmp_gt_u32_e64 s10, 0x100, v39
	v_lshlrev_b32_e32 v47, 2, v2
	v_lshrrev_b64 v[18:19], v3, -1
	v_dual_mov_b32 v20, s19 :: v_dual_mov_b32 v19, s18
	v_cmp_gt_u32_e64 s11, 0x120, v39
	v_cmp_gt_u32_e64 s12, 0x140, v39
	;; [unrolled: 1-line block ×7, first 2 shown]
	s_add_u32 s44, s44, -4
	v_or_b32_e32 v49, 0xfffffe00, v39
	v_dual_mov_b32 v3, v0 :: v_dual_lshlrev_b32 v50, 4, v39
	v_mov_b32_e32 v1, v0
	v_dual_mov_b32 v2, v0 :: v_dual_mov_b32 v51, 1
	v_mov_b32_e32 v52, v0
	s_addc_u32 s45, s45, -1
	s_add_u32 s46, s46, -16
	s_mov_b32 s53, s29
	s_mov_b32 s54, s31
	s_addc_u32 s47, s47, -1
	s_branch .LBB257_13
.LBB257_12:                             ;   in Loop: Header=BB257_13 Depth=1
	s_or_b32 exec_lo, exec_lo, s19
	ds_load_b32 v52, v0 offset:34816
	s_waitcnt lgkmcnt(0)
	s_barrier
	buffer_gl0_inv
	v_cmp_le_i32_e32 vcc_lo, s52, v52
	v_add_nc_u32_e32 v53, 0x800, v52
	s_cbranch_vccnz .LBB257_72
.LBB257_13:                             ; =>This Loop Header: Depth=1
                                        ;     Child Loop BB257_14 Depth 2
                                        ;     Child Loop BB257_20 Depth 2
                                        ;       Child Loop BB257_26 Depth 3
                                        ;         Child Loop BB257_30 Depth 4
                                        ;         Child Loop BB257_32 Depth 4
                                        ;     Child Loop BB257_47 Depth 2
                                        ;       Child Loop BB257_51 Depth 3
                                        ;       Child Loop BB257_53 Depth 3
                                        ;     Child Loop BB257_63 Depth 2
                                        ;     Child Loop BB257_68 Depth 2
	v_dual_mov_b32 v4, v50 :: v_dual_mov_b32 v5, v49
	s_mov_b32 s18, 0
.LBB257_14:                             ;   Parent Loop BB257_13 Depth=1
                                        ; =>  This Inner Loop Header: Depth=2
	ds_store_b8 v5, v0 offset:33280
	v_add_nc_u32_e32 v5, 0x200, v5
	ds_store_b128 v4, v[0:3]
	v_add_nc_u32_e32 v4, 0x2000, v4
	v_cmp_lt_u32_e32 vcc_lo, 0x5ff, v5
	s_or_b32 s18, vcc_lo, s18
	s_delay_alu instid0(SALU_CYCLE_1)
	s_and_not1_b32 exec_lo, exec_lo, s18
	s_cbranch_execnz .LBB257_14
; %bb.15:                               ;   in Loop: Header=BB257_13 Depth=1
	s_or_b32 exec_lo, exec_lo, s18
	s_and_saveexec_b32 s18, s0
	s_cbranch_execz .LBB257_17
; %bb.16:                               ;   in Loop: Header=BB257_13 Depth=1
	v_mov_b32_e32 v4, s52
	ds_store_b32 v0, v4 offset:34816
.LBB257_17:                             ;   in Loop: Header=BB257_13 Depth=1
	s_or_b32 exec_lo, exec_lo, s18
	v_mov_b32_e32 v54, s52
	s_waitcnt vmcnt(0) lgkmcnt(0)
	s_waitcnt_vscnt null, 0x0
	s_barrier
	buffer_gl0_inv
	s_and_saveexec_b32 s21, s55
	s_cbranch_execz .LBB257_43
; %bb.18:                               ;   in Loop: Header=BB257_13 Depth=1
	v_mov_b32_e32 v22, v17
	v_cmp_ne_u32_e64 s18, 0, v52
	v_dual_mov_b32 v54, s52 :: v_dual_mov_b32 v21, v16
	s_mov_b32 s58, 0
	s_branch .LBB257_20
.LBB257_19:                             ;   in Loop: Header=BB257_20 Depth=2
	s_or_b32 exec_lo, exec_lo, s20
	v_add_co_u32 v21, vcc_lo, v21, 32
	v_add_co_ci_u32_e32 v22, vcc_lo, 0, v22, vcc_lo
	s_delay_alu instid0(VALU_DEP_1) | instskip(SKIP_1) | instid1(SALU_CYCLE_1)
	v_cmp_le_i64_e32 vcc_lo, s[34:35], v[21:22]
	s_or_b32 s58, vcc_lo, s58
	s_and_not1_b32 exec_lo, exec_lo, s58
	s_cbranch_execz .LBB257_42
.LBB257_20:                             ;   Parent Loop BB257_13 Depth=1
                                        ; =>  This Loop Header: Depth=2
                                        ;       Child Loop BB257_26 Depth 3
                                        ;         Child Loop BB257_30 Depth 4
                                        ;         Child Loop BB257_32 Depth 4
	s_delay_alu instid0(VALU_DEP_1) | instskip(SKIP_2) | instid1(VALU_DEP_2)
	v_lshlrev_b64 v[4:5], 2, v[21:22]
	s_waitcnt lgkmcnt(0)
	v_lshlrev_b64 v[6:7], 4, v[21:22]
	v_add_co_u32 v4, vcc_lo, s36, v4
	s_delay_alu instid0(VALU_DEP_3)
	v_add_co_ci_u32_e32 v5, vcc_lo, s37, v5, vcc_lo
	global_load_b32 v23, v[4:5], off
	v_add_co_u32 v4, vcc_lo, s38, v6
	v_add_co_ci_u32_e32 v5, vcc_lo, s39, v7, vcc_lo
	s_and_b32 vcc_lo, exec_lo, s18
	global_load_b128 v[4:7], v[4:5], off
	s_waitcnt vmcnt(1)
	v_subrev_nc_u32_e32 v25, s28, v23
	v_lshlrev_b64 v[23:24], 3, v[21:22]
	s_delay_alu instid0(VALU_DEP_2)
	v_ashrrev_i32_e32 v26, 31, v25
	s_cbranch_vccz .LBB257_41
; %bb.21:                               ;   in Loop: Header=BB257_20 Depth=2
	s_delay_alu instid0(VALU_DEP_2) | instskip(NEXT) | instid1(VALU_DEP_3)
	v_add_co_u32 v27, vcc_lo, s48, v23
	v_add_co_ci_u32_e32 v28, vcc_lo, s49, v24, vcc_lo
	global_load_b64 v[29:30], v[27:28], off
	s_cbranch_execnz .LBB257_23
.LBB257_22:                             ;   in Loop: Header=BB257_20 Depth=2
	s_delay_alu instid0(VALU_DEP_1) | instskip(NEXT) | instid1(VALU_DEP_1)
	v_lshlrev_b64 v[27:28], 3, v[25:26]
	v_add_co_u32 v27, vcc_lo, s40, v27
	s_delay_alu instid0(VALU_DEP_2)
	v_add_co_ci_u32_e32 v28, vcc_lo, s41, v28, vcc_lo
	global_load_b64 v[27:28], v[27:28], off
	s_waitcnt vmcnt(0)
	v_sub_co_u32 v29, vcc_lo, v27, s53
	v_subrev_co_ci_u32_e32 v30, vcc_lo, 0, v28, vcc_lo
.LBB257_23:                             ;   in Loop: Header=BB257_20 Depth=2
	v_lshlrev_b64 v[25:26], 3, v[25:26]
	s_mov_b32 s59, exec_lo
	s_delay_alu instid0(VALU_DEP_1) | instskip(NEXT) | instid1(VALU_DEP_2)
	v_add_co_u32 v25, vcc_lo, s56, v25
	v_add_co_ci_u32_e32 v26, vcc_lo, s57, v26, vcc_lo
	global_load_b64 v[25:26], v[25:26], off
	s_waitcnt vmcnt(0)
	v_sub_co_u32 v27, vcc_lo, v25, s53
	v_subrev_co_ci_u32_e32 v28, vcc_lo, 0, v26, vcc_lo
	v_add_co_u32 v25, vcc_lo, v29, v40
	v_add_co_ci_u32_e32 v26, vcc_lo, 0, v30, vcc_lo
	s_delay_alu instid0(VALU_DEP_1)
	v_cmpx_lt_i64_e64 v[25:26], v[27:28]
	s_cbranch_execz .LBB257_39
; %bb.24:                               ;   in Loop: Header=BB257_20 Depth=2
	v_mul_f64 v[29:30], v[6:7], -v[12:13]
	v_mul_f64 v[6:7], v[10:11], v[6:7]
	v_dual_mov_b32 v34, v26 :: v_dual_mov_b32 v33, v25
	s_mov_b32 s61, 0
                                        ; implicit-def: $sgpr60
                                        ; implicit-def: $sgpr62
	s_delay_alu instid0(VALU_DEP_3) | instskip(NEXT) | instid1(VALU_DEP_3)
	v_fma_f64 v[29:30], v[10:11], v[4:5], v[29:30]
	v_fma_f64 v[31:32], v[12:13], v[4:5], v[6:7]
	s_branch .LBB257_26
.LBB257_25:                             ;   in Loop: Header=BB257_26 Depth=3
	s_or_b32 exec_lo, exec_lo, s20
	s_delay_alu instid0(SALU_CYCLE_1) | instskip(SKIP_4) | instid1(SALU_CYCLE_1)
	s_and_b32 s19, exec_lo, s63
	v_dual_mov_b32 v34, v7 :: v_dual_mov_b32 v33, v6
	s_or_b32 s61, s19, s61
	s_and_not1_b32 s19, s60, exec_lo
	s_and_b32 s20, s62, exec_lo
	s_or_b32 s60, s19, s20
	s_and_not1_b32 exec_lo, exec_lo, s61
	s_cbranch_execz .LBB257_36
.LBB257_26:                             ;   Parent Loop BB257_13 Depth=1
                                        ;     Parent Loop BB257_20 Depth=2
                                        ; =>    This Loop Header: Depth=3
                                        ;         Child Loop BB257_30 Depth 4
                                        ;         Child Loop BB257_32 Depth 4
	v_lshlrev_b64 v[4:5], 2, v[33:34]
	s_delay_alu instid0(VALU_DEP_1) | instskip(NEXT) | instid1(VALU_DEP_2)
	v_add_co_u32 v4, vcc_lo, s42, v4
	v_add_co_ci_u32_e32 v5, vcc_lo, s43, v5, vcc_lo
	global_load_b32 v4, v[4:5], off
	s_waitcnt vmcnt(0)
	v_subrev_nc_u32_e32 v55, s29, v4
	s_delay_alu instid0(VALU_DEP_1) | instskip(SKIP_2) | instid1(VALU_DEP_2)
	v_cmp_lt_i32_e64 s19, v55, v52
	v_cmp_ge_i32_e64 s20, v55, v53
	v_cmp_lt_i32_e32 vcc_lo, v55, v53
	s_or_b32 s63, s19, s20
	s_mov_b32 s19, 0
                                        ; implicit-def: $sgpr20
	s_and_saveexec_b32 s64, s63
	s_delay_alu instid0(SALU_CYCLE_1)
	s_xor_b32 s63, exec_lo, s64
; %bb.27:                               ;   in Loop: Header=BB257_26 Depth=3
	s_mov_b32 s20, -1
	s_and_b32 s19, vcc_lo, exec_lo
; %bb.28:                               ;   in Loop: Header=BB257_26 Depth=3
	s_and_not1_saveexec_b32 s63, s63
	s_cbranch_execz .LBB257_34
; %bb.29:                               ;   in Loop: Header=BB257_26 Depth=3
	v_lshlrev_b64 v[4:5], 4, v[33:34]
	v_sub_nc_u32_e32 v37, v55, v52
	s_mov_b32 s64, 0
	s_delay_alu instid0(VALU_DEP_1) | instskip(NEXT) | instid1(VALU_DEP_3)
	v_lshlrev_b32_e32 v56, 4, v37
	v_add_co_u32 v4, vcc_lo, s50, v4
	s_delay_alu instid0(VALU_DEP_4)
	v_add_co_ci_u32_e32 v5, vcc_lo, s51, v5, vcc_lo
	ds_store_b8 v37, v51 offset:32768
	ds_load_b64 v[37:38], v56
	global_load_b128 v[4:7], v[4:5], off
	s_waitcnt vmcnt(0)
	v_mul_f64 v[35:36], v[6:7], -v[31:32]
	s_delay_alu instid0(VALU_DEP_1)
	v_fma_f64 v[35:36], v[29:30], v[4:5], v[35:36]
.LBB257_30:                             ;   Parent Loop BB257_13 Depth=1
                                        ;     Parent Loop BB257_20 Depth=2
                                        ;       Parent Loop BB257_26 Depth=3
                                        ; =>      This Inner Loop Header: Depth=4
	s_waitcnt lgkmcnt(0)
	s_delay_alu instid0(VALU_DEP_1)
	v_add_f64 v[57:58], v[37:38], v[35:36]
	ds_cmpstore_rtn_b64 v[57:58], v56, v[57:58], v[37:38]
	s_waitcnt lgkmcnt(0)
	v_cmp_eq_u64_e32 vcc_lo, v[57:58], v[37:38]
	v_dual_mov_b32 v37, v57 :: v_dual_mov_b32 v38, v58
	s_or_b32 s64, vcc_lo, s64
	s_delay_alu instid0(SALU_CYCLE_1)
	s_and_not1_b32 exec_lo, exec_lo, s64
	s_cbranch_execnz .LBB257_30
; %bb.31:                               ;   in Loop: Header=BB257_26 Depth=3
	s_or_b32 exec_lo, exec_lo, s64
	v_mul_f64 v[6:7], v[29:30], v[6:7]
	s_mov_b32 s64, 0
	s_delay_alu instid0(VALU_DEP_1)
	v_fma_f64 v[4:5], v[31:32], v[4:5], v[6:7]
	ds_load_b64 v[6:7], v56 offset:8
.LBB257_32:                             ;   Parent Loop BB257_13 Depth=1
                                        ;     Parent Loop BB257_20 Depth=2
                                        ;       Parent Loop BB257_26 Depth=3
                                        ; =>      This Inner Loop Header: Depth=4
	s_waitcnt lgkmcnt(0)
	v_add_f64 v[35:36], v[6:7], v[4:5]
	ds_cmpstore_rtn_b64 v[35:36], v56, v[35:36], v[6:7] offset:8
	s_waitcnt lgkmcnt(0)
	v_cmp_eq_u64_e32 vcc_lo, v[35:36], v[6:7]
	v_dual_mov_b32 v6, v35 :: v_dual_mov_b32 v7, v36
	s_or_b32 s64, vcc_lo, s64
	s_delay_alu instid0(SALU_CYCLE_1)
	s_and_not1_b32 exec_lo, exec_lo, s64
	s_cbranch_execnz .LBB257_32
; %bb.33:                               ;   in Loop: Header=BB257_26 Depth=3
	s_or_b32 exec_lo, exec_lo, s64
	s_delay_alu instid0(SALU_CYCLE_1)
	s_or_b32 s19, s19, exec_lo
.LBB257_34:                             ;   in Loop: Header=BB257_26 Depth=3
	s_or_b32 exec_lo, exec_lo, s63
	v_dual_mov_b32 v4, v33 :: v_dual_mov_b32 v5, v34
	s_and_not1_b32 s62, s62, exec_lo
	s_and_b32 s20, s20, exec_lo
	s_mov_b32 s63, -1
	s_or_b32 s62, s62, s20
                                        ; implicit-def: $vgpr6_vgpr7
	s_and_saveexec_b32 s20, s19
	s_cbranch_execz .LBB257_25
; %bb.35:                               ;   in Loop: Header=BB257_26 Depth=3
	v_add_co_u32 v6, vcc_lo, v33, 16
	v_add_co_ci_u32_e32 v7, vcc_lo, 0, v34, vcc_lo
	v_dual_mov_b32 v4, v33 :: v_dual_mov_b32 v5, v34
	s_and_not1_b32 s62, s62, exec_lo
	s_delay_alu instid0(VALU_DEP_2)
	v_cmp_ge_i64_e32 vcc_lo, v[6:7], v[27:28]
	s_or_not1_b32 s63, vcc_lo, exec_lo
	s_branch .LBB257_25
.LBB257_36:                             ;   in Loop: Header=BB257_20 Depth=2
	s_or_b32 exec_lo, exec_lo, s61
	s_and_saveexec_b32 s19, s60
	s_delay_alu instid0(SALU_CYCLE_1)
	s_xor_b32 s19, exec_lo, s19
; %bb.37:                               ;   in Loop: Header=BB257_20 Depth=2
	v_min_i32_e32 v54, v55, v54
	v_dual_mov_b32 v26, v5 :: v_dual_mov_b32 v25, v4
; %bb.38:                               ;   in Loop: Header=BB257_20 Depth=2
	s_or_b32 exec_lo, exec_lo, s19
.LBB257_39:                             ;   in Loop: Header=BB257_20 Depth=2
	s_delay_alu instid0(SALU_CYCLE_1)
	s_or_b32 exec_lo, exec_lo, s59
	ds_bpermute_b32 v4, v43, v25
	ds_bpermute_b32 v5, v43, v26
	s_waitcnt lgkmcnt(0)
	v_cmp_lt_i64_e32 vcc_lo, v[4:5], v[25:26]
	v_dual_cndmask_b32 v5, v26, v5 :: v_dual_cndmask_b32 v4, v25, v4
	ds_bpermute_b32 v7, v45, v5
	ds_bpermute_b32 v6, v45, v4
	s_waitcnt lgkmcnt(0)
	v_cmp_lt_i64_e32 vcc_lo, v[6:7], v[4:5]
	v_dual_cndmask_b32 v5, v5, v7 :: v_dual_cndmask_b32 v4, v4, v6
	;; [unrolled: 5-line block ×3, first 2 shown]
	ds_bpermute_b32 v7, v47, v5
	ds_bpermute_b32 v6, v47, v4
	s_and_saveexec_b32 s20, s1
	s_cbranch_execz .LBB257_19
; %bb.40:                               ;   in Loop: Header=BB257_20 Depth=2
	s_waitcnt lgkmcnt(0)
	v_cmp_lt_i64_e32 vcc_lo, v[6:7], v[4:5]
	v_add_co_u32 v23, s19, s48, v23
	s_delay_alu instid0(VALU_DEP_1)
	v_add_co_ci_u32_e64 v24, s19, s49, v24, s19
	v_dual_cndmask_b32 v5, v5, v7 :: v_dual_cndmask_b32 v4, v4, v6
	global_store_b64 v[23:24], v[4:5], off
	s_branch .LBB257_19
.LBB257_41:                             ;   in Loop: Header=BB257_20 Depth=2
                                        ; implicit-def: $vgpr29_vgpr30
	s_branch .LBB257_22
.LBB257_42:                             ;   in Loop: Header=BB257_13 Depth=1
	s_or_b32 exec_lo, exec_lo, s58
.LBB257_43:                             ;   in Loop: Header=BB257_13 Depth=1
	s_delay_alu instid0(SALU_CYCLE_1) | instskip(NEXT) | instid1(SALU_CYCLE_1)
	s_or_b32 exec_lo, exec_lo, s21
	s_and_not1_b32 vcc_lo, exec_lo, s33
	s_cbranch_vccnz .LBB257_61
; %bb.44:                               ;   in Loop: Header=BB257_13 Depth=1
	s_load_b128 s[60:63], s[26:27], 0x0
	s_mov_b32 s58, exec_lo
	s_waitcnt lgkmcnt(0)
	v_add_co_u32 v21, vcc_lo, s60, v41
	v_add_co_ci_u32_e32 v22, vcc_lo, s61, v42, vcc_lo
	s_sub_u32 s20, s62, s54
	s_subb_u32 s21, s63, 0
	s_delay_alu instid0(VALU_DEP_1) | instid1(SALU_CYCLE_1)
	v_cmpx_gt_i64_e64 s[20:21], v[21:22]
	s_cbranch_execz .LBB257_60
; %bb.45:                               ;   in Loop: Header=BB257_13 Depth=1
	s_mov_b32 s59, 0
                                        ; implicit-def: $sgpr60
                                        ; implicit-def: $sgpr61
	s_branch .LBB257_47
.LBB257_46:                             ;   in Loop: Header=BB257_47 Depth=2
	s_or_b32 exec_lo, exec_lo, s62
	s_delay_alu instid0(SALU_CYCLE_1) | instskip(NEXT) | instid1(SALU_CYCLE_1)
	s_and_b32 s18, exec_lo, s19
	s_or_b32 s59, s18, s59
	s_and_not1_b32 s18, s60, exec_lo
	s_and_b32 s19, s61, exec_lo
	s_delay_alu instid0(SALU_CYCLE_1)
	s_or_b32 s60, s18, s19
	s_and_not1_b32 exec_lo, exec_lo, s59
	s_cbranch_execz .LBB257_57
.LBB257_47:                             ;   Parent Loop BB257_13 Depth=1
                                        ; =>  This Loop Header: Depth=2
                                        ;       Child Loop BB257_51 Depth 3
                                        ;       Child Loop BB257_53 Depth 3
	v_lshlrev_b64 v[4:5], 2, v[21:22]
	s_delay_alu instid0(VALU_DEP_1) | instskip(NEXT) | instid1(VALU_DEP_2)
	v_add_co_u32 v4, vcc_lo, s22, v4
	v_add_co_ci_u32_e32 v5, vcc_lo, s23, v5, vcc_lo
	global_load_b32 v4, v[4:5], off
	s_waitcnt vmcnt(0)
	v_subrev_nc_u32_e32 v27, s31, v4
	s_delay_alu instid0(VALU_DEP_1) | instskip(SKIP_2) | instid1(VALU_DEP_2)
	v_cmp_lt_i32_e64 s18, v27, v52
	v_cmp_ge_i32_e64 s19, v27, v53
	v_cmp_lt_i32_e32 vcc_lo, v27, v53
	s_or_b32 s62, s18, s19
	s_mov_b32 s18, 0
                                        ; implicit-def: $sgpr19
	s_and_saveexec_b32 s63, s62
	s_delay_alu instid0(SALU_CYCLE_1)
	s_xor_b32 s62, exec_lo, s63
; %bb.48:                               ;   in Loop: Header=BB257_47 Depth=2
	s_mov_b32 s19, -1
	s_and_b32 s18, vcc_lo, exec_lo
; %bb.49:                               ;   in Loop: Header=BB257_47 Depth=2
	s_and_not1_saveexec_b32 s62, s62
	s_cbranch_execz .LBB257_55
; %bb.50:                               ;   in Loop: Header=BB257_47 Depth=2
	v_lshlrev_b64 v[4:5], 4, v[21:22]
	v_sub_nc_u32_e32 v25, v27, v52
	s_mov_b32 s63, 0
	s_delay_alu instid0(VALU_DEP_1) | instskip(NEXT) | instid1(VALU_DEP_3)
	v_lshlrev_b32_e32 v28, 4, v25
	v_add_co_u32 v4, vcc_lo, s24, v4
	s_delay_alu instid0(VALU_DEP_4)
	v_add_co_ci_u32_e32 v5, vcc_lo, s25, v5, vcc_lo
	ds_store_b8 v25, v51 offset:32768
	ds_load_b64 v[25:26], v28
	global_load_b128 v[4:7], v[4:5], off
	s_waitcnt vmcnt(0)
	v_mul_f64 v[23:24], v[6:7], -v[8:9]
	s_delay_alu instid0(VALU_DEP_1)
	v_fma_f64 v[23:24], v[14:15], v[4:5], v[23:24]
.LBB257_51:                             ;   Parent Loop BB257_13 Depth=1
                                        ;     Parent Loop BB257_47 Depth=2
                                        ; =>    This Inner Loop Header: Depth=3
	s_waitcnt lgkmcnt(0)
	s_delay_alu instid0(VALU_DEP_1)
	v_add_f64 v[29:30], v[25:26], v[23:24]
	ds_cmpstore_rtn_b64 v[29:30], v28, v[29:30], v[25:26]
	s_waitcnt lgkmcnt(0)
	v_cmp_eq_u64_e32 vcc_lo, v[29:30], v[25:26]
	v_dual_mov_b32 v25, v29 :: v_dual_mov_b32 v26, v30
	s_or_b32 s63, vcc_lo, s63
	s_delay_alu instid0(SALU_CYCLE_1)
	s_and_not1_b32 exec_lo, exec_lo, s63
	s_cbranch_execnz .LBB257_51
; %bb.52:                               ;   in Loop: Header=BB257_47 Depth=2
	s_or_b32 exec_lo, exec_lo, s63
	v_mul_f64 v[6:7], v[14:15], v[6:7]
	s_mov_b32 s63, 0
	s_delay_alu instid0(VALU_DEP_1)
	v_fma_f64 v[4:5], v[8:9], v[4:5], v[6:7]
	ds_load_b64 v[6:7], v28 offset:8
.LBB257_53:                             ;   Parent Loop BB257_13 Depth=1
                                        ;     Parent Loop BB257_47 Depth=2
                                        ; =>    This Inner Loop Header: Depth=3
	s_waitcnt lgkmcnt(0)
	v_add_f64 v[23:24], v[6:7], v[4:5]
	ds_cmpstore_rtn_b64 v[23:24], v28, v[23:24], v[6:7] offset:8
	s_waitcnt lgkmcnt(0)
	v_cmp_eq_u64_e32 vcc_lo, v[23:24], v[6:7]
	v_dual_mov_b32 v6, v23 :: v_dual_mov_b32 v7, v24
	s_or_b32 s63, vcc_lo, s63
	s_delay_alu instid0(SALU_CYCLE_1)
	s_and_not1_b32 exec_lo, exec_lo, s63
	s_cbranch_execnz .LBB257_53
; %bb.54:                               ;   in Loop: Header=BB257_47 Depth=2
	s_or_b32 exec_lo, exec_lo, s63
	s_delay_alu instid0(SALU_CYCLE_1)
	s_or_b32 s18, s18, exec_lo
.LBB257_55:                             ;   in Loop: Header=BB257_47 Depth=2
	s_or_b32 exec_lo, exec_lo, s62
	s_delay_alu instid0(SALU_CYCLE_1)
	s_and_not1_b32 s61, s61, exec_lo
	s_and_b32 s62, s19, exec_lo
	s_mov_b32 s19, -1
	s_or_b32 s61, s61, s62
	s_and_saveexec_b32 s62, s18
	s_cbranch_execz .LBB257_46
; %bb.56:                               ;   in Loop: Header=BB257_47 Depth=2
	v_add_co_u32 v21, vcc_lo, 0x200, v21
	v_add_co_ci_u32_e32 v22, vcc_lo, 0, v22, vcc_lo
	s_and_not1_b32 s61, s61, exec_lo
	s_delay_alu instid0(VALU_DEP_1)
	v_cmp_le_i64_e32 vcc_lo, s[20:21], v[21:22]
	s_or_not1_b32 s19, vcc_lo, exec_lo
	s_branch .LBB257_46
.LBB257_57:                             ;   in Loop: Header=BB257_13 Depth=1
	s_or_b32 exec_lo, exec_lo, s59
	s_and_saveexec_b32 s18, s60
	s_delay_alu instid0(SALU_CYCLE_1)
	s_xor_b32 s18, exec_lo, s18
; %bb.58:                               ;   in Loop: Header=BB257_13 Depth=1
	v_min_i32_e32 v54, v27, v54
; %bb.59:                               ;   in Loop: Header=BB257_13 Depth=1
	s_or_b32 exec_lo, exec_lo, s18
.LBB257_60:                             ;   in Loop: Header=BB257_13 Depth=1
	s_delay_alu instid0(SALU_CYCLE_1)
	s_or_b32 exec_lo, exec_lo, s58
.LBB257_61:                             ;   in Loop: Header=BB257_13 Depth=1
	ds_bpermute_b32 v4, v43, v54
	s_waitcnt lgkmcnt(0)
	v_min_i32_e32 v4, v4, v54
	ds_bpermute_b32 v5, v45, v4
	s_waitcnt lgkmcnt(0)
	v_min_i32_e32 v4, v5, v4
	;; [unrolled: 3-line block ×3, first 2 shown]
	ds_bpermute_b32 v5, v47, v4
	s_and_saveexec_b32 s18, s1
	s_cbranch_execz .LBB257_66
; %bb.62:                               ;   in Loop: Header=BB257_13 Depth=1
	s_waitcnt lgkmcnt(0)
	v_min_i32_e32 v4, v5, v4
	s_mov_b32 s20, exec_lo
	s_brev_b32 s19, -2
.LBB257_63:                             ;   Parent Loop BB257_13 Depth=1
                                        ; =>  This Inner Loop Header: Depth=2
	s_ctz_i32_b32 s21, s20
	s_delay_alu instid0(VALU_DEP_1) | instid1(SALU_CYCLE_1)
	v_readlane_b32 s58, v4, s21
	s_lshl_b32 s21, 1, s21
	s_delay_alu instid0(SALU_CYCLE_1) | instskip(NEXT) | instid1(VALU_DEP_1)
	s_and_not1_b32 s20, s20, s21
	s_min_i32 s19, s19, s58
	s_cmp_lg_u32 s20, 0
	s_cbranch_scc1 .LBB257_63
; %bb.64:                               ;   in Loop: Header=BB257_13 Depth=1
	v_mbcnt_lo_u32_b32 v4, exec_lo, 0
	s_mov_b32 s20, exec_lo
	s_delay_alu instid0(VALU_DEP_1)
	v_cmpx_eq_u32_e32 0, v4
	s_xor_b32 s20, exec_lo, s20
	s_cbranch_execz .LBB257_66
; %bb.65:                               ;   in Loop: Header=BB257_13 Depth=1
	v_mov_b32_e32 v4, s19
	ds_min_i32 v0, v4 offset:34816
.LBB257_66:                             ;   in Loop: Header=BB257_13 Depth=1
	s_or_b32 exec_lo, exec_lo, s18
	s_waitcnt lgkmcnt(0)
	v_dual_mov_b32 v5, v50 :: v_dual_add_nc_u32 v4, s30, v52
	v_mov_b32_e32 v6, v39
	s_mov_b32 s19, 0
	s_waitcnt_vscnt null, 0x0
	s_barrier
	buffer_gl0_inv
	s_branch .LBB257_68
.LBB257_67:                             ;   in Loop: Header=BB257_68 Depth=2
	s_or_b32 exec_lo, exec_lo, s18
	s_waitcnt lgkmcnt(0)
	s_waitcnt_vscnt null, 0x0
	s_barrier
	buffer_gl0_inv
	ds_load_b32 v7, v0 offset:60
	v_add_nc_u32_e32 v21, 0x200, v6
	v_cmp_lt_u32_e32 vcc_lo, 0x5ff, v6
	s_delay_alu instid0(VALU_DEP_2) | instskip(SKIP_4) | instid1(VALU_DEP_1)
	v_dual_mov_b32 v6, v21 :: v_dual_add_nc_u32 v5, 0x2000, v5
	s_or_b32 s19, vcc_lo, s19
	s_waitcnt lgkmcnt(0)
	v_ashrrev_i32_e32 v22, 31, v7
	v_add_co_u32 v19, s18, v19, v7
	v_add_co_ci_u32_e64 v20, s18, v20, v22, s18
	s_and_not1_b32 exec_lo, exec_lo, s19
	s_cbranch_execz .LBB257_12
.LBB257_68:                             ;   Parent Loop BB257_13 Depth=1
                                        ; =>  This Inner Loop Header: Depth=2
	ds_load_u8 v7, v6 offset:32768
	ds_load_2addr_b64 v[21:24], v5 offset1:1
	s_waitcnt lgkmcnt(1)
	v_cmp_ne_u16_e32 vcc_lo, 0, v7
	s_waitcnt lgkmcnt(0)
	ds_store_2addr_b64 v44, v[21:22], v[23:24] offset1:1
	s_waitcnt lgkmcnt(0)
	s_barrier
	buffer_gl0_inv
	s_bcnt1_i32_b32 s18, vcc_lo
	v_and_b32_e32 v33, vcc_lo, v18
	v_mov_b32_e32 v25, s18
	s_mov_b32 s18, exec_lo
	ds_store_b32 v48, v25
	s_waitcnt lgkmcnt(0)
	s_barrier
	buffer_gl0_inv
	ds_load_b128 v[21:24], v0
	ds_load_b128 v[25:28], v0 offset:16
	ds_load_b128 v[29:32], v0 offset:32
	s_waitcnt lgkmcnt(2)
	v_cndmask_b32_e64 v21, v21, 0, s3
	v_cndmask_b32_e64 v34, v22, 0, s4
	;; [unrolled: 1-line block ×4, first 2 shown]
	s_waitcnt lgkmcnt(1)
	v_cndmask_b32_e64 v25, v25, 0, s7
	v_bcnt_u32_b32 v33, v33, v21
	ds_load_b96 v[21:23], v0 offset:48
	v_cndmask_b32_e64 v26, v26, 0, s8
	v_cndmask_b32_e64 v27, v27, 0, s9
	v_add3_u32 v33, v33, v34, v35
	s_delay_alu instid0(VALU_DEP_1) | instskip(SKIP_3) | instid1(VALU_DEP_3)
	v_add3_u32 v24, v33, v24, v25
	v_cndmask_b32_e64 v25, v28, 0, s10
	s_waitcnt lgkmcnt(1)
	v_cndmask_b32_e64 v28, v29, 0, s11
	v_add3_u32 v24, v24, v26, v27
	v_cndmask_b32_e64 v26, v30, 0, s12
	v_cndmask_b32_e64 v27, v31, 0, s13
	s_delay_alu instid0(VALU_DEP_3)
	v_add3_u32 v24, v24, v25, v28
	v_cndmask_b32_e64 v25, v32, 0, s14
	s_waitcnt lgkmcnt(0)
	v_cndmask_b32_e64 v21, v21, 0, s15
	v_cndmask_b32_e64 v22, v22, 0, s16
	;; [unrolled: 1-line block ×3, first 2 shown]
	v_add3_u32 v24, v24, v26, v27
	s_delay_alu instid0(VALU_DEP_1) | instskip(SKIP_1) | instid1(VALU_DEP_2)
	v_add3_u32 v21, v24, v25, v21
	v_and_b32_e32 v24, 1, v7
	v_add3_u32 v7, v21, v22, v23
	s_delay_alu instid0(VALU_DEP_2)
	v_cmpx_eq_u32_e32 1, v24
	s_cbranch_execz .LBB257_70
; %bb.69:                               ;   in Loop: Header=BB257_68 Depth=2
	s_delay_alu instid0(VALU_DEP_2) | instskip(SKIP_2) | instid1(VALU_DEP_3)
	v_ashrrev_i32_e32 v21, 31, v7
	v_add_co_u32 v25, vcc_lo, v19, v7
	v_add_nc_u32_e32 v29, v4, v6
	v_add_co_ci_u32_e32 v26, vcc_lo, v20, v21, vcc_lo
	ds_load_2addr_b64 v[21:24], v44 offset1:1
	v_lshlrev_b64 v[27:28], 2, v[25:26]
	v_lshlrev_b64 v[25:26], 4, v[25:26]
	s_delay_alu instid0(VALU_DEP_2) | instskip(NEXT) | instid1(VALU_DEP_3)
	v_add_co_u32 v27, vcc_lo, s44, v27
	v_add_co_ci_u32_e32 v28, vcc_lo, s45, v28, vcc_lo
	s_delay_alu instid0(VALU_DEP_3) | instskip(NEXT) | instid1(VALU_DEP_4)
	v_add_co_u32 v25, vcc_lo, s46, v25
	v_add_co_ci_u32_e32 v26, vcc_lo, s47, v26, vcc_lo
	global_store_b32 v[27:28], v29, off
	s_waitcnt lgkmcnt(0)
	global_store_b128 v[25:26], v[21:24], off
.LBB257_70:                             ;   in Loop: Header=BB257_68 Depth=2
	s_or_b32 exec_lo, exec_lo, s18
	s_and_saveexec_b32 s18, s2
	s_cbranch_execz .LBB257_67
; %bb.71:                               ;   in Loop: Header=BB257_68 Depth=2
	ds_store_b32 v0, v7 offset:60
	s_branch .LBB257_67
.LBB257_72:
	s_endpgm
	.section	.rodata,"a",@progbits
	.p2align	6, 0x0
	.amdhsa_kernel _ZN9rocsparseL36csrgemm_fill_block_per_row_multipassILj512ELj16ELj2048ELj32Eli21rocsparse_complex_numIdEEEvT4_PKS3_S5_NS_24const_host_device_scalarIT5_EEPKT3_S5_PKS7_SB_S5_SD_S8_SB_S5_SD_SB_PS3_PS7_PS9_21rocsparse_index_base_SH_SH_SH_bbb
		.amdhsa_group_segment_fixed_size 43016
		.amdhsa_private_segment_fixed_size 24
		.amdhsa_kernarg_size 180
		.amdhsa_user_sgpr_count 15
		.amdhsa_user_sgpr_dispatch_ptr 1
		.amdhsa_user_sgpr_queue_ptr 0
		.amdhsa_user_sgpr_kernarg_segment_ptr 1
		.amdhsa_user_sgpr_dispatch_id 0
		.amdhsa_user_sgpr_private_segment_size 0
		.amdhsa_wavefront_size32 1
		.amdhsa_uses_dynamic_stack 0
		.amdhsa_enable_private_segment 1
		.amdhsa_system_sgpr_workgroup_id_x 1
		.amdhsa_system_sgpr_workgroup_id_y 0
		.amdhsa_system_sgpr_workgroup_id_z 0
		.amdhsa_system_sgpr_workgroup_info 0
		.amdhsa_system_vgpr_workitem_id 2
		.amdhsa_next_free_vgpr 59
		.amdhsa_next_free_sgpr 65
		.amdhsa_reserve_vcc 1
		.amdhsa_float_round_mode_32 0
		.amdhsa_float_round_mode_16_64 0
		.amdhsa_float_denorm_mode_32 3
		.amdhsa_float_denorm_mode_16_64 3
		.amdhsa_dx10_clamp 1
		.amdhsa_ieee_mode 1
		.amdhsa_fp16_overflow 0
		.amdhsa_workgroup_processor_mode 1
		.amdhsa_memory_ordered 1
		.amdhsa_forward_progress 0
		.amdhsa_shared_vgpr_count 0
		.amdhsa_exception_fp_ieee_invalid_op 0
		.amdhsa_exception_fp_denorm_src 0
		.amdhsa_exception_fp_ieee_div_zero 0
		.amdhsa_exception_fp_ieee_overflow 0
		.amdhsa_exception_fp_ieee_underflow 0
		.amdhsa_exception_fp_ieee_inexact 0
		.amdhsa_exception_int_div_zero 0
	.end_amdhsa_kernel
	.section	.text._ZN9rocsparseL36csrgemm_fill_block_per_row_multipassILj512ELj16ELj2048ELj32Eli21rocsparse_complex_numIdEEEvT4_PKS3_S5_NS_24const_host_device_scalarIT5_EEPKT3_S5_PKS7_SB_S5_SD_S8_SB_S5_SD_SB_PS3_PS7_PS9_21rocsparse_index_base_SH_SH_SH_bbb,"axG",@progbits,_ZN9rocsparseL36csrgemm_fill_block_per_row_multipassILj512ELj16ELj2048ELj32Eli21rocsparse_complex_numIdEEEvT4_PKS3_S5_NS_24const_host_device_scalarIT5_EEPKT3_S5_PKS7_SB_S5_SD_S8_SB_S5_SD_SB_PS3_PS7_PS9_21rocsparse_index_base_SH_SH_SH_bbb,comdat
.Lfunc_end257:
	.size	_ZN9rocsparseL36csrgemm_fill_block_per_row_multipassILj512ELj16ELj2048ELj32Eli21rocsparse_complex_numIdEEEvT4_PKS3_S5_NS_24const_host_device_scalarIT5_EEPKT3_S5_PKS7_SB_S5_SD_S8_SB_S5_SD_SB_PS3_PS7_PS9_21rocsparse_index_base_SH_SH_SH_bbb, .Lfunc_end257-_ZN9rocsparseL36csrgemm_fill_block_per_row_multipassILj512ELj16ELj2048ELj32Eli21rocsparse_complex_numIdEEEvT4_PKS3_S5_NS_24const_host_device_scalarIT5_EEPKT3_S5_PKS7_SB_S5_SD_S8_SB_S5_SD_SB_PS3_PS7_PS9_21rocsparse_index_base_SH_SH_SH_bbb
                                        ; -- End function
	.section	.AMDGPU.csdata,"",@progbits
; Kernel info:
; codeLenInByte = 3716
; NumSgprs: 67
; NumVgprs: 59
; ScratchSize: 24
; MemoryBound: 0
; FloatMode: 240
; IeeeMode: 1
; LDSByteSize: 43016 bytes/workgroup (compile time only)
; SGPRBlocks: 8
; VGPRBlocks: 7
; NumSGPRsForWavesPerEU: 67
; NumVGPRsForWavesPerEU: 59
; Occupancy: 12
; WaveLimiterHint : 1
; COMPUTE_PGM_RSRC2:SCRATCH_EN: 1
; COMPUTE_PGM_RSRC2:USER_SGPR: 15
; COMPUTE_PGM_RSRC2:TRAP_HANDLER: 0
; COMPUTE_PGM_RSRC2:TGID_X_EN: 1
; COMPUTE_PGM_RSRC2:TGID_Y_EN: 0
; COMPUTE_PGM_RSRC2:TGID_Z_EN: 0
; COMPUTE_PGM_RSRC2:TIDIG_COMP_CNT: 2
	.section	.text._ZN9rocsparseL36csrgemm_fill_block_per_row_multipassILj512ELj16ELj2048ELj64Eli21rocsparse_complex_numIdEEEvT4_PKS3_S5_NS_24const_host_device_scalarIT5_EEPKT3_S5_PKS7_SB_S5_SD_S8_SB_S5_SD_SB_PS3_PS7_PS9_21rocsparse_index_base_SH_SH_SH_bbb,"axG",@progbits,_ZN9rocsparseL36csrgemm_fill_block_per_row_multipassILj512ELj16ELj2048ELj64Eli21rocsparse_complex_numIdEEEvT4_PKS3_S5_NS_24const_host_device_scalarIT5_EEPKT3_S5_PKS7_SB_S5_SD_S8_SB_S5_SD_SB_PS3_PS7_PS9_21rocsparse_index_base_SH_SH_SH_bbb,comdat
	.globl	_ZN9rocsparseL36csrgemm_fill_block_per_row_multipassILj512ELj16ELj2048ELj64Eli21rocsparse_complex_numIdEEEvT4_PKS3_S5_NS_24const_host_device_scalarIT5_EEPKT3_S5_PKS7_SB_S5_SD_S8_SB_S5_SD_SB_PS3_PS7_PS9_21rocsparse_index_base_SH_SH_SH_bbb ; -- Begin function _ZN9rocsparseL36csrgemm_fill_block_per_row_multipassILj512ELj16ELj2048ELj64Eli21rocsparse_complex_numIdEEEvT4_PKS3_S5_NS_24const_host_device_scalarIT5_EEPKT3_S5_PKS7_SB_S5_SD_S8_SB_S5_SD_SB_PS3_PS7_PS9_21rocsparse_index_base_SH_SH_SH_bbb
	.p2align	8
	.type	_ZN9rocsparseL36csrgemm_fill_block_per_row_multipassILj512ELj16ELj2048ELj64Eli21rocsparse_complex_numIdEEEvT4_PKS3_S5_NS_24const_host_device_scalarIT5_EEPKT3_S5_PKS7_SB_S5_SD_S8_SB_S5_SD_SB_PS3_PS7_PS9_21rocsparse_index_base_SH_SH_SH_bbb,@function
_ZN9rocsparseL36csrgemm_fill_block_per_row_multipassILj512ELj16ELj2048ELj64Eli21rocsparse_complex_numIdEEEvT4_PKS3_S5_NS_24const_host_device_scalarIT5_EEPKT3_S5_PKS7_SB_S5_SD_S8_SB_S5_SD_SB_PS3_PS7_PS9_21rocsparse_index_base_SH_SH_SH_bbb: ; @_ZN9rocsparseL36csrgemm_fill_block_per_row_multipassILj512ELj16ELj2048ELj64Eli21rocsparse_complex_numIdEEEvT4_PKS3_S5_NS_24const_host_device_scalarIT5_EEPKT3_S5_PKS7_SB_S5_SD_S8_SB_S5_SD_SB_PS3_PS7_PS9_21rocsparse_index_base_SH_SH_SH_bbb
; %bb.0:
	s_clause 0x3
	s_load_b32 s5, s[2:3], 0xb0
	s_load_b256 s[16:23], s[2:3], 0x8
	s_load_b128 s[8:11], s[2:3], 0x58
	s_load_b128 s[28:31], s[2:3], 0xa0
	v_mov_b32_e32 v8, 0
	v_mov_b32_e32 v9, 0
	s_waitcnt lgkmcnt(0)
	s_bitcmp1_b32 s5, 0
	v_dual_mov_b32 v1, s20 :: v_dual_mov_b32 v2, s21
	s_cselect_b32 s47, -1, 0
	s_bitcmp1_b32 s5, 16
	v_dual_mov_b32 v11, v9 :: v_dual_mov_b32 v10, v8
	s_cselect_b32 s4, -1, 0
	v_dual_mov_b32 v13, v9 :: v_dual_mov_b32 v12, v8
	v_dual_mov_b32 v3, s8 :: v_dual_mov_b32 v4, s9
	s_xor_b32 s14, s4, -1
	s_bitcmp0_b32 s5, 0
	s_clause 0x1
	scratch_store_b64 off, v[1:2], off
	scratch_store_b64 off, v[3:4], off offset:8
	s_cbranch_scc1 .LBB258_3
; %bb.1:
	s_mov_b64 s[6:7], src_private_base
	s_and_b32 s6, s4, exec_lo
	s_cselect_b32 s6, s7, s21
	s_delay_alu instid0(SALU_CYCLE_1) | instskip(SKIP_2) | instid1(VALU_DEP_2)
	v_dual_mov_b32 v1, 0 :: v_dual_mov_b32 v2, s6
	v_dual_mov_b32 v12, s22 :: v_dual_mov_b32 v13, s23
	s_and_not1_b32 vcc_lo, exec_lo, s14
	v_cndmask_b32_e64 v1, s20, v1, s4
	flat_load_b64 v[10:11], v[1:2]
	s_cbranch_vccnz .LBB258_3
; %bb.2:
	v_dual_mov_b32 v1, s20 :: v_dual_mov_b32 v2, s21
	flat_load_b64 v[12:13], v[1:2] offset:8
.LBB258_3:
	s_load_b64 s[12:13], s[2:3], 0x28
	s_bitcmp1_b32 s5, 8
	v_dual_mov_b32 v15, v9 :: v_dual_mov_b32 v14, v8
	s_cselect_b32 s33, -1, 0
	s_bfe_u32 s5, s5, 0x10008
	s_mov_b64 s[6:7], 0
	s_cmp_eq_u32 s5, 0
	s_cbranch_scc1 .LBB258_6
; %bb.4:
	s_mov_b64 s[20:21], src_private_base
	s_and_b32 s5, s4, exec_lo
	s_cselect_b32 s5, s21, s9
	s_delay_alu instid0(SALU_CYCLE_1) | instskip(SKIP_2) | instid1(VALU_DEP_2)
	v_dual_mov_b32 v1, 8 :: v_dual_mov_b32 v2, s5
	v_dual_mov_b32 v8, s10 :: v_dual_mov_b32 v9, s11
	s_and_not1_b32 vcc_lo, exec_lo, s14
	v_cndmask_b32_e64 v1, s8, v1, s4
	flat_load_b64 v[14:15], v[1:2]
	s_cbranch_vccnz .LBB258_6
; %bb.5:
	v_dual_mov_b32 v1, s8 :: v_dual_mov_b32 v2, s9
	flat_load_b64 v[8:9], v[1:2] offset:8
.LBB258_6:
	s_load_b32 s4, s[16:17], 0x0
	s_mov_b32 s5, 0
	s_waitcnt lgkmcnt(0)
	s_add_i32 s4, s4, s15
	s_delay_alu instid0(SALU_CYCLE_1) | instskip(NEXT) | instid1(SALU_CYCLE_1)
	s_lshl_b64 s[4:5], s[4:5], 2
	s_add_u32 s4, s18, s4
	s_addc_u32 s5, s19, s5
	s_and_not1_b32 vcc_lo, exec_lo, s47
	s_load_b32 s4, s[4:5], 0x0
	s_cbranch_vccz .LBB258_9
; %bb.7:
	s_and_not1_b32 vcc_lo, exec_lo, s47
	s_mov_b64 s[34:35], 0
	s_cbranch_vccz .LBB258_10
.LBB258_8:
	s_load_b32 s44, s[2:3], 0x0
	s_waitcnt lgkmcnt(0)
	s_cmp_lt_i32 s44, 1
	s_cbranch_scc0 .LBB258_11
	s_branch .LBB258_72
.LBB258_9:
	s_waitcnt lgkmcnt(0)
	s_ashr_i32 s5, s4, 31
	s_delay_alu instid0(SALU_CYCLE_1) | instskip(NEXT) | instid1(SALU_CYCLE_1)
	s_lshl_b64 s[6:7], s[4:5], 3
	s_add_u32 s6, s12, s6
	s_addc_u32 s7, s13, s7
	s_load_b64 s[6:7], s[6:7], 0x0
	s_waitcnt lgkmcnt(0)
	s_sub_u32 s6, s6, s28
	s_subb_u32 s7, s7, 0
	s_and_not1_b32 vcc_lo, exec_lo, s47
	s_mov_b64 s[34:35], 0
	s_cbranch_vccnz .LBB258_8
.LBB258_10:
	s_waitcnt lgkmcnt(0)
	s_ashr_i32 s5, s4, 31
	s_delay_alu instid0(SALU_CYCLE_1) | instskip(NEXT) | instid1(SALU_CYCLE_1)
	s_lshl_b64 s[8:9], s[4:5], 3
	s_add_u32 s8, s12, s8
	s_addc_u32 s9, s13, s9
	s_load_b64 s[8:9], s[8:9], 0x8
	s_waitcnt lgkmcnt(0)
	s_sub_u32 s34, s8, s28
	s_subb_u32 s35, s9, 0
	s_load_b32 s44, s[2:3], 0x0
	s_waitcnt lgkmcnt(0)
	s_cmp_lt_i32 s44, 1
	s_cbranch_scc1 .LBB258_72
.LBB258_11:
	s_load_b64 s[0:1], s[0:1], 0x4
	s_clause 0x4
	s_load_b256 s[12:19], s[2:3], 0x68
	s_load_b64 s[40:41], s[2:3], 0x98
	s_load_b128 s[36:39], s[2:3], 0x88
	s_load_b64 s[42:43], s[2:3], 0x50
	s_load_b256 s[20:27], s[2:3], 0x30
	s_ashr_i32 s5, s4, 31
	v_and_b32_e32 v39, 0x3ff, v0
	s_lshl_b64 s[2:3], s[4:5], 3
	v_bfe_u32 v1, v0, 10, 10
	v_mbcnt_lo_u32_b32 v3, -1, 0
	v_bfe_u32 v2, v0, 20, 10
	v_mov_b32_e32 v0, 0
	v_lshrrev_b32_e32 v4, 4, v39
	v_dual_mov_b32 v53, 0x800 :: v_dual_and_b32 v40, 15, v39
	v_xor_b32_e32 v6, 4, v3
	v_xor_b32_e32 v5, 8, v3
	;; [unrolled: 1-line block ×4, first 2 shown]
	s_waitcnt lgkmcnt(0)
	s_lshr_b32 s8, s0, 16
	s_add_u32 s4, s18, s2
	s_addc_u32 s5, s19, s3
	s_mul_i32 s8, s8, s1
	s_load_b64 s[4:5], s[4:5], 0x0
	v_mul_lo_u32 v7, s8, v39
	v_mul_u32_u24_e32 v1, s1, v1
	v_cmp_gt_i32_e32 vcc_lo, 32, v5
	v_add_co_u32 v16, s1, s6, v4
	s_delay_alu instid0(VALU_DEP_1) | instskip(SKIP_3) | instid1(VALU_DEP_4)
	v_add_co_ci_u32_e64 v17, null, s7, 0, s1
	v_sub_co_u32 v41, s9, v39, s31
	v_add3_u32 v1, v7, v1, v2
	v_cndmask_b32_e32 v2, v3, v5, vcc_lo
	v_cmp_gt_i64_e32 vcc_lo, s[34:35], v[16:17]
	v_cmp_eq_u32_e64 s0, 0, v39
	v_sub_co_ci_u32_e64 v42, null, 0, 0, s9
	v_lshl_add_u32 v43, v1, 4, 0x8808
	v_cmp_eq_u32_e64 s1, 15, v40
	v_and_b32_e32 v48, 28, v4
	v_cmp_gt_u32_e64 s6, 0x100, v39
	s_waitcnt lgkmcnt(0)
	s_sub_u32 s10, s4, s30
	s_subb_u32 s11, s5, 0
	s_add_u32 s18, s12, s2
	v_cmp_gt_i32_e64 s2, 32, v6
	s_addc_u32 s19, s13, s3
	s_and_b32 s47, s47, vcc_lo
	s_add_u32 s48, s24, 8
	s_addc_u32 s49, s25, 0
	v_cndmask_b32_e64 v1, v3, v6, s2
	v_cmp_gt_i32_e64 s2, 32, v18
	v_cmp_gt_u32_e64 s3, 64, v39
	v_cmp_gt_u32_e64 s4, 0x80, v39
	;; [unrolled: 1-line block ×3, first 2 shown]
	v_lshlrev_b32_e32 v45, 2, v1
	v_cndmask_b32_e64 v5, v3, v18, s2
	v_cmp_gt_i32_e64 s2, 32, v19
	v_cmp_gt_u32_e64 s7, 0x140, v39
	v_cmp_gt_u32_e64 s8, 0x180, v39
	;; [unrolled: 1-line block ×3, first 2 shown]
	v_dual_mov_b32 v1, v0 :: v_dual_lshlrev_b32 v46, 2, v5
	v_cndmask_b32_e64 v6, v3, v19, s2
	v_xor_b32_e32 v3, 63, v3
	v_cmp_eq_u32_e64 s2, 0x1ff, v39
	s_add_u32 s36, s36, -4
	v_or_b32_e32 v49, 0xfffffe00, v39
	v_lshlrev_b32_e32 v47, 2, v6
	v_lshrrev_b64 v[18:19], v3, -1
	v_mov_b32_e32 v20, s11
	v_dual_mov_b32 v19, s10 :: v_dual_lshlrev_b32 v44, 2, v2
	v_dual_mov_b32 v51, 1 :: v_dual_lshlrev_b32 v50, 4, v39
	v_mov_b32_e32 v2, v0
	v_mov_b32_e32 v3, v0
	;; [unrolled: 1-line block ×3, first 2 shown]
	s_addc_u32 s37, s37, -1
	s_add_u32 s38, s38, -16
	s_mov_b32 s45, s29
	s_mov_b32 s46, s31
	s_addc_u32 s39, s39, -1
	s_branch .LBB258_13
.LBB258_12:                             ;   in Loop: Header=BB258_13 Depth=1
	s_or_b32 exec_lo, exec_lo, s11
	ds_load_b32 v52, v0 offset:34816
	s_waitcnt lgkmcnt(0)
	s_barrier
	buffer_gl0_inv
	v_cmp_le_i32_e32 vcc_lo, s44, v52
	v_add_nc_u32_e32 v53, 0x800, v52
	s_cbranch_vccnz .LBB258_72
.LBB258_13:                             ; =>This Loop Header: Depth=1
                                        ;     Child Loop BB258_14 Depth 2
                                        ;     Child Loop BB258_20 Depth 2
                                        ;       Child Loop BB258_26 Depth 3
                                        ;         Child Loop BB258_30 Depth 4
                                        ;         Child Loop BB258_32 Depth 4
                                        ;     Child Loop BB258_47 Depth 2
                                        ;       Child Loop BB258_51 Depth 3
                                        ;       Child Loop BB258_53 Depth 3
                                        ;     Child Loop BB258_63 Depth 2
                                        ;     Child Loop BB258_68 Depth 2
	v_dual_mov_b32 v4, v50 :: v_dual_mov_b32 v5, v49
	s_mov_b32 s10, 0
.LBB258_14:                             ;   Parent Loop BB258_13 Depth=1
                                        ; =>  This Inner Loop Header: Depth=2
	ds_store_b8 v5, v0 offset:33280
	v_add_nc_u32_e32 v5, 0x200, v5
	ds_store_b128 v4, v[0:3]
	v_add_nc_u32_e32 v4, 0x2000, v4
	v_cmp_lt_u32_e32 vcc_lo, 0x5ff, v5
	s_or_b32 s10, vcc_lo, s10
	s_delay_alu instid0(SALU_CYCLE_1)
	s_and_not1_b32 exec_lo, exec_lo, s10
	s_cbranch_execnz .LBB258_14
; %bb.15:                               ;   in Loop: Header=BB258_13 Depth=1
	s_or_b32 exec_lo, exec_lo, s10
	s_and_saveexec_b32 s10, s0
	s_cbranch_execz .LBB258_17
; %bb.16:                               ;   in Loop: Header=BB258_13 Depth=1
	v_mov_b32_e32 v4, s44
	ds_store_b32 v0, v4 offset:34816
.LBB258_17:                             ;   in Loop: Header=BB258_13 Depth=1
	s_or_b32 exec_lo, exec_lo, s10
	v_mov_b32_e32 v54, s44
	s_waitcnt vmcnt(0) lgkmcnt(0)
	s_waitcnt_vscnt null, 0x0
	s_barrier
	buffer_gl0_inv
	s_and_saveexec_b32 s13, s47
	s_cbranch_execz .LBB258_43
; %bb.18:                               ;   in Loop: Header=BB258_13 Depth=1
	v_mov_b32_e32 v22, v17
	v_cmp_ne_u32_e64 s10, 0, v52
	v_dual_mov_b32 v54, s44 :: v_dual_mov_b32 v21, v16
	s_mov_b32 s50, 0
	s_branch .LBB258_20
.LBB258_19:                             ;   in Loop: Header=BB258_20 Depth=2
	s_or_b32 exec_lo, exec_lo, s12
	v_add_co_u32 v21, vcc_lo, v21, 32
	v_add_co_ci_u32_e32 v22, vcc_lo, 0, v22, vcc_lo
	s_delay_alu instid0(VALU_DEP_1) | instskip(SKIP_1) | instid1(SALU_CYCLE_1)
	v_cmp_le_i64_e32 vcc_lo, s[34:35], v[21:22]
	s_or_b32 s50, vcc_lo, s50
	s_and_not1_b32 exec_lo, exec_lo, s50
	s_cbranch_execz .LBB258_42
.LBB258_20:                             ;   Parent Loop BB258_13 Depth=1
                                        ; =>  This Loop Header: Depth=2
                                        ;       Child Loop BB258_26 Depth 3
                                        ;         Child Loop BB258_30 Depth 4
                                        ;         Child Loop BB258_32 Depth 4
	s_delay_alu instid0(VALU_DEP_1) | instskip(SKIP_2) | instid1(VALU_DEP_2)
	v_lshlrev_b64 v[4:5], 2, v[21:22]
	s_waitcnt lgkmcnt(0)
	v_lshlrev_b64 v[6:7], 4, v[21:22]
	v_add_co_u32 v4, vcc_lo, s20, v4
	s_delay_alu instid0(VALU_DEP_3)
	v_add_co_ci_u32_e32 v5, vcc_lo, s21, v5, vcc_lo
	global_load_b32 v23, v[4:5], off
	v_add_co_u32 v4, vcc_lo, s22, v6
	v_add_co_ci_u32_e32 v5, vcc_lo, s23, v7, vcc_lo
	s_and_b32 vcc_lo, exec_lo, s10
	global_load_b128 v[4:7], v[4:5], off
	s_waitcnt vmcnt(1)
	v_subrev_nc_u32_e32 v25, s28, v23
	v_lshlrev_b64 v[23:24], 3, v[21:22]
	s_delay_alu instid0(VALU_DEP_2)
	v_ashrrev_i32_e32 v26, 31, v25
	s_cbranch_vccz .LBB258_41
; %bb.21:                               ;   in Loop: Header=BB258_20 Depth=2
	s_delay_alu instid0(VALU_DEP_2) | instskip(NEXT) | instid1(VALU_DEP_3)
	v_add_co_u32 v27, vcc_lo, s40, v23
	v_add_co_ci_u32_e32 v28, vcc_lo, s41, v24, vcc_lo
	global_load_b64 v[29:30], v[27:28], off
	s_cbranch_execnz .LBB258_23
.LBB258_22:                             ;   in Loop: Header=BB258_20 Depth=2
	s_delay_alu instid0(VALU_DEP_1) | instskip(NEXT) | instid1(VALU_DEP_1)
	v_lshlrev_b64 v[27:28], 3, v[25:26]
	v_add_co_u32 v27, vcc_lo, s24, v27
	s_delay_alu instid0(VALU_DEP_2)
	v_add_co_ci_u32_e32 v28, vcc_lo, s25, v28, vcc_lo
	global_load_b64 v[27:28], v[27:28], off
	s_waitcnt vmcnt(0)
	v_sub_co_u32 v29, vcc_lo, v27, s45
	v_subrev_co_ci_u32_e32 v30, vcc_lo, 0, v28, vcc_lo
.LBB258_23:                             ;   in Loop: Header=BB258_20 Depth=2
	v_lshlrev_b64 v[25:26], 3, v[25:26]
	s_mov_b32 s51, exec_lo
	s_delay_alu instid0(VALU_DEP_1) | instskip(NEXT) | instid1(VALU_DEP_2)
	v_add_co_u32 v25, vcc_lo, s48, v25
	v_add_co_ci_u32_e32 v26, vcc_lo, s49, v26, vcc_lo
	global_load_b64 v[25:26], v[25:26], off
	s_waitcnt vmcnt(0)
	v_sub_co_u32 v27, vcc_lo, v25, s45
	v_subrev_co_ci_u32_e32 v28, vcc_lo, 0, v26, vcc_lo
	v_add_co_u32 v25, vcc_lo, v29, v40
	v_add_co_ci_u32_e32 v26, vcc_lo, 0, v30, vcc_lo
	s_delay_alu instid0(VALU_DEP_1)
	v_cmpx_lt_i64_e64 v[25:26], v[27:28]
	s_cbranch_execz .LBB258_39
; %bb.24:                               ;   in Loop: Header=BB258_20 Depth=2
	v_mul_f64 v[29:30], v[6:7], -v[12:13]
	v_mul_f64 v[6:7], v[10:11], v[6:7]
	v_dual_mov_b32 v34, v26 :: v_dual_mov_b32 v33, v25
	s_mov_b32 s53, 0
                                        ; implicit-def: $sgpr52
                                        ; implicit-def: $sgpr54
	s_delay_alu instid0(VALU_DEP_3) | instskip(NEXT) | instid1(VALU_DEP_3)
	v_fma_f64 v[29:30], v[10:11], v[4:5], v[29:30]
	v_fma_f64 v[31:32], v[12:13], v[4:5], v[6:7]
	s_branch .LBB258_26
.LBB258_25:                             ;   in Loop: Header=BB258_26 Depth=3
	s_or_b32 exec_lo, exec_lo, s12
	s_delay_alu instid0(SALU_CYCLE_1) | instskip(SKIP_4) | instid1(SALU_CYCLE_1)
	s_and_b32 s11, exec_lo, s55
	v_dual_mov_b32 v34, v7 :: v_dual_mov_b32 v33, v6
	s_or_b32 s53, s11, s53
	s_and_not1_b32 s11, s52, exec_lo
	s_and_b32 s12, s54, exec_lo
	s_or_b32 s52, s11, s12
	s_and_not1_b32 exec_lo, exec_lo, s53
	s_cbranch_execz .LBB258_36
.LBB258_26:                             ;   Parent Loop BB258_13 Depth=1
                                        ;     Parent Loop BB258_20 Depth=2
                                        ; =>    This Loop Header: Depth=3
                                        ;         Child Loop BB258_30 Depth 4
                                        ;         Child Loop BB258_32 Depth 4
	v_lshlrev_b64 v[4:5], 2, v[33:34]
	s_delay_alu instid0(VALU_DEP_1) | instskip(NEXT) | instid1(VALU_DEP_2)
	v_add_co_u32 v4, vcc_lo, s26, v4
	v_add_co_ci_u32_e32 v5, vcc_lo, s27, v5, vcc_lo
	global_load_b32 v4, v[4:5], off
	s_waitcnt vmcnt(0)
	v_subrev_nc_u32_e32 v55, s29, v4
	s_delay_alu instid0(VALU_DEP_1) | instskip(SKIP_2) | instid1(VALU_DEP_2)
	v_cmp_lt_i32_e64 s11, v55, v52
	v_cmp_ge_i32_e64 s12, v55, v53
	v_cmp_lt_i32_e32 vcc_lo, v55, v53
	s_or_b32 s55, s11, s12
	s_mov_b32 s11, 0
                                        ; implicit-def: $sgpr12
	s_and_saveexec_b32 s56, s55
	s_delay_alu instid0(SALU_CYCLE_1)
	s_xor_b32 s55, exec_lo, s56
; %bb.27:                               ;   in Loop: Header=BB258_26 Depth=3
	s_mov_b32 s12, -1
	s_and_b32 s11, vcc_lo, exec_lo
; %bb.28:                               ;   in Loop: Header=BB258_26 Depth=3
	s_and_not1_saveexec_b32 s55, s55
	s_cbranch_execz .LBB258_34
; %bb.29:                               ;   in Loop: Header=BB258_26 Depth=3
	v_lshlrev_b64 v[4:5], 4, v[33:34]
	v_sub_nc_u32_e32 v37, v55, v52
	s_mov_b32 s56, 0
	s_delay_alu instid0(VALU_DEP_1) | instskip(NEXT) | instid1(VALU_DEP_3)
	v_lshlrev_b32_e32 v56, 4, v37
	v_add_co_u32 v4, vcc_lo, s42, v4
	s_delay_alu instid0(VALU_DEP_4)
	v_add_co_ci_u32_e32 v5, vcc_lo, s43, v5, vcc_lo
	ds_store_b8 v37, v51 offset:32768
	ds_load_b64 v[37:38], v56
	global_load_b128 v[4:7], v[4:5], off
	s_waitcnt vmcnt(0)
	v_mul_f64 v[35:36], v[6:7], -v[31:32]
	s_delay_alu instid0(VALU_DEP_1)
	v_fma_f64 v[35:36], v[29:30], v[4:5], v[35:36]
.LBB258_30:                             ;   Parent Loop BB258_13 Depth=1
                                        ;     Parent Loop BB258_20 Depth=2
                                        ;       Parent Loop BB258_26 Depth=3
                                        ; =>      This Inner Loop Header: Depth=4
	s_waitcnt lgkmcnt(0)
	s_delay_alu instid0(VALU_DEP_1)
	v_add_f64 v[57:58], v[37:38], v[35:36]
	ds_cmpstore_rtn_b64 v[57:58], v56, v[57:58], v[37:38]
	s_waitcnt lgkmcnt(0)
	v_cmp_eq_u64_e32 vcc_lo, v[57:58], v[37:38]
	v_dual_mov_b32 v37, v57 :: v_dual_mov_b32 v38, v58
	s_or_b32 s56, vcc_lo, s56
	s_delay_alu instid0(SALU_CYCLE_1)
	s_and_not1_b32 exec_lo, exec_lo, s56
	s_cbranch_execnz .LBB258_30
; %bb.31:                               ;   in Loop: Header=BB258_26 Depth=3
	s_or_b32 exec_lo, exec_lo, s56
	v_mul_f64 v[6:7], v[29:30], v[6:7]
	s_mov_b32 s56, 0
	s_delay_alu instid0(VALU_DEP_1)
	v_fma_f64 v[4:5], v[31:32], v[4:5], v[6:7]
	ds_load_b64 v[6:7], v56 offset:8
.LBB258_32:                             ;   Parent Loop BB258_13 Depth=1
                                        ;     Parent Loop BB258_20 Depth=2
                                        ;       Parent Loop BB258_26 Depth=3
                                        ; =>      This Inner Loop Header: Depth=4
	s_waitcnt lgkmcnt(0)
	v_add_f64 v[35:36], v[6:7], v[4:5]
	ds_cmpstore_rtn_b64 v[35:36], v56, v[35:36], v[6:7] offset:8
	s_waitcnt lgkmcnt(0)
	v_cmp_eq_u64_e32 vcc_lo, v[35:36], v[6:7]
	v_dual_mov_b32 v6, v35 :: v_dual_mov_b32 v7, v36
	s_or_b32 s56, vcc_lo, s56
	s_delay_alu instid0(SALU_CYCLE_1)
	s_and_not1_b32 exec_lo, exec_lo, s56
	s_cbranch_execnz .LBB258_32
; %bb.33:                               ;   in Loop: Header=BB258_26 Depth=3
	s_or_b32 exec_lo, exec_lo, s56
	s_delay_alu instid0(SALU_CYCLE_1)
	s_or_b32 s11, s11, exec_lo
.LBB258_34:                             ;   in Loop: Header=BB258_26 Depth=3
	s_or_b32 exec_lo, exec_lo, s55
	v_dual_mov_b32 v4, v33 :: v_dual_mov_b32 v5, v34
	s_and_not1_b32 s54, s54, exec_lo
	s_and_b32 s12, s12, exec_lo
	s_mov_b32 s55, -1
	s_or_b32 s54, s54, s12
                                        ; implicit-def: $vgpr6_vgpr7
	s_and_saveexec_b32 s12, s11
	s_cbranch_execz .LBB258_25
; %bb.35:                               ;   in Loop: Header=BB258_26 Depth=3
	v_add_co_u32 v6, vcc_lo, v33, 16
	v_add_co_ci_u32_e32 v7, vcc_lo, 0, v34, vcc_lo
	v_dual_mov_b32 v4, v33 :: v_dual_mov_b32 v5, v34
	s_and_not1_b32 s54, s54, exec_lo
	s_delay_alu instid0(VALU_DEP_2)
	v_cmp_ge_i64_e32 vcc_lo, v[6:7], v[27:28]
	s_or_not1_b32 s55, vcc_lo, exec_lo
	s_branch .LBB258_25
.LBB258_36:                             ;   in Loop: Header=BB258_20 Depth=2
	s_or_b32 exec_lo, exec_lo, s53
	s_and_saveexec_b32 s11, s52
	s_delay_alu instid0(SALU_CYCLE_1)
	s_xor_b32 s11, exec_lo, s11
; %bb.37:                               ;   in Loop: Header=BB258_20 Depth=2
	v_min_i32_e32 v54, v55, v54
	v_dual_mov_b32 v26, v5 :: v_dual_mov_b32 v25, v4
; %bb.38:                               ;   in Loop: Header=BB258_20 Depth=2
	s_or_b32 exec_lo, exec_lo, s11
.LBB258_39:                             ;   in Loop: Header=BB258_20 Depth=2
	s_delay_alu instid0(SALU_CYCLE_1)
	s_or_b32 exec_lo, exec_lo, s51
	ds_bpermute_b32 v4, v44, v25
	ds_bpermute_b32 v5, v44, v26
	s_waitcnt lgkmcnt(0)
	v_cmp_lt_i64_e32 vcc_lo, v[4:5], v[25:26]
	v_dual_cndmask_b32 v5, v26, v5 :: v_dual_cndmask_b32 v4, v25, v4
	ds_bpermute_b32 v7, v45, v5
	ds_bpermute_b32 v6, v45, v4
	s_waitcnt lgkmcnt(0)
	v_cmp_lt_i64_e32 vcc_lo, v[6:7], v[4:5]
	v_dual_cndmask_b32 v5, v5, v7 :: v_dual_cndmask_b32 v4, v4, v6
	;; [unrolled: 5-line block ×3, first 2 shown]
	ds_bpermute_b32 v7, v47, v5
	ds_bpermute_b32 v6, v47, v4
	s_and_saveexec_b32 s12, s1
	s_cbranch_execz .LBB258_19
; %bb.40:                               ;   in Loop: Header=BB258_20 Depth=2
	s_waitcnt lgkmcnt(0)
	v_cmp_lt_i64_e32 vcc_lo, v[6:7], v[4:5]
	v_add_co_u32 v23, s11, s40, v23
	s_delay_alu instid0(VALU_DEP_1)
	v_add_co_ci_u32_e64 v24, s11, s41, v24, s11
	v_dual_cndmask_b32 v5, v5, v7 :: v_dual_cndmask_b32 v4, v4, v6
	global_store_b64 v[23:24], v[4:5], off
	s_branch .LBB258_19
.LBB258_41:                             ;   in Loop: Header=BB258_20 Depth=2
                                        ; implicit-def: $vgpr29_vgpr30
	s_branch .LBB258_22
.LBB258_42:                             ;   in Loop: Header=BB258_13 Depth=1
	s_or_b32 exec_lo, exec_lo, s50
.LBB258_43:                             ;   in Loop: Header=BB258_13 Depth=1
	s_delay_alu instid0(SALU_CYCLE_1) | instskip(NEXT) | instid1(SALU_CYCLE_1)
	s_or_b32 exec_lo, exec_lo, s13
	s_and_not1_b32 vcc_lo, exec_lo, s33
	s_cbranch_vccnz .LBB258_61
; %bb.44:                               ;   in Loop: Header=BB258_13 Depth=1
	s_load_b128 s[52:55], s[18:19], 0x0
	s_mov_b32 s50, exec_lo
	s_waitcnt lgkmcnt(0)
	v_add_co_u32 v21, vcc_lo, s52, v41
	v_add_co_ci_u32_e32 v22, vcc_lo, s53, v42, vcc_lo
	s_sub_u32 s12, s54, s46
	s_subb_u32 s13, s55, 0
	s_delay_alu instid0(VALU_DEP_1) | instid1(SALU_CYCLE_1)
	v_cmpx_gt_i64_e64 s[12:13], v[21:22]
	s_cbranch_execz .LBB258_60
; %bb.45:                               ;   in Loop: Header=BB258_13 Depth=1
	s_mov_b32 s51, 0
                                        ; implicit-def: $sgpr52
                                        ; implicit-def: $sgpr53
	s_branch .LBB258_47
.LBB258_46:                             ;   in Loop: Header=BB258_47 Depth=2
	s_or_b32 exec_lo, exec_lo, s54
	s_delay_alu instid0(SALU_CYCLE_1) | instskip(NEXT) | instid1(SALU_CYCLE_1)
	s_and_b32 s10, exec_lo, s11
	s_or_b32 s51, s10, s51
	s_and_not1_b32 s10, s52, exec_lo
	s_and_b32 s11, s53, exec_lo
	s_delay_alu instid0(SALU_CYCLE_1)
	s_or_b32 s52, s10, s11
	s_and_not1_b32 exec_lo, exec_lo, s51
	s_cbranch_execz .LBB258_57
.LBB258_47:                             ;   Parent Loop BB258_13 Depth=1
                                        ; =>  This Loop Header: Depth=2
                                        ;       Child Loop BB258_51 Depth 3
                                        ;       Child Loop BB258_53 Depth 3
	v_lshlrev_b64 v[4:5], 2, v[21:22]
	s_delay_alu instid0(VALU_DEP_1) | instskip(NEXT) | instid1(VALU_DEP_2)
	v_add_co_u32 v4, vcc_lo, s14, v4
	v_add_co_ci_u32_e32 v5, vcc_lo, s15, v5, vcc_lo
	global_load_b32 v4, v[4:5], off
	s_waitcnt vmcnt(0)
	v_subrev_nc_u32_e32 v27, s31, v4
	s_delay_alu instid0(VALU_DEP_1) | instskip(SKIP_2) | instid1(VALU_DEP_2)
	v_cmp_lt_i32_e64 s10, v27, v52
	v_cmp_ge_i32_e64 s11, v27, v53
	v_cmp_lt_i32_e32 vcc_lo, v27, v53
	s_or_b32 s54, s10, s11
	s_mov_b32 s10, 0
                                        ; implicit-def: $sgpr11
	s_and_saveexec_b32 s55, s54
	s_delay_alu instid0(SALU_CYCLE_1)
	s_xor_b32 s54, exec_lo, s55
; %bb.48:                               ;   in Loop: Header=BB258_47 Depth=2
	s_mov_b32 s11, -1
	s_and_b32 s10, vcc_lo, exec_lo
; %bb.49:                               ;   in Loop: Header=BB258_47 Depth=2
	s_and_not1_saveexec_b32 s54, s54
	s_cbranch_execz .LBB258_55
; %bb.50:                               ;   in Loop: Header=BB258_47 Depth=2
	v_lshlrev_b64 v[4:5], 4, v[21:22]
	v_sub_nc_u32_e32 v25, v27, v52
	s_mov_b32 s55, 0
	s_delay_alu instid0(VALU_DEP_1) | instskip(NEXT) | instid1(VALU_DEP_3)
	v_lshlrev_b32_e32 v28, 4, v25
	v_add_co_u32 v4, vcc_lo, s16, v4
	s_delay_alu instid0(VALU_DEP_4)
	v_add_co_ci_u32_e32 v5, vcc_lo, s17, v5, vcc_lo
	ds_store_b8 v25, v51 offset:32768
	ds_load_b64 v[25:26], v28
	global_load_b128 v[4:7], v[4:5], off
	s_waitcnt vmcnt(0)
	v_mul_f64 v[23:24], v[6:7], -v[8:9]
	s_delay_alu instid0(VALU_DEP_1)
	v_fma_f64 v[23:24], v[14:15], v[4:5], v[23:24]
.LBB258_51:                             ;   Parent Loop BB258_13 Depth=1
                                        ;     Parent Loop BB258_47 Depth=2
                                        ; =>    This Inner Loop Header: Depth=3
	s_waitcnt lgkmcnt(0)
	s_delay_alu instid0(VALU_DEP_1)
	v_add_f64 v[29:30], v[25:26], v[23:24]
	ds_cmpstore_rtn_b64 v[29:30], v28, v[29:30], v[25:26]
	s_waitcnt lgkmcnt(0)
	v_cmp_eq_u64_e32 vcc_lo, v[29:30], v[25:26]
	v_dual_mov_b32 v25, v29 :: v_dual_mov_b32 v26, v30
	s_or_b32 s55, vcc_lo, s55
	s_delay_alu instid0(SALU_CYCLE_1)
	s_and_not1_b32 exec_lo, exec_lo, s55
	s_cbranch_execnz .LBB258_51
; %bb.52:                               ;   in Loop: Header=BB258_47 Depth=2
	s_or_b32 exec_lo, exec_lo, s55
	v_mul_f64 v[6:7], v[14:15], v[6:7]
	s_mov_b32 s55, 0
	s_delay_alu instid0(VALU_DEP_1)
	v_fma_f64 v[4:5], v[8:9], v[4:5], v[6:7]
	ds_load_b64 v[6:7], v28 offset:8
.LBB258_53:                             ;   Parent Loop BB258_13 Depth=1
                                        ;     Parent Loop BB258_47 Depth=2
                                        ; =>    This Inner Loop Header: Depth=3
	s_waitcnt lgkmcnt(0)
	v_add_f64 v[23:24], v[6:7], v[4:5]
	ds_cmpstore_rtn_b64 v[23:24], v28, v[23:24], v[6:7] offset:8
	s_waitcnt lgkmcnt(0)
	v_cmp_eq_u64_e32 vcc_lo, v[23:24], v[6:7]
	v_dual_mov_b32 v6, v23 :: v_dual_mov_b32 v7, v24
	s_or_b32 s55, vcc_lo, s55
	s_delay_alu instid0(SALU_CYCLE_1)
	s_and_not1_b32 exec_lo, exec_lo, s55
	s_cbranch_execnz .LBB258_53
; %bb.54:                               ;   in Loop: Header=BB258_47 Depth=2
	s_or_b32 exec_lo, exec_lo, s55
	s_delay_alu instid0(SALU_CYCLE_1)
	s_or_b32 s10, s10, exec_lo
.LBB258_55:                             ;   in Loop: Header=BB258_47 Depth=2
	s_or_b32 exec_lo, exec_lo, s54
	s_delay_alu instid0(SALU_CYCLE_1)
	s_and_not1_b32 s53, s53, exec_lo
	s_and_b32 s54, s11, exec_lo
	s_mov_b32 s11, -1
	s_or_b32 s53, s53, s54
	s_and_saveexec_b32 s54, s10
	s_cbranch_execz .LBB258_46
; %bb.56:                               ;   in Loop: Header=BB258_47 Depth=2
	v_add_co_u32 v21, vcc_lo, 0x200, v21
	v_add_co_ci_u32_e32 v22, vcc_lo, 0, v22, vcc_lo
	s_and_not1_b32 s53, s53, exec_lo
	s_delay_alu instid0(VALU_DEP_1)
	v_cmp_le_i64_e32 vcc_lo, s[12:13], v[21:22]
	s_or_not1_b32 s11, vcc_lo, exec_lo
	s_branch .LBB258_46
.LBB258_57:                             ;   in Loop: Header=BB258_13 Depth=1
	s_or_b32 exec_lo, exec_lo, s51
	s_and_saveexec_b32 s10, s52
	s_delay_alu instid0(SALU_CYCLE_1)
	s_xor_b32 s10, exec_lo, s10
; %bb.58:                               ;   in Loop: Header=BB258_13 Depth=1
	v_min_i32_e32 v54, v27, v54
; %bb.59:                               ;   in Loop: Header=BB258_13 Depth=1
	s_or_b32 exec_lo, exec_lo, s10
.LBB258_60:                             ;   in Loop: Header=BB258_13 Depth=1
	s_delay_alu instid0(SALU_CYCLE_1)
	s_or_b32 exec_lo, exec_lo, s50
.LBB258_61:                             ;   in Loop: Header=BB258_13 Depth=1
	ds_bpermute_b32 v4, v44, v54
	s_waitcnt lgkmcnt(0)
	v_min_i32_e32 v4, v4, v54
	ds_bpermute_b32 v5, v45, v4
	s_waitcnt lgkmcnt(0)
	v_min_i32_e32 v4, v5, v4
	;; [unrolled: 3-line block ×3, first 2 shown]
	ds_bpermute_b32 v5, v47, v4
	s_and_saveexec_b32 s10, s1
	s_cbranch_execz .LBB258_66
; %bb.62:                               ;   in Loop: Header=BB258_13 Depth=1
	s_waitcnt lgkmcnt(0)
	v_min_i32_e32 v4, v5, v4
	s_mov_b32 s12, exec_lo
	s_brev_b32 s11, -2
.LBB258_63:                             ;   Parent Loop BB258_13 Depth=1
                                        ; =>  This Inner Loop Header: Depth=2
	s_ctz_i32_b32 s13, s12
	s_delay_alu instid0(VALU_DEP_1) | instid1(SALU_CYCLE_1)
	v_readlane_b32 s50, v4, s13
	s_lshl_b32 s13, 1, s13
	s_delay_alu instid0(SALU_CYCLE_1) | instskip(NEXT) | instid1(VALU_DEP_1)
	s_and_not1_b32 s12, s12, s13
	s_min_i32 s11, s11, s50
	s_cmp_lg_u32 s12, 0
	s_cbranch_scc1 .LBB258_63
; %bb.64:                               ;   in Loop: Header=BB258_13 Depth=1
	v_mbcnt_lo_u32_b32 v4, exec_lo, 0
	s_mov_b32 s12, exec_lo
	s_delay_alu instid0(VALU_DEP_1)
	v_cmpx_eq_u32_e32 0, v4
	s_xor_b32 s12, exec_lo, s12
	s_cbranch_execz .LBB258_66
; %bb.65:                               ;   in Loop: Header=BB258_13 Depth=1
	v_mov_b32_e32 v4, s11
	ds_min_i32 v0, v4 offset:34816
.LBB258_66:                             ;   in Loop: Header=BB258_13 Depth=1
	s_or_b32 exec_lo, exec_lo, s10
	s_waitcnt lgkmcnt(0)
	v_dual_mov_b32 v5, v50 :: v_dual_add_nc_u32 v4, s30, v52
	v_mov_b32_e32 v6, v39
	s_mov_b32 s11, 0
	s_waitcnt_vscnt null, 0x0
	s_barrier
	buffer_gl0_inv
	s_branch .LBB258_68
.LBB258_67:                             ;   in Loop: Header=BB258_68 Depth=2
	s_or_b32 exec_lo, exec_lo, s10
	s_waitcnt lgkmcnt(0)
	s_waitcnt_vscnt null, 0x0
	s_barrier
	buffer_gl0_inv
	ds_load_b32 v7, v0 offset:28
	v_add_nc_u32_e32 v21, 0x200, v6
	v_cmp_lt_u32_e32 vcc_lo, 0x5ff, v6
	s_delay_alu instid0(VALU_DEP_2) | instskip(SKIP_4) | instid1(VALU_DEP_1)
	v_dual_mov_b32 v6, v21 :: v_dual_add_nc_u32 v5, 0x2000, v5
	s_or_b32 s11, vcc_lo, s11
	s_waitcnt lgkmcnt(0)
	v_ashrrev_i32_e32 v22, 31, v7
	v_add_co_u32 v19, s10, v19, v7
	v_add_co_ci_u32_e64 v20, s10, v20, v22, s10
	s_and_not1_b32 exec_lo, exec_lo, s11
	s_cbranch_execz .LBB258_12
.LBB258_68:                             ;   Parent Loop BB258_13 Depth=1
                                        ; =>  This Inner Loop Header: Depth=2
	ds_load_u8 v7, v6 offset:32768
	ds_load_2addr_b64 v[21:24], v5 offset1:1
	s_waitcnt lgkmcnt(1)
	v_cmp_ne_u16_e32 vcc_lo, 0, v7
	s_waitcnt lgkmcnt(0)
	ds_store_2addr_b64 v43, v[21:22], v[23:24] offset1:1
	s_waitcnt lgkmcnt(0)
	s_barrier
	buffer_gl0_inv
	s_bcnt1_i32_b32 s10, vcc_lo
	s_delay_alu instid0(SALU_CYCLE_1)
	v_dual_mov_b32 v25, s10 :: v_dual_and_b32 v28, vcc_lo, v18
	s_mov_b32 s10, exec_lo
	ds_store_b32 v48, v25
	s_waitcnt lgkmcnt(0)
	s_barrier
	buffer_gl0_inv
	ds_load_b128 v[21:24], v0
	ds_load_b96 v[25:27], v0 offset:16
	s_waitcnt lgkmcnt(1)
	v_cndmask_b32_e64 v21, v21, 0, s3
	v_cndmask_b32_e64 v22, v22, 0, s4
	;; [unrolled: 1-line block ×4, first 2 shown]
	s_waitcnt lgkmcnt(0)
	v_cndmask_b32_e64 v25, v25, 0, s7
	v_bcnt_u32_b32 v21, v28, v21
	s_delay_alu instid0(VALU_DEP_1) | instskip(SKIP_2) | instid1(VALU_DEP_3)
	v_add3_u32 v21, v21, v22, v23
	v_cndmask_b32_e64 v22, v26, 0, s8
	v_cndmask_b32_e64 v23, v27, 0, s9
	v_add3_u32 v21, v21, v24, v25
	v_and_b32_e32 v24, 1, v7
	s_delay_alu instid0(VALU_DEP_2) | instskip(NEXT) | instid1(VALU_DEP_2)
	v_add3_u32 v7, v21, v22, v23
	v_cmpx_eq_u32_e32 1, v24
	s_cbranch_execz .LBB258_70
; %bb.69:                               ;   in Loop: Header=BB258_68 Depth=2
	s_delay_alu instid0(VALU_DEP_2) | instskip(SKIP_2) | instid1(VALU_DEP_3)
	v_ashrrev_i32_e32 v21, 31, v7
	v_add_co_u32 v25, vcc_lo, v19, v7
	v_add_nc_u32_e32 v29, v4, v6
	v_add_co_ci_u32_e32 v26, vcc_lo, v20, v21, vcc_lo
	ds_load_2addr_b64 v[21:24], v43 offset1:1
	v_lshlrev_b64 v[27:28], 2, v[25:26]
	v_lshlrev_b64 v[25:26], 4, v[25:26]
	s_delay_alu instid0(VALU_DEP_2) | instskip(NEXT) | instid1(VALU_DEP_3)
	v_add_co_u32 v27, vcc_lo, s36, v27
	v_add_co_ci_u32_e32 v28, vcc_lo, s37, v28, vcc_lo
	s_delay_alu instid0(VALU_DEP_3) | instskip(NEXT) | instid1(VALU_DEP_4)
	v_add_co_u32 v25, vcc_lo, s38, v25
	v_add_co_ci_u32_e32 v26, vcc_lo, s39, v26, vcc_lo
	global_store_b32 v[27:28], v29, off
	s_waitcnt lgkmcnt(0)
	global_store_b128 v[25:26], v[21:24], off
.LBB258_70:                             ;   in Loop: Header=BB258_68 Depth=2
	s_or_b32 exec_lo, exec_lo, s10
	s_and_saveexec_b32 s10, s2
	s_cbranch_execz .LBB258_67
; %bb.71:                               ;   in Loop: Header=BB258_68 Depth=2
	ds_store_b32 v0, v7 offset:28
	s_branch .LBB258_67
.LBB258_72:
	s_endpgm
	.section	.rodata,"a",@progbits
	.p2align	6, 0x0
	.amdhsa_kernel _ZN9rocsparseL36csrgemm_fill_block_per_row_multipassILj512ELj16ELj2048ELj64Eli21rocsparse_complex_numIdEEEvT4_PKS3_S5_NS_24const_host_device_scalarIT5_EEPKT3_S5_PKS7_SB_S5_SD_S8_SB_S5_SD_SB_PS3_PS7_PS9_21rocsparse_index_base_SH_SH_SH_bbb
		.amdhsa_group_segment_fixed_size 43016
		.amdhsa_private_segment_fixed_size 24
		.amdhsa_kernarg_size 180
		.amdhsa_user_sgpr_count 15
		.amdhsa_user_sgpr_dispatch_ptr 1
		.amdhsa_user_sgpr_queue_ptr 0
		.amdhsa_user_sgpr_kernarg_segment_ptr 1
		.amdhsa_user_sgpr_dispatch_id 0
		.amdhsa_user_sgpr_private_segment_size 0
		.amdhsa_wavefront_size32 1
		.amdhsa_uses_dynamic_stack 0
		.amdhsa_enable_private_segment 1
		.amdhsa_system_sgpr_workgroup_id_x 1
		.amdhsa_system_sgpr_workgroup_id_y 0
		.amdhsa_system_sgpr_workgroup_id_z 0
		.amdhsa_system_sgpr_workgroup_info 0
		.amdhsa_system_vgpr_workitem_id 2
		.amdhsa_next_free_vgpr 59
		.amdhsa_next_free_sgpr 57
		.amdhsa_reserve_vcc 1
		.amdhsa_float_round_mode_32 0
		.amdhsa_float_round_mode_16_64 0
		.amdhsa_float_denorm_mode_32 3
		.amdhsa_float_denorm_mode_16_64 3
		.amdhsa_dx10_clamp 1
		.amdhsa_ieee_mode 1
		.amdhsa_fp16_overflow 0
		.amdhsa_workgroup_processor_mode 1
		.amdhsa_memory_ordered 1
		.amdhsa_forward_progress 0
		.amdhsa_shared_vgpr_count 0
		.amdhsa_exception_fp_ieee_invalid_op 0
		.amdhsa_exception_fp_denorm_src 0
		.amdhsa_exception_fp_ieee_div_zero 0
		.amdhsa_exception_fp_ieee_overflow 0
		.amdhsa_exception_fp_ieee_underflow 0
		.amdhsa_exception_fp_ieee_inexact 0
		.amdhsa_exception_int_div_zero 0
	.end_amdhsa_kernel
	.section	.text._ZN9rocsparseL36csrgemm_fill_block_per_row_multipassILj512ELj16ELj2048ELj64Eli21rocsparse_complex_numIdEEEvT4_PKS3_S5_NS_24const_host_device_scalarIT5_EEPKT3_S5_PKS7_SB_S5_SD_S8_SB_S5_SD_SB_PS3_PS7_PS9_21rocsparse_index_base_SH_SH_SH_bbb,"axG",@progbits,_ZN9rocsparseL36csrgemm_fill_block_per_row_multipassILj512ELj16ELj2048ELj64Eli21rocsparse_complex_numIdEEEvT4_PKS3_S5_NS_24const_host_device_scalarIT5_EEPKT3_S5_PKS7_SB_S5_SD_S8_SB_S5_SD_SB_PS3_PS7_PS9_21rocsparse_index_base_SH_SH_SH_bbb,comdat
.Lfunc_end258:
	.size	_ZN9rocsparseL36csrgemm_fill_block_per_row_multipassILj512ELj16ELj2048ELj64Eli21rocsparse_complex_numIdEEEvT4_PKS3_S5_NS_24const_host_device_scalarIT5_EEPKT3_S5_PKS7_SB_S5_SD_S8_SB_S5_SD_SB_PS3_PS7_PS9_21rocsparse_index_base_SH_SH_SH_bbb, .Lfunc_end258-_ZN9rocsparseL36csrgemm_fill_block_per_row_multipassILj512ELj16ELj2048ELj64Eli21rocsparse_complex_numIdEEEvT4_PKS3_S5_NS_24const_host_device_scalarIT5_EEPKT3_S5_PKS7_SB_S5_SD_S8_SB_S5_SD_SB_PS3_PS7_PS9_21rocsparse_index_base_SH_SH_SH_bbb
                                        ; -- End function
	.section	.AMDGPU.csdata,"",@progbits
; Kernel info:
; codeLenInByte = 3496
; NumSgprs: 59
; NumVgprs: 59
; ScratchSize: 24
; MemoryBound: 0
; FloatMode: 240
; IeeeMode: 1
; LDSByteSize: 43016 bytes/workgroup (compile time only)
; SGPRBlocks: 7
; VGPRBlocks: 7
; NumSGPRsForWavesPerEU: 59
; NumVGPRsForWavesPerEU: 59
; Occupancy: 12
; WaveLimiterHint : 1
; COMPUTE_PGM_RSRC2:SCRATCH_EN: 1
; COMPUTE_PGM_RSRC2:USER_SGPR: 15
; COMPUTE_PGM_RSRC2:TRAP_HANDLER: 0
; COMPUTE_PGM_RSRC2:TGID_X_EN: 1
; COMPUTE_PGM_RSRC2:TGID_Y_EN: 0
; COMPUTE_PGM_RSRC2:TGID_Z_EN: 0
; COMPUTE_PGM_RSRC2:TIDIG_COMP_CNT: 2
	.text
	.p2alignl 7, 3214868480
	.fill 96, 4, 3214868480
	.type	__hip_cuid_8cade060cbc553d1,@object ; @__hip_cuid_8cade060cbc553d1
	.section	.bss,"aw",@nobits
	.globl	__hip_cuid_8cade060cbc553d1
__hip_cuid_8cade060cbc553d1:
	.byte	0                               ; 0x0
	.size	__hip_cuid_8cade060cbc553d1, 1

	.ident	"AMD clang version 19.0.0git (https://github.com/RadeonOpenCompute/llvm-project roc-6.4.0 25133 c7fe45cf4b819c5991fe208aaa96edf142730f1d)"
	.section	".note.GNU-stack","",@progbits
	.addrsig
	.addrsig_sym _ZN9rocsparse13shared_memoryE
	.addrsig_sym __hip_cuid_8cade060cbc553d1
	.amdgpu_metadata
---
amdhsa.kernels:
  - .args:
      - .offset:         0
        .size:           4
        .value_kind:     by_value
      - .actual_access:  read_only
        .address_space:  global
        .offset:         8
        .size:           8
        .value_kind:     global_buffer
      - .actual_access:  write_only
        .address_space:  global
        .offset:         16
        .size:           8
        .value_kind:     global_buffer
      - .offset:         24
        .size:           4
        .value_kind:     hidden_block_count_x
      - .offset:         28
        .size:           4
        .value_kind:     hidden_block_count_y
      - .offset:         32
        .size:           4
        .value_kind:     hidden_block_count_z
      - .offset:         36
        .size:           2
        .value_kind:     hidden_group_size_x
      - .offset:         38
        .size:           2
        .value_kind:     hidden_group_size_y
      - .offset:         40
        .size:           2
        .value_kind:     hidden_group_size_z
      - .offset:         42
        .size:           2
        .value_kind:     hidden_remainder_x
      - .offset:         44
        .size:           2
        .value_kind:     hidden_remainder_y
      - .offset:         46
        .size:           2
        .value_kind:     hidden_remainder_z
      - .offset:         64
        .size:           8
        .value_kind:     hidden_global_offset_x
      - .offset:         72
        .size:           8
        .value_kind:     hidden_global_offset_y
      - .offset:         80
        .size:           8
        .value_kind:     hidden_global_offset_z
      - .offset:         88
        .size:           2
        .value_kind:     hidden_grid_dims
    .group_segment_fixed_size: 1024
    .kernarg_segment_align: 8
    .kernarg_segment_size: 280
    .language:       OpenCL C
    .language_version:
      - 2
      - 0
    .max_flat_workgroup_size: 256
    .name:           _ZN9rocsparseL25csrgemm_max_row_nnz_part1ILj256EiiEEvT1_PKT0_PS1_
    .private_segment_fixed_size: 0
    .sgpr_count:     18
    .sgpr_spill_count: 0
    .symbol:         _ZN9rocsparseL25csrgemm_max_row_nnz_part1ILj256EiiEEvT1_PKT0_PS1_.kd
    .uniform_work_group_size: 1
    .uses_dynamic_stack: false
    .vgpr_count:     6
    .vgpr_spill_count: 0
    .wavefront_size: 32
    .workgroup_processor_mode: 1
  - .args:
      - .address_space:  global
        .offset:         0
        .size:           8
        .value_kind:     global_buffer
    .group_segment_fixed_size: 1024
    .kernarg_segment_align: 8
    .kernarg_segment_size: 8
    .language:       OpenCL C
    .language_version:
      - 2
      - 0
    .max_flat_workgroup_size: 256
    .name:           _ZN9rocsparseL25csrgemm_max_row_nnz_part2ILj256EiEEvPT0_
    .private_segment_fixed_size: 0
    .sgpr_count:     5
    .sgpr_spill_count: 0
    .symbol:         _ZN9rocsparseL25csrgemm_max_row_nnz_part2ILj256EiEEvPT0_.kd
    .uniform_work_group_size: 1
    .uses_dynamic_stack: false
    .vgpr_count:     4
    .vgpr_spill_count: 0
    .wavefront_size: 32
    .workgroup_processor_mode: 1
  - .args:
      - .offset:         0
        .size:           4
        .value_kind:     by_value
      - .actual_access:  read_only
        .address_space:  global
        .offset:         8
        .size:           8
        .value_kind:     global_buffer
      - .actual_access:  write_only
        .address_space:  global
        .offset:         16
        .size:           8
        .value_kind:     global_buffer
      - .actual_access:  write_only
        .address_space:  global
        .offset:         24
        .size:           8
        .value_kind:     global_buffer
      - .offset:         32
        .size:           4
        .value_kind:     by_value
      - .offset:         40
        .size:           4
        .value_kind:     hidden_block_count_x
      - .offset:         44
        .size:           4
        .value_kind:     hidden_block_count_y
      - .offset:         48
        .size:           4
        .value_kind:     hidden_block_count_z
      - .offset:         52
        .size:           2
        .value_kind:     hidden_group_size_x
      - .offset:         54
        .size:           2
        .value_kind:     hidden_group_size_y
      - .offset:         56
        .size:           2
        .value_kind:     hidden_group_size_z
      - .offset:         58
        .size:           2
        .value_kind:     hidden_remainder_x
      - .offset:         60
        .size:           2
        .value_kind:     hidden_remainder_y
      - .offset:         62
        .size:           2
        .value_kind:     hidden_remainder_z
      - .offset:         80
        .size:           8
        .value_kind:     hidden_global_offset_x
      - .offset:         88
        .size:           8
        .value_kind:     hidden_global_offset_y
      - .offset:         96
        .size:           8
        .value_kind:     hidden_global_offset_z
      - .offset:         104
        .size:           2
        .value_kind:     hidden_grid_dims
    .group_segment_fixed_size: 11264
    .kernarg_segment_align: 8
    .kernarg_segment_size: 296
    .language:       OpenCL C
    .language_version:
      - 2
      - 0
    .max_flat_workgroup_size: 256
    .name:           _ZN9rocsparseL26csrgemm_group_reduce_part2ILj256ELj11EfiiEEvT3_PKT2_PS1_Pij
    .private_segment_fixed_size: 0
    .sgpr_count:     28
    .sgpr_spill_count: 0
    .symbol:         _ZN9rocsparseL26csrgemm_group_reduce_part2ILj256ELj11EfiiEEvT3_PKT2_PS1_Pij.kd
    .uniform_work_group_size: 1
    .uses_dynamic_stack: false
    .vgpr_count:     25
    .vgpr_spill_count: 0
    .wavefront_size: 32
    .workgroup_processor_mode: 1
  - .args:
      - .address_space:  global
        .offset:         0
        .size:           8
        .value_kind:     global_buffer
    .group_segment_fixed_size: 11264
    .kernarg_segment_align: 8
    .kernarg_segment_size: 8
    .language:       OpenCL C
    .language_version:
      - 2
      - 0
    .max_flat_workgroup_size: 256
    .name:           _ZN9rocsparseL26csrgemm_group_reduce_part3ILj256ELj11EiEEvPT1_
    .private_segment_fixed_size: 0
    .sgpr_count:     6
    .sgpr_spill_count: 0
    .symbol:         _ZN9rocsparseL26csrgemm_group_reduce_part3ILj256ELj11EiEEvPT1_.kd
    .uniform_work_group_size: 1
    .uses_dynamic_stack: false
    .vgpr_count:     24
    .vgpr_spill_count: 0
    .wavefront_size: 32
    .workgroup_processor_mode: 1
  - .args:
      - .offset:         0
        .size:           4
        .value_kind:     by_value
      - .offset:         4
        .size:           4
        .value_kind:     by_value
      - .actual_access:  read_only
        .address_space:  global
        .offset:         8
        .size:           8
        .value_kind:     global_buffer
      - .actual_access:  read_only
        .address_space:  global
        .offset:         16
        .size:           8
        .value_kind:     global_buffer
      - .offset:         24
        .size:           8
        .value_kind:     by_value
      - .actual_access:  read_only
        .address_space:  global
        .offset:         32
        .size:           8
        .value_kind:     global_buffer
      - .actual_access:  read_only
        .address_space:  global
        .offset:         40
        .size:           8
        .value_kind:     global_buffer
      - .actual_access:  read_only
        .address_space:  global
        .offset:         48
        .size:           8
        .value_kind:     global_buffer
      - .actual_access:  read_only
        .address_space:  global
        .offset:         56
        .size:           8
        .value_kind:     global_buffer
      - .actual_access:  read_only
        .address_space:  global
        .offset:         64
        .size:           8
        .value_kind:     global_buffer
      - .actual_access:  read_only
        .address_space:  global
        .offset:         72
        .size:           8
        .value_kind:     global_buffer
      - .offset:         80
        .size:           8
        .value_kind:     by_value
      - .actual_access:  read_only
        .address_space:  global
        .offset:         88
        .size:           8
        .value_kind:     global_buffer
      - .actual_access:  read_only
        .address_space:  global
        .offset:         96
        .size:           8
        .value_kind:     global_buffer
      - .actual_access:  read_only
        .address_space:  global
        .offset:         104
        .size:           8
        .value_kind:     global_buffer
      - .actual_access:  read_only
        .address_space:  global
        .offset:         112
        .size:           8
        .value_kind:     global_buffer
      - .actual_access:  write_only
        .address_space:  global
        .offset:         120
        .size:           8
        .value_kind:     global_buffer
      - .actual_access:  write_only
        .address_space:  global
        .offset:         128
        .size:           8
        .value_kind:     global_buffer
      - .offset:         136
        .size:           4
        .value_kind:     by_value
      - .offset:         140
        .size:           4
        .value_kind:     by_value
      - .offset:         144
        .size:           4
        .value_kind:     by_value
      - .offset:         148
        .size:           4
        .value_kind:     by_value
      - .offset:         152
        .size:           1
        .value_kind:     by_value
      - .offset:         153
        .size:           1
        .value_kind:     by_value
      - .offset:         154
        .size:           1
        .value_kind:     by_value
    .group_segment_fixed_size: 4096
    .kernarg_segment_align: 8
    .kernarg_segment_size: 156
    .language:       OpenCL C
    .language_version:
      - 2
      - 0
    .max_flat_workgroup_size: 256
    .name:           _ZN9rocsparseL23csrgemm_fill_wf_per_rowILj256ELj8ELj16ELj137EiifEEvT4_S1_PKS1_S3_NS_24const_host_device_scalarIT5_EEPKT3_S3_PKS5_S9_S3_SB_S6_S9_S3_SB_S9_PS1_PS5_21rocsparse_index_base_SE_SE_SE_bbb
    .private_segment_fixed_size: 0
    .sgpr_count:     46
    .sgpr_spill_count: 0
    .symbol:         _ZN9rocsparseL23csrgemm_fill_wf_per_rowILj256ELj8ELj16ELj137EiifEEvT4_S1_PKS1_S3_NS_24const_host_device_scalarIT5_EEPKT3_S3_PKS5_S9_S3_SB_S6_S9_S3_SB_S9_PS1_PS5_21rocsparse_index_base_SE_SE_SE_bbb.kd
    .uniform_work_group_size: 1
    .uses_dynamic_stack: false
    .vgpr_count:     22
    .vgpr_spill_count: 0
    .wavefront_size: 32
    .workgroup_processor_mode: 1
  - .args:
      - .offset:         0
        .size:           4
        .value_kind:     by_value
      - .offset:         4
        .size:           4
        .value_kind:     by_value
      - .actual_access:  read_only
        .address_space:  global
        .offset:         8
        .size:           8
        .value_kind:     global_buffer
      - .actual_access:  read_only
        .address_space:  global
        .offset:         16
        .size:           8
        .value_kind:     global_buffer
      - .offset:         24
        .size:           8
        .value_kind:     by_value
      - .actual_access:  read_only
        .address_space:  global
        .offset:         32
        .size:           8
        .value_kind:     global_buffer
      - .actual_access:  read_only
        .address_space:  global
        .offset:         40
        .size:           8
        .value_kind:     global_buffer
      - .actual_access:  read_only
        .address_space:  global
        .offset:         48
        .size:           8
        .value_kind:     global_buffer
      - .actual_access:  read_only
        .address_space:  global
        .offset:         56
        .size:           8
        .value_kind:     global_buffer
      - .actual_access:  read_only
        .address_space:  global
        .offset:         64
        .size:           8
        .value_kind:     global_buffer
      - .actual_access:  read_only
        .address_space:  global
        .offset:         72
        .size:           8
        .value_kind:     global_buffer
      - .offset:         80
        .size:           8
        .value_kind:     by_value
      - .actual_access:  read_only
        .address_space:  global
        .offset:         88
        .size:           8
        .value_kind:     global_buffer
      - .actual_access:  read_only
        .address_space:  global
        .offset:         96
        .size:           8
        .value_kind:     global_buffer
      - .actual_access:  read_only
        .address_space:  global
        .offset:         104
        .size:           8
        .value_kind:     global_buffer
      - .actual_access:  read_only
        .address_space:  global
        .offset:         112
        .size:           8
        .value_kind:     global_buffer
      - .actual_access:  write_only
        .address_space:  global
        .offset:         120
        .size:           8
        .value_kind:     global_buffer
      - .actual_access:  write_only
        .address_space:  global
        .offset:         128
        .size:           8
        .value_kind:     global_buffer
      - .offset:         136
        .size:           4
        .value_kind:     by_value
      - .offset:         140
        .size:           4
        .value_kind:     by_value
      - .offset:         144
        .size:           4
        .value_kind:     by_value
      - .offset:         148
        .size:           4
        .value_kind:     by_value
      - .offset:         152
        .size:           1
        .value_kind:     by_value
      - .offset:         153
        .size:           1
        .value_kind:     by_value
      - .offset:         154
        .size:           1
        .value_kind:     by_value
    .group_segment_fixed_size: 4096
    .kernarg_segment_align: 8
    .kernarg_segment_size: 156
    .language:       OpenCL C
    .language_version:
      - 2
      - 0
    .max_flat_workgroup_size: 256
    .name:           _ZN9rocsparseL23csrgemm_fill_wf_per_rowILj256ELj16ELj32ELj137EiifEEvT4_S1_PKS1_S3_NS_24const_host_device_scalarIT5_EEPKT3_S3_PKS5_S9_S3_SB_S6_S9_S3_SB_S9_PS1_PS5_21rocsparse_index_base_SE_SE_SE_bbb
    .private_segment_fixed_size: 0
    .sgpr_count:     46
    .sgpr_spill_count: 0
    .symbol:         _ZN9rocsparseL23csrgemm_fill_wf_per_rowILj256ELj16ELj32ELj137EiifEEvT4_S1_PKS1_S3_NS_24const_host_device_scalarIT5_EEPKT3_S3_PKS5_S9_S3_SB_S6_S9_S3_SB_S9_PS1_PS5_21rocsparse_index_base_SE_SE_SE_bbb.kd
    .uniform_work_group_size: 1
    .uses_dynamic_stack: false
    .vgpr_count:     38
    .vgpr_spill_count: 0
    .wavefront_size: 32
    .workgroup_processor_mode: 1
  - .args:
      - .offset:         0
        .size:           4
        .value_kind:     by_value
      - .actual_access:  read_only
        .address_space:  global
        .offset:         8
        .size:           8
        .value_kind:     global_buffer
      - .actual_access:  read_only
        .address_space:  global
        .offset:         16
        .size:           8
        .value_kind:     global_buffer
      - .offset:         24
        .size:           8
        .value_kind:     by_value
      - .actual_access:  read_only
        .address_space:  global
        .offset:         32
        .size:           8
        .value_kind:     global_buffer
      - .actual_access:  read_only
        .address_space:  global
        .offset:         40
        .size:           8
        .value_kind:     global_buffer
      - .actual_access:  read_only
        .address_space:  global
        .offset:         48
        .size:           8
        .value_kind:     global_buffer
      - .actual_access:  read_only
        .address_space:  global
        .offset:         56
        .size:           8
        .value_kind:     global_buffer
      - .actual_access:  read_only
        .address_space:  global
        .offset:         64
        .size:           8
        .value_kind:     global_buffer
      - .actual_access:  read_only
        .address_space:  global
        .offset:         72
        .size:           8
        .value_kind:     global_buffer
      - .offset:         80
        .size:           8
        .value_kind:     by_value
      - .actual_access:  read_only
        .address_space:  global
        .offset:         88
        .size:           8
        .value_kind:     global_buffer
      - .actual_access:  read_only
        .address_space:  global
        .offset:         96
        .size:           8
        .value_kind:     global_buffer
      - .actual_access:  read_only
        .address_space:  global
        .offset:         104
        .size:           8
        .value_kind:     global_buffer
      - .actual_access:  read_only
        .address_space:  global
        .offset:         112
        .size:           8
        .value_kind:     global_buffer
      - .actual_access:  write_only
        .address_space:  global
        .offset:         120
        .size:           8
        .value_kind:     global_buffer
      - .actual_access:  write_only
        .address_space:  global
        .offset:         128
        .size:           8
        .value_kind:     global_buffer
      - .offset:         136
        .size:           4
        .value_kind:     by_value
      - .offset:         140
        .size:           4
        .value_kind:     by_value
      - .offset:         144
        .size:           4
        .value_kind:     by_value
      - .offset:         148
        .size:           4
        .value_kind:     by_value
      - .offset:         152
        .size:           1
        .value_kind:     by_value
      - .offset:         153
        .size:           1
        .value_kind:     by_value
      - .offset:         154
        .size:           1
        .value_kind:     by_value
    .group_segment_fixed_size: 0
    .kernarg_segment_align: 8
    .kernarg_segment_size: 156
    .language:       OpenCL C
    .language_version:
      - 2
      - 0
    .max_flat_workgroup_size: 128
    .name:           _ZN9rocsparseL26csrgemm_fill_block_per_rowILj128ELj16ELj256ELj137ELj32EiifEEvT5_PKS1_S3_NS_24const_host_device_scalarIT6_EEPKT4_S3_PKS5_S9_S3_SB_S6_S9_S3_SB_S9_PS1_PS5_21rocsparse_index_base_SE_SE_SE_bbb
    .private_segment_fixed_size: 0
    .sgpr_count:     46
    .sgpr_spill_count: 0
    .symbol:         _ZN9rocsparseL26csrgemm_fill_block_per_rowILj128ELj16ELj256ELj137ELj32EiifEEvT5_PKS1_S3_NS_24const_host_device_scalarIT6_EEPKT4_S3_PKS5_S9_S3_SB_S6_S9_S3_SB_S9_PS1_PS5_21rocsparse_index_base_SE_SE_SE_bbb.kd
    .uniform_work_group_size: 1
    .uses_dynamic_stack: false
    .vgpr_count:     15
    .vgpr_spill_count: 0
    .wavefront_size: 32
    .workgroup_processor_mode: 1
  - .args:
      - .offset:         0
        .size:           4
        .value_kind:     by_value
      - .actual_access:  read_only
        .address_space:  global
        .offset:         8
        .size:           8
        .value_kind:     global_buffer
      - .actual_access:  read_only
        .address_space:  global
        .offset:         16
        .size:           8
        .value_kind:     global_buffer
      - .offset:         24
        .size:           8
        .value_kind:     by_value
      - .actual_access:  read_only
        .address_space:  global
        .offset:         32
        .size:           8
        .value_kind:     global_buffer
      - .actual_access:  read_only
        .address_space:  global
        .offset:         40
        .size:           8
        .value_kind:     global_buffer
      - .actual_access:  read_only
        .address_space:  global
        .offset:         48
        .size:           8
        .value_kind:     global_buffer
      - .actual_access:  read_only
        .address_space:  global
        .offset:         56
        .size:           8
        .value_kind:     global_buffer
      - .actual_access:  read_only
        .address_space:  global
        .offset:         64
        .size:           8
        .value_kind:     global_buffer
      - .actual_access:  read_only
        .address_space:  global
        .offset:         72
        .size:           8
        .value_kind:     global_buffer
      - .offset:         80
        .size:           8
        .value_kind:     by_value
      - .actual_access:  read_only
        .address_space:  global
        .offset:         88
        .size:           8
        .value_kind:     global_buffer
      - .actual_access:  read_only
        .address_space:  global
        .offset:         96
        .size:           8
        .value_kind:     global_buffer
      - .actual_access:  read_only
        .address_space:  global
        .offset:         104
        .size:           8
        .value_kind:     global_buffer
      - .actual_access:  read_only
        .address_space:  global
        .offset:         112
        .size:           8
        .value_kind:     global_buffer
      - .actual_access:  write_only
        .address_space:  global
        .offset:         120
        .size:           8
        .value_kind:     global_buffer
      - .actual_access:  write_only
        .address_space:  global
        .offset:         128
        .size:           8
        .value_kind:     global_buffer
      - .offset:         136
        .size:           4
        .value_kind:     by_value
      - .offset:         140
        .size:           4
        .value_kind:     by_value
      - .offset:         144
        .size:           4
        .value_kind:     by_value
      - .offset:         148
        .size:           4
        .value_kind:     by_value
      - .offset:         152
        .size:           1
        .value_kind:     by_value
      - .offset:         153
        .size:           1
        .value_kind:     by_value
      - .offset:         154
        .size:           1
        .value_kind:     by_value
    .group_segment_fixed_size: 0
    .kernarg_segment_align: 8
    .kernarg_segment_size: 156
    .language:       OpenCL C
    .language_version:
      - 2
      - 0
    .max_flat_workgroup_size: 128
    .name:           _ZN9rocsparseL26csrgemm_fill_block_per_rowILj128ELj16ELj256ELj137ELj64EiifEEvT5_PKS1_S3_NS_24const_host_device_scalarIT6_EEPKT4_S3_PKS5_S9_S3_SB_S6_S9_S3_SB_S9_PS1_PS5_21rocsparse_index_base_SE_SE_SE_bbb
    .private_segment_fixed_size: 0
    .sgpr_count:     46
    .sgpr_spill_count: 0
    .symbol:         _ZN9rocsparseL26csrgemm_fill_block_per_rowILj128ELj16ELj256ELj137ELj64EiifEEvT5_PKS1_S3_NS_24const_host_device_scalarIT6_EEPKT4_S3_PKS5_S9_S3_SB_S6_S9_S3_SB_S9_PS1_PS5_21rocsparse_index_base_SE_SE_SE_bbb.kd
    .uniform_work_group_size: 1
    .uses_dynamic_stack: false
    .vgpr_count:     16
    .vgpr_spill_count: 0
    .wavefront_size: 32
    .workgroup_processor_mode: 1
  - .args:
      - .offset:         0
        .size:           4
        .value_kind:     by_value
      - .actual_access:  read_only
        .address_space:  global
        .offset:         8
        .size:           8
        .value_kind:     global_buffer
      - .actual_access:  read_only
        .address_space:  global
        .offset:         16
        .size:           8
        .value_kind:     global_buffer
      - .offset:         24
        .size:           8
        .value_kind:     by_value
      - .actual_access:  read_only
        .address_space:  global
        .offset:         32
        .size:           8
        .value_kind:     global_buffer
      - .actual_access:  read_only
        .address_space:  global
        .offset:         40
        .size:           8
        .value_kind:     global_buffer
      - .actual_access:  read_only
        .address_space:  global
        .offset:         48
        .size:           8
        .value_kind:     global_buffer
      - .actual_access:  read_only
        .address_space:  global
        .offset:         56
        .size:           8
        .value_kind:     global_buffer
      - .actual_access:  read_only
        .address_space:  global
        .offset:         64
        .size:           8
        .value_kind:     global_buffer
      - .actual_access:  read_only
        .address_space:  global
        .offset:         72
        .size:           8
        .value_kind:     global_buffer
      - .offset:         80
        .size:           8
        .value_kind:     by_value
      - .actual_access:  read_only
        .address_space:  global
        .offset:         88
        .size:           8
        .value_kind:     global_buffer
      - .actual_access:  read_only
        .address_space:  global
        .offset:         96
        .size:           8
        .value_kind:     global_buffer
      - .actual_access:  read_only
        .address_space:  global
        .offset:         104
        .size:           8
        .value_kind:     global_buffer
      - .actual_access:  read_only
        .address_space:  global
        .offset:         112
        .size:           8
        .value_kind:     global_buffer
      - .actual_access:  write_only
        .address_space:  global
        .offset:         120
        .size:           8
        .value_kind:     global_buffer
      - .actual_access:  write_only
        .address_space:  global
        .offset:         128
        .size:           8
        .value_kind:     global_buffer
      - .offset:         136
        .size:           4
        .value_kind:     by_value
      - .offset:         140
        .size:           4
        .value_kind:     by_value
      - .offset:         144
        .size:           4
        .value_kind:     by_value
      - .offset:         148
        .size:           4
        .value_kind:     by_value
      - .offset:         152
        .size:           1
        .value_kind:     by_value
      - .offset:         153
        .size:           1
        .value_kind:     by_value
      - .offset:         154
        .size:           1
        .value_kind:     by_value
    .group_segment_fixed_size: 0
    .kernarg_segment_align: 8
    .kernarg_segment_size: 156
    .language:       OpenCL C
    .language_version:
      - 2
      - 0
    .max_flat_workgroup_size: 256
    .name:           _ZN9rocsparseL26csrgemm_fill_block_per_rowILj256ELj32ELj512ELj137ELj32EiifEEvT5_PKS1_S3_NS_24const_host_device_scalarIT6_EEPKT4_S3_PKS5_S9_S3_SB_S6_S9_S3_SB_S9_PS1_PS5_21rocsparse_index_base_SE_SE_SE_bbb
    .private_segment_fixed_size: 0
    .sgpr_count:     46
    .sgpr_spill_count: 0
    .symbol:         _ZN9rocsparseL26csrgemm_fill_block_per_rowILj256ELj32ELj512ELj137ELj32EiifEEvT5_PKS1_S3_NS_24const_host_device_scalarIT6_EEPKT4_S3_PKS5_S9_S3_SB_S6_S9_S3_SB_S9_PS1_PS5_21rocsparse_index_base_SE_SE_SE_bbb.kd
    .uniform_work_group_size: 1
    .uses_dynamic_stack: false
    .vgpr_count:     16
    .vgpr_spill_count: 0
    .wavefront_size: 32
    .workgroup_processor_mode: 1
  - .args:
      - .offset:         0
        .size:           4
        .value_kind:     by_value
      - .actual_access:  read_only
        .address_space:  global
        .offset:         8
        .size:           8
        .value_kind:     global_buffer
      - .actual_access:  read_only
        .address_space:  global
        .offset:         16
        .size:           8
        .value_kind:     global_buffer
      - .offset:         24
        .size:           8
        .value_kind:     by_value
      - .actual_access:  read_only
        .address_space:  global
        .offset:         32
        .size:           8
        .value_kind:     global_buffer
      - .actual_access:  read_only
        .address_space:  global
        .offset:         40
        .size:           8
        .value_kind:     global_buffer
      - .actual_access:  read_only
        .address_space:  global
        .offset:         48
        .size:           8
        .value_kind:     global_buffer
      - .actual_access:  read_only
        .address_space:  global
        .offset:         56
        .size:           8
        .value_kind:     global_buffer
      - .actual_access:  read_only
        .address_space:  global
        .offset:         64
        .size:           8
        .value_kind:     global_buffer
      - .actual_access:  read_only
        .address_space:  global
        .offset:         72
        .size:           8
        .value_kind:     global_buffer
      - .offset:         80
        .size:           8
        .value_kind:     by_value
      - .actual_access:  read_only
        .address_space:  global
        .offset:         88
        .size:           8
        .value_kind:     global_buffer
      - .actual_access:  read_only
        .address_space:  global
        .offset:         96
        .size:           8
        .value_kind:     global_buffer
      - .actual_access:  read_only
        .address_space:  global
        .offset:         104
        .size:           8
        .value_kind:     global_buffer
      - .actual_access:  read_only
        .address_space:  global
        .offset:         112
        .size:           8
        .value_kind:     global_buffer
      - .actual_access:  write_only
        .address_space:  global
        .offset:         120
        .size:           8
        .value_kind:     global_buffer
      - .actual_access:  write_only
        .address_space:  global
        .offset:         128
        .size:           8
        .value_kind:     global_buffer
      - .offset:         136
        .size:           4
        .value_kind:     by_value
      - .offset:         140
        .size:           4
        .value_kind:     by_value
      - .offset:         144
        .size:           4
        .value_kind:     by_value
      - .offset:         148
        .size:           4
        .value_kind:     by_value
      - .offset:         152
        .size:           1
        .value_kind:     by_value
      - .offset:         153
        .size:           1
        .value_kind:     by_value
      - .offset:         154
        .size:           1
        .value_kind:     by_value
    .group_segment_fixed_size: 0
    .kernarg_segment_align: 8
    .kernarg_segment_size: 156
    .language:       OpenCL C
    .language_version:
      - 2
      - 0
    .max_flat_workgroup_size: 256
    .name:           _ZN9rocsparseL26csrgemm_fill_block_per_rowILj256ELj32ELj512ELj137ELj64EiifEEvT5_PKS1_S3_NS_24const_host_device_scalarIT6_EEPKT4_S3_PKS5_S9_S3_SB_S6_S9_S3_SB_S9_PS1_PS5_21rocsparse_index_base_SE_SE_SE_bbb
    .private_segment_fixed_size: 0
    .sgpr_count:     46
    .sgpr_spill_count: 0
    .symbol:         _ZN9rocsparseL26csrgemm_fill_block_per_rowILj256ELj32ELj512ELj137ELj64EiifEEvT5_PKS1_S3_NS_24const_host_device_scalarIT6_EEPKT4_S3_PKS5_S9_S3_SB_S6_S9_S3_SB_S9_PS1_PS5_21rocsparse_index_base_SE_SE_SE_bbb.kd
    .uniform_work_group_size: 1
    .uses_dynamic_stack: false
    .vgpr_count:     15
    .vgpr_spill_count: 0
    .wavefront_size: 32
    .workgroup_processor_mode: 1
  - .args:
      - .offset:         0
        .size:           4
        .value_kind:     by_value
      - .actual_access:  read_only
        .address_space:  global
        .offset:         8
        .size:           8
        .value_kind:     global_buffer
      - .actual_access:  read_only
        .address_space:  global
        .offset:         16
        .size:           8
        .value_kind:     global_buffer
      - .offset:         24
        .size:           8
        .value_kind:     by_value
      - .actual_access:  read_only
        .address_space:  global
        .offset:         32
        .size:           8
        .value_kind:     global_buffer
      - .actual_access:  read_only
        .address_space:  global
        .offset:         40
        .size:           8
        .value_kind:     global_buffer
      - .actual_access:  read_only
        .address_space:  global
        .offset:         48
        .size:           8
        .value_kind:     global_buffer
      - .actual_access:  read_only
        .address_space:  global
        .offset:         56
        .size:           8
        .value_kind:     global_buffer
      - .actual_access:  read_only
        .address_space:  global
        .offset:         64
        .size:           8
        .value_kind:     global_buffer
      - .actual_access:  read_only
        .address_space:  global
        .offset:         72
        .size:           8
        .value_kind:     global_buffer
      - .offset:         80
        .size:           8
        .value_kind:     by_value
      - .actual_access:  read_only
        .address_space:  global
        .offset:         88
        .size:           8
        .value_kind:     global_buffer
      - .actual_access:  read_only
        .address_space:  global
        .offset:         96
        .size:           8
        .value_kind:     global_buffer
      - .actual_access:  read_only
        .address_space:  global
        .offset:         104
        .size:           8
        .value_kind:     global_buffer
      - .actual_access:  read_only
        .address_space:  global
        .offset:         112
        .size:           8
        .value_kind:     global_buffer
      - .actual_access:  write_only
        .address_space:  global
        .offset:         120
        .size:           8
        .value_kind:     global_buffer
      - .actual_access:  write_only
        .address_space:  global
        .offset:         128
        .size:           8
        .value_kind:     global_buffer
      - .offset:         136
        .size:           4
        .value_kind:     by_value
      - .offset:         140
        .size:           4
        .value_kind:     by_value
      - .offset:         144
        .size:           4
        .value_kind:     by_value
      - .offset:         148
        .size:           4
        .value_kind:     by_value
      - .offset:         152
        .size:           1
        .value_kind:     by_value
      - .offset:         153
        .size:           1
        .value_kind:     by_value
      - .offset:         154
        .size:           1
        .value_kind:     by_value
    .group_segment_fixed_size: 0
    .kernarg_segment_align: 8
    .kernarg_segment_size: 156
    .language:       OpenCL C
    .language_version:
      - 2
      - 0
    .max_flat_workgroup_size: 512
    .name:           _ZN9rocsparseL26csrgemm_fill_block_per_rowILj512ELj32ELj1024ELj137ELj32EiifEEvT5_PKS1_S3_NS_24const_host_device_scalarIT6_EEPKT4_S3_PKS5_S9_S3_SB_S6_S9_S3_SB_S9_PS1_PS5_21rocsparse_index_base_SE_SE_SE_bbb
    .private_segment_fixed_size: 0
    .sgpr_count:     46
    .sgpr_spill_count: 0
    .symbol:         _ZN9rocsparseL26csrgemm_fill_block_per_rowILj512ELj32ELj1024ELj137ELj32EiifEEvT5_PKS1_S3_NS_24const_host_device_scalarIT6_EEPKT4_S3_PKS5_S9_S3_SB_S6_S9_S3_SB_S9_PS1_PS5_21rocsparse_index_base_SE_SE_SE_bbb.kd
    .uniform_work_group_size: 1
    .uses_dynamic_stack: false
    .vgpr_count:     16
    .vgpr_spill_count: 0
    .wavefront_size: 32
    .workgroup_processor_mode: 1
  - .args:
      - .offset:         0
        .size:           4
        .value_kind:     by_value
      - .actual_access:  read_only
        .address_space:  global
        .offset:         8
        .size:           8
        .value_kind:     global_buffer
      - .actual_access:  read_only
        .address_space:  global
        .offset:         16
        .size:           8
        .value_kind:     global_buffer
      - .offset:         24
        .size:           8
        .value_kind:     by_value
      - .actual_access:  read_only
        .address_space:  global
        .offset:         32
        .size:           8
        .value_kind:     global_buffer
      - .actual_access:  read_only
        .address_space:  global
        .offset:         40
        .size:           8
        .value_kind:     global_buffer
      - .actual_access:  read_only
        .address_space:  global
        .offset:         48
        .size:           8
        .value_kind:     global_buffer
      - .actual_access:  read_only
        .address_space:  global
        .offset:         56
        .size:           8
        .value_kind:     global_buffer
      - .actual_access:  read_only
        .address_space:  global
        .offset:         64
        .size:           8
        .value_kind:     global_buffer
      - .actual_access:  read_only
        .address_space:  global
        .offset:         72
        .size:           8
        .value_kind:     global_buffer
      - .offset:         80
        .size:           8
        .value_kind:     by_value
      - .actual_access:  read_only
        .address_space:  global
        .offset:         88
        .size:           8
        .value_kind:     global_buffer
      - .actual_access:  read_only
        .address_space:  global
        .offset:         96
        .size:           8
        .value_kind:     global_buffer
      - .actual_access:  read_only
        .address_space:  global
        .offset:         104
        .size:           8
        .value_kind:     global_buffer
      - .actual_access:  read_only
        .address_space:  global
        .offset:         112
        .size:           8
        .value_kind:     global_buffer
      - .actual_access:  write_only
        .address_space:  global
        .offset:         120
        .size:           8
        .value_kind:     global_buffer
      - .actual_access:  write_only
        .address_space:  global
        .offset:         128
        .size:           8
        .value_kind:     global_buffer
      - .offset:         136
        .size:           4
        .value_kind:     by_value
      - .offset:         140
        .size:           4
        .value_kind:     by_value
      - .offset:         144
        .size:           4
        .value_kind:     by_value
      - .offset:         148
        .size:           4
        .value_kind:     by_value
      - .offset:         152
        .size:           1
        .value_kind:     by_value
      - .offset:         153
        .size:           1
        .value_kind:     by_value
      - .offset:         154
        .size:           1
        .value_kind:     by_value
    .group_segment_fixed_size: 0
    .kernarg_segment_align: 8
    .kernarg_segment_size: 156
    .language:       OpenCL C
    .language_version:
      - 2
      - 0
    .max_flat_workgroup_size: 512
    .name:           _ZN9rocsparseL26csrgemm_fill_block_per_rowILj512ELj32ELj1024ELj137ELj64EiifEEvT5_PKS1_S3_NS_24const_host_device_scalarIT6_EEPKT4_S3_PKS5_S9_S3_SB_S6_S9_S3_SB_S9_PS1_PS5_21rocsparse_index_base_SE_SE_SE_bbb
    .private_segment_fixed_size: 0
    .sgpr_count:     46
    .sgpr_spill_count: 0
    .symbol:         _ZN9rocsparseL26csrgemm_fill_block_per_rowILj512ELj32ELj1024ELj137ELj64EiifEEvT5_PKS1_S3_NS_24const_host_device_scalarIT6_EEPKT4_S3_PKS5_S9_S3_SB_S6_S9_S3_SB_S9_PS1_PS5_21rocsparse_index_base_SE_SE_SE_bbb.kd
    .uniform_work_group_size: 1
    .uses_dynamic_stack: false
    .vgpr_count:     15
    .vgpr_spill_count: 0
    .wavefront_size: 32
    .workgroup_processor_mode: 1
  - .args:
      - .offset:         0
        .size:           4
        .value_kind:     by_value
      - .actual_access:  read_only
        .address_space:  global
        .offset:         8
        .size:           8
        .value_kind:     global_buffer
      - .actual_access:  read_only
        .address_space:  global
        .offset:         16
        .size:           8
        .value_kind:     global_buffer
      - .offset:         24
        .size:           8
        .value_kind:     by_value
      - .actual_access:  read_only
        .address_space:  global
        .offset:         32
        .size:           8
        .value_kind:     global_buffer
      - .actual_access:  read_only
        .address_space:  global
        .offset:         40
        .size:           8
        .value_kind:     global_buffer
      - .actual_access:  read_only
        .address_space:  global
        .offset:         48
        .size:           8
        .value_kind:     global_buffer
      - .actual_access:  read_only
        .address_space:  global
        .offset:         56
        .size:           8
        .value_kind:     global_buffer
      - .actual_access:  read_only
        .address_space:  global
        .offset:         64
        .size:           8
        .value_kind:     global_buffer
      - .actual_access:  read_only
        .address_space:  global
        .offset:         72
        .size:           8
        .value_kind:     global_buffer
      - .offset:         80
        .size:           8
        .value_kind:     by_value
      - .actual_access:  read_only
        .address_space:  global
        .offset:         88
        .size:           8
        .value_kind:     global_buffer
      - .actual_access:  read_only
        .address_space:  global
        .offset:         96
        .size:           8
        .value_kind:     global_buffer
      - .actual_access:  read_only
        .address_space:  global
        .offset:         104
        .size:           8
        .value_kind:     global_buffer
      - .actual_access:  read_only
        .address_space:  global
        .offset:         112
        .size:           8
        .value_kind:     global_buffer
      - .actual_access:  write_only
        .address_space:  global
        .offset:         120
        .size:           8
        .value_kind:     global_buffer
      - .actual_access:  write_only
        .address_space:  global
        .offset:         128
        .size:           8
        .value_kind:     global_buffer
      - .offset:         136
        .size:           4
        .value_kind:     by_value
      - .offset:         140
        .size:           4
        .value_kind:     by_value
      - .offset:         144
        .size:           4
        .value_kind:     by_value
      - .offset:         148
        .size:           4
        .value_kind:     by_value
      - .offset:         152
        .size:           1
        .value_kind:     by_value
      - .offset:         153
        .size:           1
        .value_kind:     by_value
      - .offset:         154
        .size:           1
        .value_kind:     by_value
    .group_segment_fixed_size: 0
    .kernarg_segment_align: 8
    .kernarg_segment_size: 156
    .language:       OpenCL C
    .language_version:
      - 2
      - 0
    .max_flat_workgroup_size: 1024
    .name:           _ZN9rocsparseL26csrgemm_fill_block_per_rowILj1024ELj32ELj2048ELj137ELj32EiifEEvT5_PKS1_S3_NS_24const_host_device_scalarIT6_EEPKT4_S3_PKS5_S9_S3_SB_S6_S9_S3_SB_S9_PS1_PS5_21rocsparse_index_base_SE_SE_SE_bbb
    .private_segment_fixed_size: 0
    .sgpr_count:     54
    .sgpr_spill_count: 0
    .symbol:         _ZN9rocsparseL26csrgemm_fill_block_per_rowILj1024ELj32ELj2048ELj137ELj32EiifEEvT5_PKS1_S3_NS_24const_host_device_scalarIT6_EEPKT4_S3_PKS5_S9_S3_SB_S6_S9_S3_SB_S9_PS1_PS5_21rocsparse_index_base_SE_SE_SE_bbb.kd
    .uniform_work_group_size: 1
    .uses_dynamic_stack: false
    .vgpr_count:     16
    .vgpr_spill_count: 0
    .wavefront_size: 32
    .workgroup_processor_mode: 1
  - .args:
      - .offset:         0
        .size:           4
        .value_kind:     by_value
      - .actual_access:  read_only
        .address_space:  global
        .offset:         8
        .size:           8
        .value_kind:     global_buffer
      - .actual_access:  read_only
        .address_space:  global
        .offset:         16
        .size:           8
        .value_kind:     global_buffer
      - .offset:         24
        .size:           8
        .value_kind:     by_value
      - .actual_access:  read_only
        .address_space:  global
        .offset:         32
        .size:           8
        .value_kind:     global_buffer
      - .actual_access:  read_only
        .address_space:  global
        .offset:         40
        .size:           8
        .value_kind:     global_buffer
      - .actual_access:  read_only
        .address_space:  global
        .offset:         48
        .size:           8
        .value_kind:     global_buffer
      - .actual_access:  read_only
        .address_space:  global
        .offset:         56
        .size:           8
        .value_kind:     global_buffer
      - .actual_access:  read_only
        .address_space:  global
        .offset:         64
        .size:           8
        .value_kind:     global_buffer
      - .actual_access:  read_only
        .address_space:  global
        .offset:         72
        .size:           8
        .value_kind:     global_buffer
      - .offset:         80
        .size:           8
        .value_kind:     by_value
      - .actual_access:  read_only
        .address_space:  global
        .offset:         88
        .size:           8
        .value_kind:     global_buffer
      - .actual_access:  read_only
        .address_space:  global
        .offset:         96
        .size:           8
        .value_kind:     global_buffer
      - .actual_access:  read_only
        .address_space:  global
        .offset:         104
        .size:           8
        .value_kind:     global_buffer
      - .actual_access:  read_only
        .address_space:  global
        .offset:         112
        .size:           8
        .value_kind:     global_buffer
      - .actual_access:  write_only
        .address_space:  global
        .offset:         120
        .size:           8
        .value_kind:     global_buffer
      - .actual_access:  write_only
        .address_space:  global
        .offset:         128
        .size:           8
        .value_kind:     global_buffer
      - .offset:         136
        .size:           4
        .value_kind:     by_value
      - .offset:         140
        .size:           4
        .value_kind:     by_value
      - .offset:         144
        .size:           4
        .value_kind:     by_value
      - .offset:         148
        .size:           4
        .value_kind:     by_value
      - .offset:         152
        .size:           1
        .value_kind:     by_value
      - .offset:         153
        .size:           1
        .value_kind:     by_value
      - .offset:         154
        .size:           1
        .value_kind:     by_value
    .group_segment_fixed_size: 0
    .kernarg_segment_align: 8
    .kernarg_segment_size: 156
    .language:       OpenCL C
    .language_version:
      - 2
      - 0
    .max_flat_workgroup_size: 1024
    .name:           _ZN9rocsparseL26csrgemm_fill_block_per_rowILj1024ELj32ELj2048ELj137ELj64EiifEEvT5_PKS1_S3_NS_24const_host_device_scalarIT6_EEPKT4_S3_PKS5_S9_S3_SB_S6_S9_S3_SB_S9_PS1_PS5_21rocsparse_index_base_SE_SE_SE_bbb
    .private_segment_fixed_size: 0
    .sgpr_count:     46
    .sgpr_spill_count: 0
    .symbol:         _ZN9rocsparseL26csrgemm_fill_block_per_rowILj1024ELj32ELj2048ELj137ELj64EiifEEvT5_PKS1_S3_NS_24const_host_device_scalarIT6_EEPKT4_S3_PKS5_S9_S3_SB_S6_S9_S3_SB_S9_PS1_PS5_21rocsparse_index_base_SE_SE_SE_bbb.kd
    .uniform_work_group_size: 1
    .uses_dynamic_stack: false
    .vgpr_count:     15
    .vgpr_spill_count: 0
    .wavefront_size: 32
    .workgroup_processor_mode: 1
  - .args:
      - .offset:         0
        .size:           4
        .value_kind:     by_value
      - .actual_access:  read_only
        .address_space:  global
        .offset:         8
        .size:           8
        .value_kind:     global_buffer
      - .actual_access:  read_only
        .address_space:  global
        .offset:         16
        .size:           8
        .value_kind:     global_buffer
      - .offset:         24
        .size:           8
        .value_kind:     by_value
      - .actual_access:  read_only
        .address_space:  global
        .offset:         32
        .size:           8
        .value_kind:     global_buffer
      - .actual_access:  read_only
        .address_space:  global
        .offset:         40
        .size:           8
        .value_kind:     global_buffer
      - .actual_access:  read_only
        .address_space:  global
        .offset:         48
        .size:           8
        .value_kind:     global_buffer
      - .actual_access:  read_only
        .address_space:  global
        .offset:         56
        .size:           8
        .value_kind:     global_buffer
      - .actual_access:  read_only
        .address_space:  global
        .offset:         64
        .size:           8
        .value_kind:     global_buffer
      - .actual_access:  read_only
        .address_space:  global
        .offset:         72
        .size:           8
        .value_kind:     global_buffer
      - .offset:         80
        .size:           8
        .value_kind:     by_value
      - .actual_access:  read_only
        .address_space:  global
        .offset:         88
        .size:           8
        .value_kind:     global_buffer
      - .actual_access:  read_only
        .address_space:  global
        .offset:         96
        .size:           8
        .value_kind:     global_buffer
      - .actual_access:  read_only
        .address_space:  global
        .offset:         104
        .size:           8
        .value_kind:     global_buffer
      - .actual_access:  read_only
        .address_space:  global
        .offset:         112
        .size:           8
        .value_kind:     global_buffer
      - .actual_access:  write_only
        .address_space:  global
        .offset:         120
        .size:           8
        .value_kind:     global_buffer
      - .actual_access:  write_only
        .address_space:  global
        .offset:         128
        .size:           8
        .value_kind:     global_buffer
      - .offset:         136
        .size:           4
        .value_kind:     by_value
      - .offset:         140
        .size:           4
        .value_kind:     by_value
      - .offset:         144
        .size:           4
        .value_kind:     by_value
      - .offset:         148
        .size:           4
        .value_kind:     by_value
      - .offset:         152
        .size:           1
        .value_kind:     by_value
      - .offset:         153
        .size:           1
        .value_kind:     by_value
      - .offset:         154
        .size:           1
        .value_kind:     by_value
    .group_segment_fixed_size: 0
    .kernarg_segment_align: 8
    .kernarg_segment_size: 156
    .language:       OpenCL C
    .language_version:
      - 2
      - 0
    .max_flat_workgroup_size: 1024
    .name:           _ZN9rocsparseL26csrgemm_fill_block_per_rowILj1024ELj64ELj4096ELj137ELj32EiifEEvT5_PKS1_S3_NS_24const_host_device_scalarIT6_EEPKT4_S3_PKS5_S9_S3_SB_S6_S9_S3_SB_S9_PS1_PS5_21rocsparse_index_base_SE_SE_SE_bbb
    .private_segment_fixed_size: 0
    .sgpr_count:     54
    .sgpr_spill_count: 0
    .symbol:         _ZN9rocsparseL26csrgemm_fill_block_per_rowILj1024ELj64ELj4096ELj137ELj32EiifEEvT5_PKS1_S3_NS_24const_host_device_scalarIT6_EEPKT4_S3_PKS5_S9_S3_SB_S6_S9_S3_SB_S9_PS1_PS5_21rocsparse_index_base_SE_SE_SE_bbb.kd
    .uniform_work_group_size: 1
    .uses_dynamic_stack: false
    .vgpr_count:     15
    .vgpr_spill_count: 0
    .wavefront_size: 32
    .workgroup_processor_mode: 1
  - .args:
      - .offset:         0
        .size:           4
        .value_kind:     by_value
      - .actual_access:  read_only
        .address_space:  global
        .offset:         8
        .size:           8
        .value_kind:     global_buffer
      - .actual_access:  read_only
        .address_space:  global
        .offset:         16
        .size:           8
        .value_kind:     global_buffer
      - .offset:         24
        .size:           8
        .value_kind:     by_value
      - .actual_access:  read_only
        .address_space:  global
        .offset:         32
        .size:           8
        .value_kind:     global_buffer
      - .actual_access:  read_only
        .address_space:  global
        .offset:         40
        .size:           8
        .value_kind:     global_buffer
      - .actual_access:  read_only
        .address_space:  global
        .offset:         48
        .size:           8
        .value_kind:     global_buffer
      - .actual_access:  read_only
        .address_space:  global
        .offset:         56
        .size:           8
        .value_kind:     global_buffer
      - .actual_access:  read_only
        .address_space:  global
        .offset:         64
        .size:           8
        .value_kind:     global_buffer
      - .actual_access:  read_only
        .address_space:  global
        .offset:         72
        .size:           8
        .value_kind:     global_buffer
      - .offset:         80
        .size:           8
        .value_kind:     by_value
      - .actual_access:  read_only
        .address_space:  global
        .offset:         88
        .size:           8
        .value_kind:     global_buffer
      - .actual_access:  read_only
        .address_space:  global
        .offset:         96
        .size:           8
        .value_kind:     global_buffer
      - .actual_access:  read_only
        .address_space:  global
        .offset:         104
        .size:           8
        .value_kind:     global_buffer
      - .actual_access:  read_only
        .address_space:  global
        .offset:         112
        .size:           8
        .value_kind:     global_buffer
      - .actual_access:  write_only
        .address_space:  global
        .offset:         120
        .size:           8
        .value_kind:     global_buffer
      - .actual_access:  write_only
        .address_space:  global
        .offset:         128
        .size:           8
        .value_kind:     global_buffer
      - .offset:         136
        .size:           4
        .value_kind:     by_value
      - .offset:         140
        .size:           4
        .value_kind:     by_value
      - .offset:         144
        .size:           4
        .value_kind:     by_value
      - .offset:         148
        .size:           4
        .value_kind:     by_value
      - .offset:         152
        .size:           1
        .value_kind:     by_value
      - .offset:         153
        .size:           1
        .value_kind:     by_value
      - .offset:         154
        .size:           1
        .value_kind:     by_value
    .group_segment_fixed_size: 0
    .kernarg_segment_align: 8
    .kernarg_segment_size: 156
    .language:       OpenCL C
    .language_version:
      - 2
      - 0
    .max_flat_workgroup_size: 1024
    .name:           _ZN9rocsparseL26csrgemm_fill_block_per_rowILj1024ELj64ELj4096ELj137ELj64EiifEEvT5_PKS1_S3_NS_24const_host_device_scalarIT6_EEPKT4_S3_PKS5_S9_S3_SB_S6_S9_S3_SB_S9_PS1_PS5_21rocsparse_index_base_SE_SE_SE_bbb
    .private_segment_fixed_size: 0
    .sgpr_count:     46
    .sgpr_spill_count: 0
    .symbol:         _ZN9rocsparseL26csrgemm_fill_block_per_rowILj1024ELj64ELj4096ELj137ELj64EiifEEvT5_PKS1_S3_NS_24const_host_device_scalarIT6_EEPKT4_S3_PKS5_S9_S3_SB_S6_S9_S3_SB_S9_PS1_PS5_21rocsparse_index_base_SE_SE_SE_bbb.kd
    .uniform_work_group_size: 1
    .uses_dynamic_stack: false
    .vgpr_count:     16
    .vgpr_spill_count: 0
    .wavefront_size: 32
    .workgroup_processor_mode: 1
  - .args:
      - .offset:         0
        .size:           4
        .value_kind:     by_value
      - .actual_access:  read_only
        .address_space:  global
        .offset:         8
        .size:           8
        .value_kind:     global_buffer
      - .actual_access:  read_only
        .address_space:  global
        .offset:         16
        .size:           8
        .value_kind:     global_buffer
      - .offset:         24
        .size:           8
        .value_kind:     by_value
      - .actual_access:  read_only
        .address_space:  global
        .offset:         32
        .size:           8
        .value_kind:     global_buffer
      - .actual_access:  read_only
        .address_space:  global
        .offset:         40
        .size:           8
        .value_kind:     global_buffer
      - .actual_access:  read_only
        .address_space:  global
        .offset:         48
        .size:           8
        .value_kind:     global_buffer
      - .actual_access:  read_only
        .address_space:  global
        .offset:         56
        .size:           8
        .value_kind:     global_buffer
      - .actual_access:  read_only
        .address_space:  global
        .offset:         64
        .size:           8
        .value_kind:     global_buffer
      - .actual_access:  read_only
        .address_space:  global
        .offset:         72
        .size:           8
        .value_kind:     global_buffer
      - .offset:         80
        .size:           8
        .value_kind:     by_value
      - .actual_access:  read_only
        .address_space:  global
        .offset:         88
        .size:           8
        .value_kind:     global_buffer
      - .actual_access:  read_only
        .address_space:  global
        .offset:         96
        .size:           8
        .value_kind:     global_buffer
      - .actual_access:  read_only
        .address_space:  global
        .offset:         104
        .size:           8
        .value_kind:     global_buffer
      - .actual_access:  read_only
        .address_space:  global
        .offset:         112
        .size:           8
        .value_kind:     global_buffer
      - .actual_access:  write_only
        .address_space:  global
        .offset:         120
        .size:           8
        .value_kind:     global_buffer
      - .actual_access:  write_only
        .address_space:  global
        .offset:         128
        .size:           8
        .value_kind:     global_buffer
      - .offset:         136
        .size:           4
        .value_kind:     by_value
      - .offset:         140
        .size:           4
        .value_kind:     by_value
      - .offset:         144
        .size:           4
        .value_kind:     by_value
      - .offset:         148
        .size:           4
        .value_kind:     by_value
      - .offset:         152
        .size:           1
        .value_kind:     by_value
      - .offset:         153
        .size:           1
        .value_kind:     by_value
      - .offset:         154
        .size:           1
        .value_kind:     by_value
    .group_segment_fixed_size: 0
    .kernarg_segment_align: 8
    .kernarg_segment_size: 156
    .language:       OpenCL C
    .language_version:
      - 2
      - 0
    .max_flat_workgroup_size: 1024
    .name:           _ZN9rocsparseL26csrgemm_fill_block_per_rowILj1024ELj64ELj8192ELj137ELj32EiifEEvT5_PKS1_S3_NS_24const_host_device_scalarIT6_EEPKT4_S3_PKS5_S9_S3_SB_S6_S9_S3_SB_S9_PS1_PS5_21rocsparse_index_base_SE_SE_SE_bbb
    .private_segment_fixed_size: 0
    .sgpr_count:     78
    .sgpr_spill_count: 0
    .symbol:         _ZN9rocsparseL26csrgemm_fill_block_per_rowILj1024ELj64ELj8192ELj137ELj32EiifEEvT5_PKS1_S3_NS_24const_host_device_scalarIT6_EEPKT4_S3_PKS5_S9_S3_SB_S6_S9_S3_SB_S9_PS1_PS5_21rocsparse_index_base_SE_SE_SE_bbb.kd
    .uniform_work_group_size: 1
    .uses_dynamic_stack: false
    .vgpr_count:     14
    .vgpr_spill_count: 0
    .wavefront_size: 32
    .workgroup_processor_mode: 1
  - .args:
      - .offset:         0
        .size:           4
        .value_kind:     by_value
      - .actual_access:  read_only
        .address_space:  global
        .offset:         8
        .size:           8
        .value_kind:     global_buffer
      - .actual_access:  read_only
        .address_space:  global
        .offset:         16
        .size:           8
        .value_kind:     global_buffer
      - .offset:         24
        .size:           8
        .value_kind:     by_value
      - .actual_access:  read_only
        .address_space:  global
        .offset:         32
        .size:           8
        .value_kind:     global_buffer
      - .actual_access:  read_only
        .address_space:  global
        .offset:         40
        .size:           8
        .value_kind:     global_buffer
      - .actual_access:  read_only
        .address_space:  global
        .offset:         48
        .size:           8
        .value_kind:     global_buffer
      - .actual_access:  read_only
        .address_space:  global
        .offset:         56
        .size:           8
        .value_kind:     global_buffer
      - .actual_access:  read_only
        .address_space:  global
        .offset:         64
        .size:           8
        .value_kind:     global_buffer
      - .actual_access:  read_only
        .address_space:  global
        .offset:         72
        .size:           8
        .value_kind:     global_buffer
      - .offset:         80
        .size:           8
        .value_kind:     by_value
      - .actual_access:  read_only
        .address_space:  global
        .offset:         88
        .size:           8
        .value_kind:     global_buffer
      - .actual_access:  read_only
        .address_space:  global
        .offset:         96
        .size:           8
        .value_kind:     global_buffer
      - .actual_access:  read_only
        .address_space:  global
        .offset:         104
        .size:           8
        .value_kind:     global_buffer
      - .actual_access:  read_only
        .address_space:  global
        .offset:         112
        .size:           8
        .value_kind:     global_buffer
      - .actual_access:  write_only
        .address_space:  global
        .offset:         120
        .size:           8
        .value_kind:     global_buffer
      - .actual_access:  write_only
        .address_space:  global
        .offset:         128
        .size:           8
        .value_kind:     global_buffer
      - .offset:         136
        .size:           4
        .value_kind:     by_value
      - .offset:         140
        .size:           4
        .value_kind:     by_value
      - .offset:         144
        .size:           4
        .value_kind:     by_value
      - .offset:         148
        .size:           4
        .value_kind:     by_value
      - .offset:         152
        .size:           1
        .value_kind:     by_value
      - .offset:         153
        .size:           1
        .value_kind:     by_value
      - .offset:         154
        .size:           1
        .value_kind:     by_value
    .group_segment_fixed_size: 0
    .kernarg_segment_align: 8
    .kernarg_segment_size: 156
    .language:       OpenCL C
    .language_version:
      - 2
      - 0
    .max_flat_workgroup_size: 1024
    .name:           _ZN9rocsparseL26csrgemm_fill_block_per_rowILj1024ELj64ELj8192ELj137ELj64EiifEEvT5_PKS1_S3_NS_24const_host_device_scalarIT6_EEPKT4_S3_PKS5_S9_S3_SB_S6_S9_S3_SB_S9_PS1_PS5_21rocsparse_index_base_SE_SE_SE_bbb
    .private_segment_fixed_size: 0
    .sgpr_count:     46
    .sgpr_spill_count: 0
    .symbol:         _ZN9rocsparseL26csrgemm_fill_block_per_rowILj1024ELj64ELj8192ELj137ELj64EiifEEvT5_PKS1_S3_NS_24const_host_device_scalarIT6_EEPKT4_S3_PKS5_S9_S3_SB_S6_S9_S3_SB_S9_PS1_PS5_21rocsparse_index_base_SE_SE_SE_bbb.kd
    .uniform_work_group_size: 1
    .uses_dynamic_stack: false
    .vgpr_count:     14
    .vgpr_spill_count: 0
    .wavefront_size: 32
    .workgroup_processor_mode: 1
  - .args:
      - .offset:         0
        .size:           4
        .value_kind:     by_value
      - .actual_access:  read_only
        .address_space:  global
        .offset:         8
        .size:           8
        .value_kind:     global_buffer
      - .actual_access:  read_only
        .address_space:  global
        .offset:         16
        .size:           8
        .value_kind:     global_buffer
      - .offset:         24
        .size:           8
        .value_kind:     by_value
      - .actual_access:  read_only
        .address_space:  global
        .offset:         32
        .size:           8
        .value_kind:     global_buffer
      - .actual_access:  read_only
        .address_space:  global
        .offset:         40
        .size:           8
        .value_kind:     global_buffer
      - .actual_access:  read_only
        .address_space:  global
        .offset:         48
        .size:           8
        .value_kind:     global_buffer
      - .actual_access:  read_only
        .address_space:  global
        .offset:         56
        .size:           8
        .value_kind:     global_buffer
      - .actual_access:  read_only
        .address_space:  global
        .offset:         64
        .size:           8
        .value_kind:     global_buffer
      - .actual_access:  read_only
        .address_space:  global
        .offset:         72
        .size:           8
        .value_kind:     global_buffer
      - .offset:         80
        .size:           8
        .value_kind:     by_value
      - .actual_access:  read_only
        .address_space:  global
        .offset:         88
        .size:           8
        .value_kind:     global_buffer
      - .actual_access:  read_only
        .address_space:  global
        .offset:         96
        .size:           8
        .value_kind:     global_buffer
      - .actual_access:  read_only
        .address_space:  global
        .offset:         104
        .size:           8
        .value_kind:     global_buffer
      - .actual_access:  read_only
        .address_space:  global
        .offset:         112
        .size:           8
        .value_kind:     global_buffer
      - .actual_access:  write_only
        .address_space:  global
        .offset:         120
        .size:           8
        .value_kind:     global_buffer
      - .actual_access:  write_only
        .address_space:  global
        .offset:         128
        .size:           8
        .value_kind:     global_buffer
      - .offset:         136
        .size:           4
        .value_kind:     by_value
      - .offset:         140
        .size:           4
        .value_kind:     by_value
      - .offset:         144
        .size:           4
        .value_kind:     by_value
      - .offset:         148
        .size:           4
        .value_kind:     by_value
      - .offset:         152
        .size:           1
        .value_kind:     by_value
      - .offset:         153
        .size:           1
        .value_kind:     by_value
      - .offset:         154
        .size:           1
        .value_kind:     by_value
    .group_segment_fixed_size: 0
    .kernarg_segment_align: 8
    .kernarg_segment_size: 156
    .language:       OpenCL C
    .language_version:
      - 2
      - 0
    .max_flat_workgroup_size: 1024
    .name:           _ZN9rocsparseL26csrgemm_fill_block_per_rowILj1024ELj64ELj16384ELj137ELj32EiifEEvT5_PKS1_S3_NS_24const_host_device_scalarIT6_EEPKT4_S3_PKS5_S9_S3_SB_S6_S9_S3_SB_S9_PS1_PS5_21rocsparse_index_base_SE_SE_SE_bbb
    .private_segment_fixed_size: 0
    .sgpr_count:     78
    .sgpr_spill_count: 0
    .symbol:         _ZN9rocsparseL26csrgemm_fill_block_per_rowILj1024ELj64ELj16384ELj137ELj32EiifEEvT5_PKS1_S3_NS_24const_host_device_scalarIT6_EEPKT4_S3_PKS5_S9_S3_SB_S6_S9_S3_SB_S9_PS1_PS5_21rocsparse_index_base_SE_SE_SE_bbb.kd
    .uniform_work_group_size: 1
    .uses_dynamic_stack: false
    .vgpr_count:     15
    .vgpr_spill_count: 0
    .wavefront_size: 32
    .workgroup_processor_mode: 1
  - .args:
      - .offset:         0
        .size:           4
        .value_kind:     by_value
      - .actual_access:  read_only
        .address_space:  global
        .offset:         8
        .size:           8
        .value_kind:     global_buffer
      - .actual_access:  read_only
        .address_space:  global
        .offset:         16
        .size:           8
        .value_kind:     global_buffer
      - .offset:         24
        .size:           8
        .value_kind:     by_value
      - .actual_access:  read_only
        .address_space:  global
        .offset:         32
        .size:           8
        .value_kind:     global_buffer
      - .actual_access:  read_only
        .address_space:  global
        .offset:         40
        .size:           8
        .value_kind:     global_buffer
      - .actual_access:  read_only
        .address_space:  global
        .offset:         48
        .size:           8
        .value_kind:     global_buffer
      - .actual_access:  read_only
        .address_space:  global
        .offset:         56
        .size:           8
        .value_kind:     global_buffer
      - .actual_access:  read_only
        .address_space:  global
        .offset:         64
        .size:           8
        .value_kind:     global_buffer
      - .actual_access:  read_only
        .address_space:  global
        .offset:         72
        .size:           8
        .value_kind:     global_buffer
      - .offset:         80
        .size:           8
        .value_kind:     by_value
      - .actual_access:  read_only
        .address_space:  global
        .offset:         88
        .size:           8
        .value_kind:     global_buffer
      - .actual_access:  read_only
        .address_space:  global
        .offset:         96
        .size:           8
        .value_kind:     global_buffer
      - .actual_access:  read_only
        .address_space:  global
        .offset:         104
        .size:           8
        .value_kind:     global_buffer
      - .actual_access:  read_only
        .address_space:  global
        .offset:         112
        .size:           8
        .value_kind:     global_buffer
      - .actual_access:  write_only
        .address_space:  global
        .offset:         120
        .size:           8
        .value_kind:     global_buffer
      - .actual_access:  write_only
        .address_space:  global
        .offset:         128
        .size:           8
        .value_kind:     global_buffer
      - .offset:         136
        .size:           4
        .value_kind:     by_value
      - .offset:         140
        .size:           4
        .value_kind:     by_value
      - .offset:         144
        .size:           4
        .value_kind:     by_value
      - .offset:         148
        .size:           4
        .value_kind:     by_value
      - .offset:         152
        .size:           1
        .value_kind:     by_value
      - .offset:         153
        .size:           1
        .value_kind:     by_value
      - .offset:         154
        .size:           1
        .value_kind:     by_value
    .group_segment_fixed_size: 0
    .kernarg_segment_align: 8
    .kernarg_segment_size: 156
    .language:       OpenCL C
    .language_version:
      - 2
      - 0
    .max_flat_workgroup_size: 1024
    .name:           _ZN9rocsparseL26csrgemm_fill_block_per_rowILj1024ELj64ELj16384ELj137ELj64EiifEEvT5_PKS1_S3_NS_24const_host_device_scalarIT6_EEPKT4_S3_PKS5_S9_S3_SB_S6_S9_S3_SB_S9_PS1_PS5_21rocsparse_index_base_SE_SE_SE_bbb
    .private_segment_fixed_size: 0
    .sgpr_count:     46
    .sgpr_spill_count: 0
    .symbol:         _ZN9rocsparseL26csrgemm_fill_block_per_rowILj1024ELj64ELj16384ELj137ELj64EiifEEvT5_PKS1_S3_NS_24const_host_device_scalarIT6_EEPKT4_S3_PKS5_S9_S3_SB_S6_S9_S3_SB_S9_PS1_PS5_21rocsparse_index_base_SE_SE_SE_bbb.kd
    .uniform_work_group_size: 1
    .uses_dynamic_stack: false
    .vgpr_count:     16
    .vgpr_spill_count: 0
    .wavefront_size: 32
    .workgroup_processor_mode: 1
  - .args:
      - .offset:         0
        .size:           4
        .value_kind:     by_value
      - .actual_access:  read_only
        .address_space:  global
        .offset:         8
        .size:           8
        .value_kind:     global_buffer
      - .actual_access:  read_only
        .address_space:  global
        .offset:         16
        .size:           8
        .value_kind:     global_buffer
      - .offset:         24
        .size:           8
        .value_kind:     by_value
      - .actual_access:  read_only
        .address_space:  global
        .offset:         32
        .size:           8
        .value_kind:     global_buffer
      - .actual_access:  read_only
        .address_space:  global
        .offset:         40
        .size:           8
        .value_kind:     global_buffer
      - .actual_access:  read_only
        .address_space:  global
        .offset:         48
        .size:           8
        .value_kind:     global_buffer
      - .actual_access:  read_only
        .address_space:  global
        .offset:         56
        .size:           8
        .value_kind:     global_buffer
      - .actual_access:  read_only
        .address_space:  global
        .offset:         64
        .size:           8
        .value_kind:     global_buffer
      - .actual_access:  read_only
        .address_space:  global
        .offset:         72
        .size:           8
        .value_kind:     global_buffer
      - .offset:         80
        .size:           8
        .value_kind:     by_value
      - .actual_access:  read_only
        .address_space:  global
        .offset:         88
        .size:           8
        .value_kind:     global_buffer
      - .actual_access:  read_only
        .address_space:  global
        .offset:         96
        .size:           8
        .value_kind:     global_buffer
      - .actual_access:  read_only
        .address_space:  global
        .offset:         104
        .size:           8
        .value_kind:     global_buffer
      - .actual_access:  read_only
        .address_space:  global
        .offset:         112
        .size:           8
        .value_kind:     global_buffer
      - .actual_access:  write_only
        .address_space:  global
        .offset:         120
        .size:           8
        .value_kind:     global_buffer
      - .actual_access:  write_only
        .address_space:  global
        .offset:         128
        .size:           8
        .value_kind:     global_buffer
      - .offset:         136
        .size:           4
        .value_kind:     by_value
      - .offset:         140
        .size:           4
        .value_kind:     by_value
      - .offset:         144
        .size:           4
        .value_kind:     by_value
      - .offset:         148
        .size:           4
        .value_kind:     by_value
      - .offset:         152
        .size:           1
        .value_kind:     by_value
      - .offset:         153
        .size:           1
        .value_kind:     by_value
      - .offset:         154
        .size:           1
        .value_kind:     by_value
    .group_segment_fixed_size: 0
    .kernarg_segment_align: 8
    .kernarg_segment_size: 156
    .language:       OpenCL C
    .language_version:
      - 2
      - 0
    .max_flat_workgroup_size: 1024
    .name:           _ZN9rocsparseL26csrgemm_fill_block_per_rowILj1024ELj64ELj32768ELj137ELj32EiifEEvT5_PKS1_S3_NS_24const_host_device_scalarIT6_EEPKT4_S3_PKS5_S9_S3_SB_S6_S9_S3_SB_S9_PS1_PS5_21rocsparse_index_base_SE_SE_SE_bbb
    .private_segment_fixed_size: 0
    .sgpr_count:     78
    .sgpr_spill_count: 0
    .symbol:         _ZN9rocsparseL26csrgemm_fill_block_per_rowILj1024ELj64ELj32768ELj137ELj32EiifEEvT5_PKS1_S3_NS_24const_host_device_scalarIT6_EEPKT4_S3_PKS5_S9_S3_SB_S6_S9_S3_SB_S9_PS1_PS5_21rocsparse_index_base_SE_SE_SE_bbb.kd
    .uniform_work_group_size: 1
    .uses_dynamic_stack: false
    .vgpr_count:     15
    .vgpr_spill_count: 0
    .wavefront_size: 32
    .workgroup_processor_mode: 1
  - .args:
      - .offset:         0
        .size:           4
        .value_kind:     by_value
      - .actual_access:  read_only
        .address_space:  global
        .offset:         8
        .size:           8
        .value_kind:     global_buffer
      - .actual_access:  read_only
        .address_space:  global
        .offset:         16
        .size:           8
        .value_kind:     global_buffer
      - .offset:         24
        .size:           8
        .value_kind:     by_value
      - .actual_access:  read_only
        .address_space:  global
        .offset:         32
        .size:           8
        .value_kind:     global_buffer
      - .actual_access:  read_only
        .address_space:  global
        .offset:         40
        .size:           8
        .value_kind:     global_buffer
      - .actual_access:  read_only
        .address_space:  global
        .offset:         48
        .size:           8
        .value_kind:     global_buffer
      - .actual_access:  read_only
        .address_space:  global
        .offset:         56
        .size:           8
        .value_kind:     global_buffer
      - .actual_access:  read_only
        .address_space:  global
        .offset:         64
        .size:           8
        .value_kind:     global_buffer
      - .actual_access:  read_only
        .address_space:  global
        .offset:         72
        .size:           8
        .value_kind:     global_buffer
      - .offset:         80
        .size:           8
        .value_kind:     by_value
      - .actual_access:  read_only
        .address_space:  global
        .offset:         88
        .size:           8
        .value_kind:     global_buffer
      - .actual_access:  read_only
        .address_space:  global
        .offset:         96
        .size:           8
        .value_kind:     global_buffer
      - .actual_access:  read_only
        .address_space:  global
        .offset:         104
        .size:           8
        .value_kind:     global_buffer
      - .actual_access:  read_only
        .address_space:  global
        .offset:         112
        .size:           8
        .value_kind:     global_buffer
      - .actual_access:  write_only
        .address_space:  global
        .offset:         120
        .size:           8
        .value_kind:     global_buffer
      - .actual_access:  write_only
        .address_space:  global
        .offset:         128
        .size:           8
        .value_kind:     global_buffer
      - .offset:         136
        .size:           4
        .value_kind:     by_value
      - .offset:         140
        .size:           4
        .value_kind:     by_value
      - .offset:         144
        .size:           4
        .value_kind:     by_value
      - .offset:         148
        .size:           4
        .value_kind:     by_value
      - .offset:         152
        .size:           1
        .value_kind:     by_value
      - .offset:         153
        .size:           1
        .value_kind:     by_value
      - .offset:         154
        .size:           1
        .value_kind:     by_value
    .group_segment_fixed_size: 0
    .kernarg_segment_align: 8
    .kernarg_segment_size: 156
    .language:       OpenCL C
    .language_version:
      - 2
      - 0
    .max_flat_workgroup_size: 1024
    .name:           _ZN9rocsparseL26csrgemm_fill_block_per_rowILj1024ELj64ELj32768ELj137ELj64EiifEEvT5_PKS1_S3_NS_24const_host_device_scalarIT6_EEPKT4_S3_PKS5_S9_S3_SB_S6_S9_S3_SB_S9_PS1_PS5_21rocsparse_index_base_SE_SE_SE_bbb
    .private_segment_fixed_size: 0
    .sgpr_count:     46
    .sgpr_spill_count: 0
    .symbol:         _ZN9rocsparseL26csrgemm_fill_block_per_rowILj1024ELj64ELj32768ELj137ELj64EiifEEvT5_PKS1_S3_NS_24const_host_device_scalarIT6_EEPKT4_S3_PKS5_S9_S3_SB_S6_S9_S3_SB_S9_PS1_PS5_21rocsparse_index_base_SE_SE_SE_bbb.kd
    .uniform_work_group_size: 1
    .uses_dynamic_stack: false
    .vgpr_count:     16
    .vgpr_spill_count: 0
    .wavefront_size: 32
    .workgroup_processor_mode: 1
  - .args:
      - .offset:         0
        .size:           4
        .value_kind:     by_value
      - .actual_access:  read_only
        .address_space:  global
        .offset:         8
        .size:           8
        .value_kind:     global_buffer
      - .actual_access:  read_only
        .address_space:  global
        .offset:         16
        .size:           8
        .value_kind:     global_buffer
      - .offset:         24
        .size:           8
        .value_kind:     by_value
      - .actual_access:  read_only
        .address_space:  global
        .offset:         32
        .size:           8
        .value_kind:     global_buffer
      - .actual_access:  read_only
        .address_space:  global
        .offset:         40
        .size:           8
        .value_kind:     global_buffer
      - .actual_access:  read_only
        .address_space:  global
        .offset:         48
        .size:           8
        .value_kind:     global_buffer
      - .actual_access:  read_only
        .address_space:  global
        .offset:         56
        .size:           8
        .value_kind:     global_buffer
      - .actual_access:  read_only
        .address_space:  global
        .offset:         64
        .size:           8
        .value_kind:     global_buffer
      - .actual_access:  read_only
        .address_space:  global
        .offset:         72
        .size:           8
        .value_kind:     global_buffer
      - .offset:         80
        .size:           8
        .value_kind:     by_value
      - .actual_access:  read_only
        .address_space:  global
        .offset:         88
        .size:           8
        .value_kind:     global_buffer
      - .actual_access:  read_only
        .address_space:  global
        .offset:         96
        .size:           8
        .value_kind:     global_buffer
      - .actual_access:  read_only
        .address_space:  global
        .offset:         104
        .size:           8
        .value_kind:     global_buffer
      - .actual_access:  read_only
        .address_space:  global
        .offset:         112
        .size:           8
        .value_kind:     global_buffer
      - .actual_access:  write_only
        .address_space:  global
        .offset:         120
        .size:           8
        .value_kind:     global_buffer
      - .actual_access:  write_only
        .address_space:  global
        .offset:         128
        .size:           8
        .value_kind:     global_buffer
      - .address_space:  global
        .offset:         136
        .size:           8
        .value_kind:     global_buffer
      - .offset:         144
        .size:           4
        .value_kind:     by_value
      - .offset:         148
        .size:           4
        .value_kind:     by_value
      - .offset:         152
        .size:           4
        .value_kind:     by_value
      - .offset:         156
        .size:           4
        .value_kind:     by_value
      - .offset:         160
        .size:           1
        .value_kind:     by_value
      - .offset:         161
        .size:           1
        .value_kind:     by_value
      - .offset:         162
        .size:           1
        .value_kind:     by_value
    .group_segment_fixed_size: 10244
    .kernarg_segment_align: 8
    .kernarg_segment_size: 164
    .language:       OpenCL C
    .language_version:
      - 2
      - 0
    .max_flat_workgroup_size: 512
    .name:           _ZN9rocsparseL36csrgemm_fill_block_per_row_multipassILj512ELj16ELj2048ELj32EiifEEvT4_PKS1_S3_NS_24const_host_device_scalarIT5_EEPKT3_S3_PKS5_S9_S3_SB_S6_S9_S3_SB_S9_PS1_PS5_PS7_21rocsparse_index_base_SF_SF_SF_bbb
    .private_segment_fixed_size: 0
    .sgpr_count:     64
    .sgpr_spill_count: 0
    .symbol:         _ZN9rocsparseL36csrgemm_fill_block_per_row_multipassILj512ELj16ELj2048ELj32EiifEEvT4_PKS1_S3_NS_24const_host_device_scalarIT5_EEPKT3_S3_PKS5_S9_S3_SB_S6_S9_S3_SB_S9_PS1_PS5_PS7_21rocsparse_index_base_SF_SF_SF_bbb.kd
    .uniform_work_group_size: 1
    .uses_dynamic_stack: false
    .vgpr_count:     38
    .vgpr_spill_count: 0
    .wavefront_size: 32
    .workgroup_processor_mode: 1
  - .args:
      - .offset:         0
        .size:           4
        .value_kind:     by_value
      - .actual_access:  read_only
        .address_space:  global
        .offset:         8
        .size:           8
        .value_kind:     global_buffer
      - .actual_access:  read_only
        .address_space:  global
        .offset:         16
        .size:           8
        .value_kind:     global_buffer
      - .offset:         24
        .size:           8
        .value_kind:     by_value
      - .actual_access:  read_only
        .address_space:  global
        .offset:         32
        .size:           8
        .value_kind:     global_buffer
      - .actual_access:  read_only
        .address_space:  global
        .offset:         40
        .size:           8
        .value_kind:     global_buffer
      - .actual_access:  read_only
        .address_space:  global
        .offset:         48
        .size:           8
        .value_kind:     global_buffer
      - .actual_access:  read_only
        .address_space:  global
        .offset:         56
        .size:           8
        .value_kind:     global_buffer
      - .actual_access:  read_only
        .address_space:  global
        .offset:         64
        .size:           8
        .value_kind:     global_buffer
      - .actual_access:  read_only
        .address_space:  global
        .offset:         72
        .size:           8
        .value_kind:     global_buffer
      - .offset:         80
        .size:           8
        .value_kind:     by_value
      - .actual_access:  read_only
        .address_space:  global
        .offset:         88
        .size:           8
        .value_kind:     global_buffer
      - .actual_access:  read_only
        .address_space:  global
        .offset:         96
        .size:           8
        .value_kind:     global_buffer
      - .actual_access:  read_only
        .address_space:  global
        .offset:         104
        .size:           8
        .value_kind:     global_buffer
      - .actual_access:  read_only
        .address_space:  global
        .offset:         112
        .size:           8
        .value_kind:     global_buffer
      - .actual_access:  write_only
        .address_space:  global
        .offset:         120
        .size:           8
        .value_kind:     global_buffer
      - .actual_access:  write_only
        .address_space:  global
        .offset:         128
        .size:           8
        .value_kind:     global_buffer
      - .address_space:  global
        .offset:         136
        .size:           8
        .value_kind:     global_buffer
      - .offset:         144
        .size:           4
        .value_kind:     by_value
      - .offset:         148
        .size:           4
        .value_kind:     by_value
      - .offset:         152
        .size:           4
        .value_kind:     by_value
      - .offset:         156
        .size:           4
        .value_kind:     by_value
      - .offset:         160
        .size:           1
        .value_kind:     by_value
      - .offset:         161
        .size:           1
        .value_kind:     by_value
      - .offset:         162
        .size:           1
        .value_kind:     by_value
    .group_segment_fixed_size: 10244
    .kernarg_segment_align: 8
    .kernarg_segment_size: 164
    .language:       OpenCL C
    .language_version:
      - 2
      - 0
    .max_flat_workgroup_size: 512
    .name:           _ZN9rocsparseL36csrgemm_fill_block_per_row_multipassILj512ELj16ELj2048ELj64EiifEEvT4_PKS1_S3_NS_24const_host_device_scalarIT5_EEPKT3_S3_PKS5_S9_S3_SB_S6_S9_S3_SB_S9_PS1_PS5_PS7_21rocsparse_index_base_SF_SF_SF_bbb
    .private_segment_fixed_size: 0
    .sgpr_count:     56
    .sgpr_spill_count: 0
    .symbol:         _ZN9rocsparseL36csrgemm_fill_block_per_row_multipassILj512ELj16ELj2048ELj64EiifEEvT4_PKS1_S3_NS_24const_host_device_scalarIT5_EEPKT3_S3_PKS5_S9_S3_SB_S6_S9_S3_SB_S9_PS1_PS5_PS7_21rocsparse_index_base_SF_SF_SF_bbb.kd
    .uniform_work_group_size: 1
    .uses_dynamic_stack: false
    .vgpr_count:     32
    .vgpr_spill_count: 0
    .wavefront_size: 32
    .workgroup_processor_mode: 1
  - .args:
      - .offset:         0
        .size:           4
        .value_kind:     by_value
      - .actual_access:  read_only
        .address_space:  global
        .offset:         8
        .size:           8
        .value_kind:     global_buffer
      - .actual_access:  write_only
        .address_space:  global
        .offset:         16
        .size:           8
        .value_kind:     global_buffer
      - .actual_access:  write_only
        .address_space:  global
        .offset:         24
        .size:           8
        .value_kind:     global_buffer
      - .offset:         32
        .size:           4
        .value_kind:     by_value
      - .offset:         40
        .size:           4
        .value_kind:     hidden_block_count_x
      - .offset:         44
        .size:           4
        .value_kind:     hidden_block_count_y
      - .offset:         48
        .size:           4
        .value_kind:     hidden_block_count_z
      - .offset:         52
        .size:           2
        .value_kind:     hidden_group_size_x
      - .offset:         54
        .size:           2
        .value_kind:     hidden_group_size_y
      - .offset:         56
        .size:           2
        .value_kind:     hidden_group_size_z
      - .offset:         58
        .size:           2
        .value_kind:     hidden_remainder_x
      - .offset:         60
        .size:           2
        .value_kind:     hidden_remainder_y
      - .offset:         62
        .size:           2
        .value_kind:     hidden_remainder_z
      - .offset:         80
        .size:           8
        .value_kind:     hidden_global_offset_x
      - .offset:         88
        .size:           8
        .value_kind:     hidden_global_offset_y
      - .offset:         96
        .size:           8
        .value_kind:     hidden_global_offset_z
      - .offset:         104
        .size:           2
        .value_kind:     hidden_grid_dims
    .group_segment_fixed_size: 11264
    .kernarg_segment_align: 8
    .kernarg_segment_size: 296
    .language:       OpenCL C
    .language_version:
      - 2
      - 0
    .max_flat_workgroup_size: 256
    .name:           _ZN9rocsparseL26csrgemm_group_reduce_part2ILj256ELj11EdiiEEvT3_PKT2_PS1_Pij
    .private_segment_fixed_size: 0
    .sgpr_count:     28
    .sgpr_spill_count: 0
    .symbol:         _ZN9rocsparseL26csrgemm_group_reduce_part2ILj256ELj11EdiiEEvT3_PKT2_PS1_Pij.kd
    .uniform_work_group_size: 1
    .uses_dynamic_stack: false
    .vgpr_count:     25
    .vgpr_spill_count: 0
    .wavefront_size: 32
    .workgroup_processor_mode: 1
  - .args:
      - .offset:         0
        .size:           4
        .value_kind:     by_value
      - .offset:         4
        .size:           4
        .value_kind:     by_value
      - .actual_access:  read_only
        .address_space:  global
        .offset:         8
        .size:           8
        .value_kind:     global_buffer
      - .actual_access:  read_only
        .address_space:  global
        .offset:         16
        .size:           8
        .value_kind:     global_buffer
      - .offset:         24
        .size:           8
        .value_kind:     by_value
      - .actual_access:  read_only
        .address_space:  global
        .offset:         32
        .size:           8
        .value_kind:     global_buffer
      - .actual_access:  read_only
        .address_space:  global
        .offset:         40
        .size:           8
        .value_kind:     global_buffer
      - .actual_access:  read_only
        .address_space:  global
        .offset:         48
        .size:           8
        .value_kind:     global_buffer
      - .actual_access:  read_only
        .address_space:  global
        .offset:         56
        .size:           8
        .value_kind:     global_buffer
      - .actual_access:  read_only
        .address_space:  global
        .offset:         64
        .size:           8
        .value_kind:     global_buffer
      - .actual_access:  read_only
        .address_space:  global
        .offset:         72
        .size:           8
        .value_kind:     global_buffer
      - .offset:         80
        .size:           8
        .value_kind:     by_value
      - .actual_access:  read_only
        .address_space:  global
        .offset:         88
        .size:           8
        .value_kind:     global_buffer
      - .actual_access:  read_only
        .address_space:  global
        .offset:         96
        .size:           8
        .value_kind:     global_buffer
      - .actual_access:  read_only
        .address_space:  global
        .offset:         104
        .size:           8
        .value_kind:     global_buffer
      - .actual_access:  read_only
        .address_space:  global
        .offset:         112
        .size:           8
        .value_kind:     global_buffer
      - .actual_access:  write_only
        .address_space:  global
        .offset:         120
        .size:           8
        .value_kind:     global_buffer
      - .actual_access:  write_only
        .address_space:  global
        .offset:         128
        .size:           8
        .value_kind:     global_buffer
      - .offset:         136
        .size:           4
        .value_kind:     by_value
      - .offset:         140
        .size:           4
        .value_kind:     by_value
      - .offset:         144
        .size:           4
        .value_kind:     by_value
      - .offset:         148
        .size:           4
        .value_kind:     by_value
      - .offset:         152
        .size:           1
        .value_kind:     by_value
      - .offset:         153
        .size:           1
        .value_kind:     by_value
      - .offset:         154
        .size:           1
        .value_kind:     by_value
    .group_segment_fixed_size: 6144
    .kernarg_segment_align: 8
    .kernarg_segment_size: 156
    .language:       OpenCL C
    .language_version:
      - 2
      - 0
    .max_flat_workgroup_size: 256
    .name:           _ZN9rocsparseL23csrgemm_fill_wf_per_rowILj256ELj8ELj16ELj137EiidEEvT4_S1_PKS1_S3_NS_24const_host_device_scalarIT5_EEPKT3_S3_PKS5_S9_S3_SB_S6_S9_S3_SB_S9_PS1_PS5_21rocsparse_index_base_SE_SE_SE_bbb
    .private_segment_fixed_size: 0
    .sgpr_count:     46
    .sgpr_spill_count: 0
    .symbol:         _ZN9rocsparseL23csrgemm_fill_wf_per_rowILj256ELj8ELj16ELj137EiidEEvT4_S1_PKS1_S3_NS_24const_host_device_scalarIT5_EEPKT3_S3_PKS5_S9_S3_SB_S6_S9_S3_SB_S9_PS1_PS5_21rocsparse_index_base_SE_SE_SE_bbb.kd
    .uniform_work_group_size: 1
    .uses_dynamic_stack: false
    .vgpr_count:     27
    .vgpr_spill_count: 0
    .wavefront_size: 32
    .workgroup_processor_mode: 1
  - .args:
      - .offset:         0
        .size:           4
        .value_kind:     by_value
      - .offset:         4
        .size:           4
        .value_kind:     by_value
      - .actual_access:  read_only
        .address_space:  global
        .offset:         8
        .size:           8
        .value_kind:     global_buffer
      - .actual_access:  read_only
        .address_space:  global
        .offset:         16
        .size:           8
        .value_kind:     global_buffer
      - .offset:         24
        .size:           8
        .value_kind:     by_value
      - .actual_access:  read_only
        .address_space:  global
        .offset:         32
        .size:           8
        .value_kind:     global_buffer
      - .actual_access:  read_only
        .address_space:  global
        .offset:         40
        .size:           8
        .value_kind:     global_buffer
      - .actual_access:  read_only
        .address_space:  global
        .offset:         48
        .size:           8
        .value_kind:     global_buffer
      - .actual_access:  read_only
        .address_space:  global
        .offset:         56
        .size:           8
        .value_kind:     global_buffer
      - .actual_access:  read_only
        .address_space:  global
        .offset:         64
        .size:           8
        .value_kind:     global_buffer
      - .actual_access:  read_only
        .address_space:  global
        .offset:         72
        .size:           8
        .value_kind:     global_buffer
      - .offset:         80
        .size:           8
        .value_kind:     by_value
      - .actual_access:  read_only
        .address_space:  global
        .offset:         88
        .size:           8
        .value_kind:     global_buffer
      - .actual_access:  read_only
        .address_space:  global
        .offset:         96
        .size:           8
        .value_kind:     global_buffer
      - .actual_access:  read_only
        .address_space:  global
        .offset:         104
        .size:           8
        .value_kind:     global_buffer
      - .actual_access:  read_only
        .address_space:  global
        .offset:         112
        .size:           8
        .value_kind:     global_buffer
      - .actual_access:  write_only
        .address_space:  global
        .offset:         120
        .size:           8
        .value_kind:     global_buffer
      - .actual_access:  write_only
        .address_space:  global
        .offset:         128
        .size:           8
        .value_kind:     global_buffer
      - .offset:         136
        .size:           4
        .value_kind:     by_value
      - .offset:         140
        .size:           4
        .value_kind:     by_value
      - .offset:         144
        .size:           4
        .value_kind:     by_value
      - .offset:         148
        .size:           4
        .value_kind:     by_value
      - .offset:         152
        .size:           1
        .value_kind:     by_value
      - .offset:         153
        .size:           1
        .value_kind:     by_value
      - .offset:         154
        .size:           1
        .value_kind:     by_value
    .group_segment_fixed_size: 6144
    .kernarg_segment_align: 8
    .kernarg_segment_size: 156
    .language:       OpenCL C
    .language_version:
      - 2
      - 0
    .max_flat_workgroup_size: 256
    .name:           _ZN9rocsparseL23csrgemm_fill_wf_per_rowILj256ELj16ELj32ELj137EiidEEvT4_S1_PKS1_S3_NS_24const_host_device_scalarIT5_EEPKT3_S3_PKS5_S9_S3_SB_S6_S9_S3_SB_S9_PS1_PS5_21rocsparse_index_base_SE_SE_SE_bbb
    .private_segment_fixed_size: 0
    .sgpr_count:     46
    .sgpr_spill_count: 0
    .symbol:         _ZN9rocsparseL23csrgemm_fill_wf_per_rowILj256ELj16ELj32ELj137EiidEEvT4_S1_PKS1_S3_NS_24const_host_device_scalarIT5_EEPKT3_S3_PKS5_S9_S3_SB_S6_S9_S3_SB_S9_PS1_PS5_21rocsparse_index_base_SE_SE_SE_bbb.kd
    .uniform_work_group_size: 1
    .uses_dynamic_stack: false
    .vgpr_count:     38
    .vgpr_spill_count: 0
    .wavefront_size: 32
    .workgroup_processor_mode: 1
  - .args:
      - .offset:         0
        .size:           4
        .value_kind:     by_value
      - .actual_access:  read_only
        .address_space:  global
        .offset:         8
        .size:           8
        .value_kind:     global_buffer
      - .actual_access:  read_only
        .address_space:  global
        .offset:         16
        .size:           8
        .value_kind:     global_buffer
      - .offset:         24
        .size:           8
        .value_kind:     by_value
      - .actual_access:  read_only
        .address_space:  global
        .offset:         32
        .size:           8
        .value_kind:     global_buffer
      - .actual_access:  read_only
        .address_space:  global
        .offset:         40
        .size:           8
        .value_kind:     global_buffer
      - .actual_access:  read_only
        .address_space:  global
        .offset:         48
        .size:           8
        .value_kind:     global_buffer
      - .actual_access:  read_only
        .address_space:  global
        .offset:         56
        .size:           8
        .value_kind:     global_buffer
      - .actual_access:  read_only
        .address_space:  global
        .offset:         64
        .size:           8
        .value_kind:     global_buffer
      - .actual_access:  read_only
        .address_space:  global
        .offset:         72
        .size:           8
        .value_kind:     global_buffer
      - .offset:         80
        .size:           8
        .value_kind:     by_value
      - .actual_access:  read_only
        .address_space:  global
        .offset:         88
        .size:           8
        .value_kind:     global_buffer
      - .actual_access:  read_only
        .address_space:  global
        .offset:         96
        .size:           8
        .value_kind:     global_buffer
      - .actual_access:  read_only
        .address_space:  global
        .offset:         104
        .size:           8
        .value_kind:     global_buffer
      - .actual_access:  read_only
        .address_space:  global
        .offset:         112
        .size:           8
        .value_kind:     global_buffer
      - .actual_access:  write_only
        .address_space:  global
        .offset:         120
        .size:           8
        .value_kind:     global_buffer
      - .actual_access:  write_only
        .address_space:  global
        .offset:         128
        .size:           8
        .value_kind:     global_buffer
      - .offset:         136
        .size:           4
        .value_kind:     by_value
      - .offset:         140
        .size:           4
        .value_kind:     by_value
      - .offset:         144
        .size:           4
        .value_kind:     by_value
      - .offset:         148
        .size:           4
        .value_kind:     by_value
      - .offset:         152
        .size:           1
        .value_kind:     by_value
      - .offset:         153
        .size:           1
        .value_kind:     by_value
      - .offset:         154
        .size:           1
        .value_kind:     by_value
    .group_segment_fixed_size: 0
    .kernarg_segment_align: 8
    .kernarg_segment_size: 156
    .language:       OpenCL C
    .language_version:
      - 2
      - 0
    .max_flat_workgroup_size: 128
    .name:           _ZN9rocsparseL26csrgemm_fill_block_per_rowILj128ELj16ELj256ELj137ELj32EiidEEvT5_PKS1_S3_NS_24const_host_device_scalarIT6_EEPKT4_S3_PKS5_S9_S3_SB_S6_S9_S3_SB_S9_PS1_PS5_21rocsparse_index_base_SE_SE_SE_bbb
    .private_segment_fixed_size: 0
    .sgpr_count:     46
    .sgpr_spill_count: 0
    .symbol:         _ZN9rocsparseL26csrgemm_fill_block_per_rowILj128ELj16ELj256ELj137ELj32EiidEEvT5_PKS1_S3_NS_24const_host_device_scalarIT6_EEPKT4_S3_PKS5_S9_S3_SB_S6_S9_S3_SB_S9_PS1_PS5_21rocsparse_index_base_SE_SE_SE_bbb.kd
    .uniform_work_group_size: 1
    .uses_dynamic_stack: false
    .vgpr_count:     23
    .vgpr_spill_count: 0
    .wavefront_size: 32
    .workgroup_processor_mode: 1
  - .args:
      - .offset:         0
        .size:           4
        .value_kind:     by_value
      - .actual_access:  read_only
        .address_space:  global
        .offset:         8
        .size:           8
        .value_kind:     global_buffer
      - .actual_access:  read_only
        .address_space:  global
        .offset:         16
        .size:           8
        .value_kind:     global_buffer
      - .offset:         24
        .size:           8
        .value_kind:     by_value
      - .actual_access:  read_only
        .address_space:  global
        .offset:         32
        .size:           8
        .value_kind:     global_buffer
      - .actual_access:  read_only
        .address_space:  global
        .offset:         40
        .size:           8
        .value_kind:     global_buffer
      - .actual_access:  read_only
        .address_space:  global
        .offset:         48
        .size:           8
        .value_kind:     global_buffer
      - .actual_access:  read_only
        .address_space:  global
        .offset:         56
        .size:           8
        .value_kind:     global_buffer
      - .actual_access:  read_only
        .address_space:  global
        .offset:         64
        .size:           8
        .value_kind:     global_buffer
      - .actual_access:  read_only
        .address_space:  global
        .offset:         72
        .size:           8
        .value_kind:     global_buffer
      - .offset:         80
        .size:           8
        .value_kind:     by_value
      - .actual_access:  read_only
        .address_space:  global
        .offset:         88
        .size:           8
        .value_kind:     global_buffer
      - .actual_access:  read_only
        .address_space:  global
        .offset:         96
        .size:           8
        .value_kind:     global_buffer
      - .actual_access:  read_only
        .address_space:  global
        .offset:         104
        .size:           8
        .value_kind:     global_buffer
      - .actual_access:  read_only
        .address_space:  global
        .offset:         112
        .size:           8
        .value_kind:     global_buffer
      - .actual_access:  write_only
        .address_space:  global
        .offset:         120
        .size:           8
        .value_kind:     global_buffer
      - .actual_access:  write_only
        .address_space:  global
        .offset:         128
        .size:           8
        .value_kind:     global_buffer
      - .offset:         136
        .size:           4
        .value_kind:     by_value
      - .offset:         140
        .size:           4
        .value_kind:     by_value
      - .offset:         144
        .size:           4
        .value_kind:     by_value
      - .offset:         148
        .size:           4
        .value_kind:     by_value
      - .offset:         152
        .size:           1
        .value_kind:     by_value
      - .offset:         153
        .size:           1
        .value_kind:     by_value
      - .offset:         154
        .size:           1
        .value_kind:     by_value
    .group_segment_fixed_size: 0
    .kernarg_segment_align: 8
    .kernarg_segment_size: 156
    .language:       OpenCL C
    .language_version:
      - 2
      - 0
    .max_flat_workgroup_size: 128
    .name:           _ZN9rocsparseL26csrgemm_fill_block_per_rowILj128ELj16ELj256ELj137ELj64EiidEEvT5_PKS1_S3_NS_24const_host_device_scalarIT6_EEPKT4_S3_PKS5_S9_S3_SB_S6_S9_S3_SB_S9_PS1_PS5_21rocsparse_index_base_SE_SE_SE_bbb
    .private_segment_fixed_size: 0
    .sgpr_count:     46
    .sgpr_spill_count: 0
    .symbol:         _ZN9rocsparseL26csrgemm_fill_block_per_rowILj128ELj16ELj256ELj137ELj64EiidEEvT5_PKS1_S3_NS_24const_host_device_scalarIT6_EEPKT4_S3_PKS5_S9_S3_SB_S6_S9_S3_SB_S9_PS1_PS5_21rocsparse_index_base_SE_SE_SE_bbb.kd
    .uniform_work_group_size: 1
    .uses_dynamic_stack: false
    .vgpr_count:     24
    .vgpr_spill_count: 0
    .wavefront_size: 32
    .workgroup_processor_mode: 1
  - .args:
      - .offset:         0
        .size:           4
        .value_kind:     by_value
      - .actual_access:  read_only
        .address_space:  global
        .offset:         8
        .size:           8
        .value_kind:     global_buffer
      - .actual_access:  read_only
        .address_space:  global
        .offset:         16
        .size:           8
        .value_kind:     global_buffer
      - .offset:         24
        .size:           8
        .value_kind:     by_value
      - .actual_access:  read_only
        .address_space:  global
        .offset:         32
        .size:           8
        .value_kind:     global_buffer
      - .actual_access:  read_only
        .address_space:  global
        .offset:         40
        .size:           8
        .value_kind:     global_buffer
      - .actual_access:  read_only
        .address_space:  global
        .offset:         48
        .size:           8
        .value_kind:     global_buffer
      - .actual_access:  read_only
        .address_space:  global
        .offset:         56
        .size:           8
        .value_kind:     global_buffer
      - .actual_access:  read_only
        .address_space:  global
        .offset:         64
        .size:           8
        .value_kind:     global_buffer
      - .actual_access:  read_only
        .address_space:  global
        .offset:         72
        .size:           8
        .value_kind:     global_buffer
      - .offset:         80
        .size:           8
        .value_kind:     by_value
      - .actual_access:  read_only
        .address_space:  global
        .offset:         88
        .size:           8
        .value_kind:     global_buffer
      - .actual_access:  read_only
        .address_space:  global
        .offset:         96
        .size:           8
        .value_kind:     global_buffer
      - .actual_access:  read_only
        .address_space:  global
        .offset:         104
        .size:           8
        .value_kind:     global_buffer
      - .actual_access:  read_only
        .address_space:  global
        .offset:         112
        .size:           8
        .value_kind:     global_buffer
      - .actual_access:  write_only
        .address_space:  global
        .offset:         120
        .size:           8
        .value_kind:     global_buffer
      - .actual_access:  write_only
        .address_space:  global
        .offset:         128
        .size:           8
        .value_kind:     global_buffer
      - .offset:         136
        .size:           4
        .value_kind:     by_value
      - .offset:         140
        .size:           4
        .value_kind:     by_value
      - .offset:         144
        .size:           4
        .value_kind:     by_value
      - .offset:         148
        .size:           4
        .value_kind:     by_value
      - .offset:         152
        .size:           1
        .value_kind:     by_value
      - .offset:         153
        .size:           1
        .value_kind:     by_value
      - .offset:         154
        .size:           1
        .value_kind:     by_value
    .group_segment_fixed_size: 0
    .kernarg_segment_align: 8
    .kernarg_segment_size: 156
    .language:       OpenCL C
    .language_version:
      - 2
      - 0
    .max_flat_workgroup_size: 256
    .name:           _ZN9rocsparseL26csrgemm_fill_block_per_rowILj256ELj32ELj512ELj137ELj32EiidEEvT5_PKS1_S3_NS_24const_host_device_scalarIT6_EEPKT4_S3_PKS5_S9_S3_SB_S6_S9_S3_SB_S9_PS1_PS5_21rocsparse_index_base_SE_SE_SE_bbb
    .private_segment_fixed_size: 0
    .sgpr_count:     46
    .sgpr_spill_count: 0
    .symbol:         _ZN9rocsparseL26csrgemm_fill_block_per_rowILj256ELj32ELj512ELj137ELj32EiidEEvT5_PKS1_S3_NS_24const_host_device_scalarIT6_EEPKT4_S3_PKS5_S9_S3_SB_S6_S9_S3_SB_S9_PS1_PS5_21rocsparse_index_base_SE_SE_SE_bbb.kd
    .uniform_work_group_size: 1
    .uses_dynamic_stack: false
    .vgpr_count:     24
    .vgpr_spill_count: 0
    .wavefront_size: 32
    .workgroup_processor_mode: 1
  - .args:
      - .offset:         0
        .size:           4
        .value_kind:     by_value
      - .actual_access:  read_only
        .address_space:  global
        .offset:         8
        .size:           8
        .value_kind:     global_buffer
      - .actual_access:  read_only
        .address_space:  global
        .offset:         16
        .size:           8
        .value_kind:     global_buffer
      - .offset:         24
        .size:           8
        .value_kind:     by_value
      - .actual_access:  read_only
        .address_space:  global
        .offset:         32
        .size:           8
        .value_kind:     global_buffer
      - .actual_access:  read_only
        .address_space:  global
        .offset:         40
        .size:           8
        .value_kind:     global_buffer
      - .actual_access:  read_only
        .address_space:  global
        .offset:         48
        .size:           8
        .value_kind:     global_buffer
      - .actual_access:  read_only
        .address_space:  global
        .offset:         56
        .size:           8
        .value_kind:     global_buffer
      - .actual_access:  read_only
        .address_space:  global
        .offset:         64
        .size:           8
        .value_kind:     global_buffer
      - .actual_access:  read_only
        .address_space:  global
        .offset:         72
        .size:           8
        .value_kind:     global_buffer
      - .offset:         80
        .size:           8
        .value_kind:     by_value
      - .actual_access:  read_only
        .address_space:  global
        .offset:         88
        .size:           8
        .value_kind:     global_buffer
      - .actual_access:  read_only
        .address_space:  global
        .offset:         96
        .size:           8
        .value_kind:     global_buffer
      - .actual_access:  read_only
        .address_space:  global
        .offset:         104
        .size:           8
        .value_kind:     global_buffer
      - .actual_access:  read_only
        .address_space:  global
        .offset:         112
        .size:           8
        .value_kind:     global_buffer
      - .actual_access:  write_only
        .address_space:  global
        .offset:         120
        .size:           8
        .value_kind:     global_buffer
      - .actual_access:  write_only
        .address_space:  global
        .offset:         128
        .size:           8
        .value_kind:     global_buffer
      - .offset:         136
        .size:           4
        .value_kind:     by_value
      - .offset:         140
        .size:           4
        .value_kind:     by_value
      - .offset:         144
        .size:           4
        .value_kind:     by_value
      - .offset:         148
        .size:           4
        .value_kind:     by_value
      - .offset:         152
        .size:           1
        .value_kind:     by_value
      - .offset:         153
        .size:           1
        .value_kind:     by_value
      - .offset:         154
        .size:           1
        .value_kind:     by_value
    .group_segment_fixed_size: 0
    .kernarg_segment_align: 8
    .kernarg_segment_size: 156
    .language:       OpenCL C
    .language_version:
      - 2
      - 0
    .max_flat_workgroup_size: 256
    .name:           _ZN9rocsparseL26csrgemm_fill_block_per_rowILj256ELj32ELj512ELj137ELj64EiidEEvT5_PKS1_S3_NS_24const_host_device_scalarIT6_EEPKT4_S3_PKS5_S9_S3_SB_S6_S9_S3_SB_S9_PS1_PS5_21rocsparse_index_base_SE_SE_SE_bbb
    .private_segment_fixed_size: 0
    .sgpr_count:     46
    .sgpr_spill_count: 0
    .symbol:         _ZN9rocsparseL26csrgemm_fill_block_per_rowILj256ELj32ELj512ELj137ELj64EiidEEvT5_PKS1_S3_NS_24const_host_device_scalarIT6_EEPKT4_S3_PKS5_S9_S3_SB_S6_S9_S3_SB_S9_PS1_PS5_21rocsparse_index_base_SE_SE_SE_bbb.kd
    .uniform_work_group_size: 1
    .uses_dynamic_stack: false
    .vgpr_count:     23
    .vgpr_spill_count: 0
    .wavefront_size: 32
    .workgroup_processor_mode: 1
  - .args:
      - .offset:         0
        .size:           4
        .value_kind:     by_value
      - .actual_access:  read_only
        .address_space:  global
        .offset:         8
        .size:           8
        .value_kind:     global_buffer
      - .actual_access:  read_only
        .address_space:  global
        .offset:         16
        .size:           8
        .value_kind:     global_buffer
      - .offset:         24
        .size:           8
        .value_kind:     by_value
      - .actual_access:  read_only
        .address_space:  global
        .offset:         32
        .size:           8
        .value_kind:     global_buffer
      - .actual_access:  read_only
        .address_space:  global
        .offset:         40
        .size:           8
        .value_kind:     global_buffer
      - .actual_access:  read_only
        .address_space:  global
        .offset:         48
        .size:           8
        .value_kind:     global_buffer
      - .actual_access:  read_only
        .address_space:  global
        .offset:         56
        .size:           8
        .value_kind:     global_buffer
      - .actual_access:  read_only
        .address_space:  global
        .offset:         64
        .size:           8
        .value_kind:     global_buffer
      - .actual_access:  read_only
        .address_space:  global
        .offset:         72
        .size:           8
        .value_kind:     global_buffer
      - .offset:         80
        .size:           8
        .value_kind:     by_value
      - .actual_access:  read_only
        .address_space:  global
        .offset:         88
        .size:           8
        .value_kind:     global_buffer
      - .actual_access:  read_only
        .address_space:  global
        .offset:         96
        .size:           8
        .value_kind:     global_buffer
      - .actual_access:  read_only
        .address_space:  global
        .offset:         104
        .size:           8
        .value_kind:     global_buffer
      - .actual_access:  read_only
        .address_space:  global
        .offset:         112
        .size:           8
        .value_kind:     global_buffer
      - .actual_access:  write_only
        .address_space:  global
        .offset:         120
        .size:           8
        .value_kind:     global_buffer
      - .actual_access:  write_only
        .address_space:  global
        .offset:         128
        .size:           8
        .value_kind:     global_buffer
      - .offset:         136
        .size:           4
        .value_kind:     by_value
      - .offset:         140
        .size:           4
        .value_kind:     by_value
      - .offset:         144
        .size:           4
        .value_kind:     by_value
      - .offset:         148
        .size:           4
        .value_kind:     by_value
      - .offset:         152
        .size:           1
        .value_kind:     by_value
      - .offset:         153
        .size:           1
        .value_kind:     by_value
      - .offset:         154
        .size:           1
        .value_kind:     by_value
    .group_segment_fixed_size: 0
    .kernarg_segment_align: 8
    .kernarg_segment_size: 156
    .language:       OpenCL C
    .language_version:
      - 2
      - 0
    .max_flat_workgroup_size: 512
    .name:           _ZN9rocsparseL26csrgemm_fill_block_per_rowILj512ELj32ELj1024ELj137ELj32EiidEEvT5_PKS1_S3_NS_24const_host_device_scalarIT6_EEPKT4_S3_PKS5_S9_S3_SB_S6_S9_S3_SB_S9_PS1_PS5_21rocsparse_index_base_SE_SE_SE_bbb
    .private_segment_fixed_size: 0
    .sgpr_count:     46
    .sgpr_spill_count: 0
    .symbol:         _ZN9rocsparseL26csrgemm_fill_block_per_rowILj512ELj32ELj1024ELj137ELj32EiidEEvT5_PKS1_S3_NS_24const_host_device_scalarIT6_EEPKT4_S3_PKS5_S9_S3_SB_S6_S9_S3_SB_S9_PS1_PS5_21rocsparse_index_base_SE_SE_SE_bbb.kd
    .uniform_work_group_size: 1
    .uses_dynamic_stack: false
    .vgpr_count:     24
    .vgpr_spill_count: 0
    .wavefront_size: 32
    .workgroup_processor_mode: 1
  - .args:
      - .offset:         0
        .size:           4
        .value_kind:     by_value
      - .actual_access:  read_only
        .address_space:  global
        .offset:         8
        .size:           8
        .value_kind:     global_buffer
      - .actual_access:  read_only
        .address_space:  global
        .offset:         16
        .size:           8
        .value_kind:     global_buffer
      - .offset:         24
        .size:           8
        .value_kind:     by_value
      - .actual_access:  read_only
        .address_space:  global
        .offset:         32
        .size:           8
        .value_kind:     global_buffer
      - .actual_access:  read_only
        .address_space:  global
        .offset:         40
        .size:           8
        .value_kind:     global_buffer
      - .actual_access:  read_only
        .address_space:  global
        .offset:         48
        .size:           8
        .value_kind:     global_buffer
      - .actual_access:  read_only
        .address_space:  global
        .offset:         56
        .size:           8
        .value_kind:     global_buffer
      - .actual_access:  read_only
        .address_space:  global
        .offset:         64
        .size:           8
        .value_kind:     global_buffer
      - .actual_access:  read_only
        .address_space:  global
        .offset:         72
        .size:           8
        .value_kind:     global_buffer
      - .offset:         80
        .size:           8
        .value_kind:     by_value
      - .actual_access:  read_only
        .address_space:  global
        .offset:         88
        .size:           8
        .value_kind:     global_buffer
      - .actual_access:  read_only
        .address_space:  global
        .offset:         96
        .size:           8
        .value_kind:     global_buffer
      - .actual_access:  read_only
        .address_space:  global
        .offset:         104
        .size:           8
        .value_kind:     global_buffer
      - .actual_access:  read_only
        .address_space:  global
        .offset:         112
        .size:           8
        .value_kind:     global_buffer
      - .actual_access:  write_only
        .address_space:  global
        .offset:         120
        .size:           8
        .value_kind:     global_buffer
      - .actual_access:  write_only
        .address_space:  global
        .offset:         128
        .size:           8
        .value_kind:     global_buffer
      - .offset:         136
        .size:           4
        .value_kind:     by_value
      - .offset:         140
        .size:           4
        .value_kind:     by_value
      - .offset:         144
        .size:           4
        .value_kind:     by_value
      - .offset:         148
        .size:           4
        .value_kind:     by_value
      - .offset:         152
        .size:           1
        .value_kind:     by_value
      - .offset:         153
        .size:           1
        .value_kind:     by_value
      - .offset:         154
        .size:           1
        .value_kind:     by_value
    .group_segment_fixed_size: 0
    .kernarg_segment_align: 8
    .kernarg_segment_size: 156
    .language:       OpenCL C
    .language_version:
      - 2
      - 0
    .max_flat_workgroup_size: 512
    .name:           _ZN9rocsparseL26csrgemm_fill_block_per_rowILj512ELj32ELj1024ELj137ELj64EiidEEvT5_PKS1_S3_NS_24const_host_device_scalarIT6_EEPKT4_S3_PKS5_S9_S3_SB_S6_S9_S3_SB_S9_PS1_PS5_21rocsparse_index_base_SE_SE_SE_bbb
    .private_segment_fixed_size: 0
    .sgpr_count:     46
    .sgpr_spill_count: 0
    .symbol:         _ZN9rocsparseL26csrgemm_fill_block_per_rowILj512ELj32ELj1024ELj137ELj64EiidEEvT5_PKS1_S3_NS_24const_host_device_scalarIT6_EEPKT4_S3_PKS5_S9_S3_SB_S6_S9_S3_SB_S9_PS1_PS5_21rocsparse_index_base_SE_SE_SE_bbb.kd
    .uniform_work_group_size: 1
    .uses_dynamic_stack: false
    .vgpr_count:     23
    .vgpr_spill_count: 0
    .wavefront_size: 32
    .workgroup_processor_mode: 1
  - .args:
      - .offset:         0
        .size:           4
        .value_kind:     by_value
      - .actual_access:  read_only
        .address_space:  global
        .offset:         8
        .size:           8
        .value_kind:     global_buffer
      - .actual_access:  read_only
        .address_space:  global
        .offset:         16
        .size:           8
        .value_kind:     global_buffer
      - .offset:         24
        .size:           8
        .value_kind:     by_value
      - .actual_access:  read_only
        .address_space:  global
        .offset:         32
        .size:           8
        .value_kind:     global_buffer
      - .actual_access:  read_only
        .address_space:  global
        .offset:         40
        .size:           8
        .value_kind:     global_buffer
      - .actual_access:  read_only
        .address_space:  global
        .offset:         48
        .size:           8
        .value_kind:     global_buffer
      - .actual_access:  read_only
        .address_space:  global
        .offset:         56
        .size:           8
        .value_kind:     global_buffer
      - .actual_access:  read_only
        .address_space:  global
        .offset:         64
        .size:           8
        .value_kind:     global_buffer
      - .actual_access:  read_only
        .address_space:  global
        .offset:         72
        .size:           8
        .value_kind:     global_buffer
      - .offset:         80
        .size:           8
        .value_kind:     by_value
      - .actual_access:  read_only
        .address_space:  global
        .offset:         88
        .size:           8
        .value_kind:     global_buffer
      - .actual_access:  read_only
        .address_space:  global
        .offset:         96
        .size:           8
        .value_kind:     global_buffer
      - .actual_access:  read_only
        .address_space:  global
        .offset:         104
        .size:           8
        .value_kind:     global_buffer
      - .actual_access:  read_only
        .address_space:  global
        .offset:         112
        .size:           8
        .value_kind:     global_buffer
      - .actual_access:  write_only
        .address_space:  global
        .offset:         120
        .size:           8
        .value_kind:     global_buffer
      - .actual_access:  write_only
        .address_space:  global
        .offset:         128
        .size:           8
        .value_kind:     global_buffer
      - .offset:         136
        .size:           4
        .value_kind:     by_value
      - .offset:         140
        .size:           4
        .value_kind:     by_value
      - .offset:         144
        .size:           4
        .value_kind:     by_value
      - .offset:         148
        .size:           4
        .value_kind:     by_value
      - .offset:         152
        .size:           1
        .value_kind:     by_value
      - .offset:         153
        .size:           1
        .value_kind:     by_value
      - .offset:         154
        .size:           1
        .value_kind:     by_value
    .group_segment_fixed_size: 0
    .kernarg_segment_align: 8
    .kernarg_segment_size: 156
    .language:       OpenCL C
    .language_version:
      - 2
      - 0
    .max_flat_workgroup_size: 1024
    .name:           _ZN9rocsparseL26csrgemm_fill_block_per_rowILj1024ELj32ELj2048ELj137ELj32EiidEEvT5_PKS1_S3_NS_24const_host_device_scalarIT6_EEPKT4_S3_PKS5_S9_S3_SB_S6_S9_S3_SB_S9_PS1_PS5_21rocsparse_index_base_SE_SE_SE_bbb
    .private_segment_fixed_size: 0
    .sgpr_count:     54
    .sgpr_spill_count: 0
    .symbol:         _ZN9rocsparseL26csrgemm_fill_block_per_rowILj1024ELj32ELj2048ELj137ELj32EiidEEvT5_PKS1_S3_NS_24const_host_device_scalarIT6_EEPKT4_S3_PKS5_S9_S3_SB_S6_S9_S3_SB_S9_PS1_PS5_21rocsparse_index_base_SE_SE_SE_bbb.kd
    .uniform_work_group_size: 1
    .uses_dynamic_stack: false
    .vgpr_count:     24
    .vgpr_spill_count: 0
    .wavefront_size: 32
    .workgroup_processor_mode: 1
  - .args:
      - .offset:         0
        .size:           4
        .value_kind:     by_value
      - .actual_access:  read_only
        .address_space:  global
        .offset:         8
        .size:           8
        .value_kind:     global_buffer
      - .actual_access:  read_only
        .address_space:  global
        .offset:         16
        .size:           8
        .value_kind:     global_buffer
      - .offset:         24
        .size:           8
        .value_kind:     by_value
      - .actual_access:  read_only
        .address_space:  global
        .offset:         32
        .size:           8
        .value_kind:     global_buffer
      - .actual_access:  read_only
        .address_space:  global
        .offset:         40
        .size:           8
        .value_kind:     global_buffer
      - .actual_access:  read_only
        .address_space:  global
        .offset:         48
        .size:           8
        .value_kind:     global_buffer
      - .actual_access:  read_only
        .address_space:  global
        .offset:         56
        .size:           8
        .value_kind:     global_buffer
      - .actual_access:  read_only
        .address_space:  global
        .offset:         64
        .size:           8
        .value_kind:     global_buffer
      - .actual_access:  read_only
        .address_space:  global
        .offset:         72
        .size:           8
        .value_kind:     global_buffer
      - .offset:         80
        .size:           8
        .value_kind:     by_value
      - .actual_access:  read_only
        .address_space:  global
        .offset:         88
        .size:           8
        .value_kind:     global_buffer
      - .actual_access:  read_only
        .address_space:  global
        .offset:         96
        .size:           8
        .value_kind:     global_buffer
      - .actual_access:  read_only
        .address_space:  global
        .offset:         104
        .size:           8
        .value_kind:     global_buffer
      - .actual_access:  read_only
        .address_space:  global
        .offset:         112
        .size:           8
        .value_kind:     global_buffer
      - .actual_access:  write_only
        .address_space:  global
        .offset:         120
        .size:           8
        .value_kind:     global_buffer
      - .actual_access:  write_only
        .address_space:  global
        .offset:         128
        .size:           8
        .value_kind:     global_buffer
      - .offset:         136
        .size:           4
        .value_kind:     by_value
      - .offset:         140
        .size:           4
        .value_kind:     by_value
      - .offset:         144
        .size:           4
        .value_kind:     by_value
      - .offset:         148
        .size:           4
        .value_kind:     by_value
      - .offset:         152
        .size:           1
        .value_kind:     by_value
      - .offset:         153
        .size:           1
        .value_kind:     by_value
      - .offset:         154
        .size:           1
        .value_kind:     by_value
    .group_segment_fixed_size: 0
    .kernarg_segment_align: 8
    .kernarg_segment_size: 156
    .language:       OpenCL C
    .language_version:
      - 2
      - 0
    .max_flat_workgroup_size: 1024
    .name:           _ZN9rocsparseL26csrgemm_fill_block_per_rowILj1024ELj32ELj2048ELj137ELj64EiidEEvT5_PKS1_S3_NS_24const_host_device_scalarIT6_EEPKT4_S3_PKS5_S9_S3_SB_S6_S9_S3_SB_S9_PS1_PS5_21rocsparse_index_base_SE_SE_SE_bbb
    .private_segment_fixed_size: 0
    .sgpr_count:     46
    .sgpr_spill_count: 0
    .symbol:         _ZN9rocsparseL26csrgemm_fill_block_per_rowILj1024ELj32ELj2048ELj137ELj64EiidEEvT5_PKS1_S3_NS_24const_host_device_scalarIT6_EEPKT4_S3_PKS5_S9_S3_SB_S6_S9_S3_SB_S9_PS1_PS5_21rocsparse_index_base_SE_SE_SE_bbb.kd
    .uniform_work_group_size: 1
    .uses_dynamic_stack: false
    .vgpr_count:     23
    .vgpr_spill_count: 0
    .wavefront_size: 32
    .workgroup_processor_mode: 1
  - .args:
      - .offset:         0
        .size:           4
        .value_kind:     by_value
      - .actual_access:  read_only
        .address_space:  global
        .offset:         8
        .size:           8
        .value_kind:     global_buffer
      - .actual_access:  read_only
        .address_space:  global
        .offset:         16
        .size:           8
        .value_kind:     global_buffer
      - .offset:         24
        .size:           8
        .value_kind:     by_value
      - .actual_access:  read_only
        .address_space:  global
        .offset:         32
        .size:           8
        .value_kind:     global_buffer
      - .actual_access:  read_only
        .address_space:  global
        .offset:         40
        .size:           8
        .value_kind:     global_buffer
      - .actual_access:  read_only
        .address_space:  global
        .offset:         48
        .size:           8
        .value_kind:     global_buffer
      - .actual_access:  read_only
        .address_space:  global
        .offset:         56
        .size:           8
        .value_kind:     global_buffer
      - .actual_access:  read_only
        .address_space:  global
        .offset:         64
        .size:           8
        .value_kind:     global_buffer
      - .actual_access:  read_only
        .address_space:  global
        .offset:         72
        .size:           8
        .value_kind:     global_buffer
      - .offset:         80
        .size:           8
        .value_kind:     by_value
      - .actual_access:  read_only
        .address_space:  global
        .offset:         88
        .size:           8
        .value_kind:     global_buffer
      - .actual_access:  read_only
        .address_space:  global
        .offset:         96
        .size:           8
        .value_kind:     global_buffer
      - .actual_access:  read_only
        .address_space:  global
        .offset:         104
        .size:           8
        .value_kind:     global_buffer
      - .actual_access:  read_only
        .address_space:  global
        .offset:         112
        .size:           8
        .value_kind:     global_buffer
      - .actual_access:  write_only
        .address_space:  global
        .offset:         120
        .size:           8
        .value_kind:     global_buffer
      - .actual_access:  write_only
        .address_space:  global
        .offset:         128
        .size:           8
        .value_kind:     global_buffer
      - .offset:         136
        .size:           4
        .value_kind:     by_value
      - .offset:         140
        .size:           4
        .value_kind:     by_value
      - .offset:         144
        .size:           4
        .value_kind:     by_value
      - .offset:         148
        .size:           4
        .value_kind:     by_value
      - .offset:         152
        .size:           1
        .value_kind:     by_value
      - .offset:         153
        .size:           1
        .value_kind:     by_value
      - .offset:         154
        .size:           1
        .value_kind:     by_value
    .group_segment_fixed_size: 0
    .kernarg_segment_align: 8
    .kernarg_segment_size: 156
    .language:       OpenCL C
    .language_version:
      - 2
      - 0
    .max_flat_workgroup_size: 1024
    .name:           _ZN9rocsparseL26csrgemm_fill_block_per_rowILj1024ELj64ELj4096ELj137ELj32EiidEEvT5_PKS1_S3_NS_24const_host_device_scalarIT6_EEPKT4_S3_PKS5_S9_S3_SB_S6_S9_S3_SB_S9_PS1_PS5_21rocsparse_index_base_SE_SE_SE_bbb
    .private_segment_fixed_size: 0
    .sgpr_count:     54
    .sgpr_spill_count: 0
    .symbol:         _ZN9rocsparseL26csrgemm_fill_block_per_rowILj1024ELj64ELj4096ELj137ELj32EiidEEvT5_PKS1_S3_NS_24const_host_device_scalarIT6_EEPKT4_S3_PKS5_S9_S3_SB_S6_S9_S3_SB_S9_PS1_PS5_21rocsparse_index_base_SE_SE_SE_bbb.kd
    .uniform_work_group_size: 1
    .uses_dynamic_stack: false
    .vgpr_count:     23
    .vgpr_spill_count: 0
    .wavefront_size: 32
    .workgroup_processor_mode: 1
  - .args:
      - .offset:         0
        .size:           4
        .value_kind:     by_value
      - .actual_access:  read_only
        .address_space:  global
        .offset:         8
        .size:           8
        .value_kind:     global_buffer
      - .actual_access:  read_only
        .address_space:  global
        .offset:         16
        .size:           8
        .value_kind:     global_buffer
      - .offset:         24
        .size:           8
        .value_kind:     by_value
      - .actual_access:  read_only
        .address_space:  global
        .offset:         32
        .size:           8
        .value_kind:     global_buffer
      - .actual_access:  read_only
        .address_space:  global
        .offset:         40
        .size:           8
        .value_kind:     global_buffer
      - .actual_access:  read_only
        .address_space:  global
        .offset:         48
        .size:           8
        .value_kind:     global_buffer
      - .actual_access:  read_only
        .address_space:  global
        .offset:         56
        .size:           8
        .value_kind:     global_buffer
      - .actual_access:  read_only
        .address_space:  global
        .offset:         64
        .size:           8
        .value_kind:     global_buffer
      - .actual_access:  read_only
        .address_space:  global
        .offset:         72
        .size:           8
        .value_kind:     global_buffer
      - .offset:         80
        .size:           8
        .value_kind:     by_value
      - .actual_access:  read_only
        .address_space:  global
        .offset:         88
        .size:           8
        .value_kind:     global_buffer
      - .actual_access:  read_only
        .address_space:  global
        .offset:         96
        .size:           8
        .value_kind:     global_buffer
      - .actual_access:  read_only
        .address_space:  global
        .offset:         104
        .size:           8
        .value_kind:     global_buffer
      - .actual_access:  read_only
        .address_space:  global
        .offset:         112
        .size:           8
        .value_kind:     global_buffer
      - .actual_access:  write_only
        .address_space:  global
        .offset:         120
        .size:           8
        .value_kind:     global_buffer
      - .actual_access:  write_only
        .address_space:  global
        .offset:         128
        .size:           8
        .value_kind:     global_buffer
      - .offset:         136
        .size:           4
        .value_kind:     by_value
      - .offset:         140
        .size:           4
        .value_kind:     by_value
      - .offset:         144
        .size:           4
        .value_kind:     by_value
      - .offset:         148
        .size:           4
        .value_kind:     by_value
      - .offset:         152
        .size:           1
        .value_kind:     by_value
      - .offset:         153
        .size:           1
        .value_kind:     by_value
      - .offset:         154
        .size:           1
        .value_kind:     by_value
    .group_segment_fixed_size: 0
    .kernarg_segment_align: 8
    .kernarg_segment_size: 156
    .language:       OpenCL C
    .language_version:
      - 2
      - 0
    .max_flat_workgroup_size: 1024
    .name:           _ZN9rocsparseL26csrgemm_fill_block_per_rowILj1024ELj64ELj4096ELj137ELj64EiidEEvT5_PKS1_S3_NS_24const_host_device_scalarIT6_EEPKT4_S3_PKS5_S9_S3_SB_S6_S9_S3_SB_S9_PS1_PS5_21rocsparse_index_base_SE_SE_SE_bbb
    .private_segment_fixed_size: 0
    .sgpr_count:     46
    .sgpr_spill_count: 0
    .symbol:         _ZN9rocsparseL26csrgemm_fill_block_per_rowILj1024ELj64ELj4096ELj137ELj64EiidEEvT5_PKS1_S3_NS_24const_host_device_scalarIT6_EEPKT4_S3_PKS5_S9_S3_SB_S6_S9_S3_SB_S9_PS1_PS5_21rocsparse_index_base_SE_SE_SE_bbb.kd
    .uniform_work_group_size: 1
    .uses_dynamic_stack: false
    .vgpr_count:     24
    .vgpr_spill_count: 0
    .wavefront_size: 32
    .workgroup_processor_mode: 1
  - .args:
      - .offset:         0
        .size:           4
        .value_kind:     by_value
      - .actual_access:  read_only
        .address_space:  global
        .offset:         8
        .size:           8
        .value_kind:     global_buffer
      - .actual_access:  read_only
        .address_space:  global
        .offset:         16
        .size:           8
        .value_kind:     global_buffer
      - .offset:         24
        .size:           8
        .value_kind:     by_value
      - .actual_access:  read_only
        .address_space:  global
        .offset:         32
        .size:           8
        .value_kind:     global_buffer
      - .actual_access:  read_only
        .address_space:  global
        .offset:         40
        .size:           8
        .value_kind:     global_buffer
      - .actual_access:  read_only
        .address_space:  global
        .offset:         48
        .size:           8
        .value_kind:     global_buffer
      - .actual_access:  read_only
        .address_space:  global
        .offset:         56
        .size:           8
        .value_kind:     global_buffer
      - .actual_access:  read_only
        .address_space:  global
        .offset:         64
        .size:           8
        .value_kind:     global_buffer
      - .actual_access:  read_only
        .address_space:  global
        .offset:         72
        .size:           8
        .value_kind:     global_buffer
      - .offset:         80
        .size:           8
        .value_kind:     by_value
      - .actual_access:  read_only
        .address_space:  global
        .offset:         88
        .size:           8
        .value_kind:     global_buffer
      - .actual_access:  read_only
        .address_space:  global
        .offset:         96
        .size:           8
        .value_kind:     global_buffer
      - .actual_access:  read_only
        .address_space:  global
        .offset:         104
        .size:           8
        .value_kind:     global_buffer
      - .actual_access:  read_only
        .address_space:  global
        .offset:         112
        .size:           8
        .value_kind:     global_buffer
      - .actual_access:  write_only
        .address_space:  global
        .offset:         120
        .size:           8
        .value_kind:     global_buffer
      - .actual_access:  write_only
        .address_space:  global
        .offset:         128
        .size:           8
        .value_kind:     global_buffer
      - .offset:         136
        .size:           4
        .value_kind:     by_value
      - .offset:         140
        .size:           4
        .value_kind:     by_value
      - .offset:         144
        .size:           4
        .value_kind:     by_value
      - .offset:         148
        .size:           4
        .value_kind:     by_value
      - .offset:         152
        .size:           1
        .value_kind:     by_value
      - .offset:         153
        .size:           1
        .value_kind:     by_value
      - .offset:         154
        .size:           1
        .value_kind:     by_value
    .group_segment_fixed_size: 0
    .kernarg_segment_align: 8
    .kernarg_segment_size: 156
    .language:       OpenCL C
    .language_version:
      - 2
      - 0
    .max_flat_workgroup_size: 1024
    .name:           _ZN9rocsparseL26csrgemm_fill_block_per_rowILj1024ELj64ELj8192ELj137ELj32EiidEEvT5_PKS1_S3_NS_24const_host_device_scalarIT6_EEPKT4_S3_PKS5_S9_S3_SB_S6_S9_S3_SB_S9_PS1_PS5_21rocsparse_index_base_SE_SE_SE_bbb
    .private_segment_fixed_size: 0
    .sgpr_count:     78
    .sgpr_spill_count: 0
    .symbol:         _ZN9rocsparseL26csrgemm_fill_block_per_rowILj1024ELj64ELj8192ELj137ELj32EiidEEvT5_PKS1_S3_NS_24const_host_device_scalarIT6_EEPKT4_S3_PKS5_S9_S3_SB_S6_S9_S3_SB_S9_PS1_PS5_21rocsparse_index_base_SE_SE_SE_bbb.kd
    .uniform_work_group_size: 1
    .uses_dynamic_stack: false
    .vgpr_count:     22
    .vgpr_spill_count: 0
    .wavefront_size: 32
    .workgroup_processor_mode: 1
  - .args:
      - .offset:         0
        .size:           4
        .value_kind:     by_value
      - .actual_access:  read_only
        .address_space:  global
        .offset:         8
        .size:           8
        .value_kind:     global_buffer
      - .actual_access:  read_only
        .address_space:  global
        .offset:         16
        .size:           8
        .value_kind:     global_buffer
      - .offset:         24
        .size:           8
        .value_kind:     by_value
      - .actual_access:  read_only
        .address_space:  global
        .offset:         32
        .size:           8
        .value_kind:     global_buffer
      - .actual_access:  read_only
        .address_space:  global
        .offset:         40
        .size:           8
        .value_kind:     global_buffer
      - .actual_access:  read_only
        .address_space:  global
        .offset:         48
        .size:           8
        .value_kind:     global_buffer
      - .actual_access:  read_only
        .address_space:  global
        .offset:         56
        .size:           8
        .value_kind:     global_buffer
      - .actual_access:  read_only
        .address_space:  global
        .offset:         64
        .size:           8
        .value_kind:     global_buffer
      - .actual_access:  read_only
        .address_space:  global
        .offset:         72
        .size:           8
        .value_kind:     global_buffer
      - .offset:         80
        .size:           8
        .value_kind:     by_value
      - .actual_access:  read_only
        .address_space:  global
        .offset:         88
        .size:           8
        .value_kind:     global_buffer
      - .actual_access:  read_only
        .address_space:  global
        .offset:         96
        .size:           8
        .value_kind:     global_buffer
      - .actual_access:  read_only
        .address_space:  global
        .offset:         104
        .size:           8
        .value_kind:     global_buffer
      - .actual_access:  read_only
        .address_space:  global
        .offset:         112
        .size:           8
        .value_kind:     global_buffer
      - .actual_access:  write_only
        .address_space:  global
        .offset:         120
        .size:           8
        .value_kind:     global_buffer
      - .actual_access:  write_only
        .address_space:  global
        .offset:         128
        .size:           8
        .value_kind:     global_buffer
      - .offset:         136
        .size:           4
        .value_kind:     by_value
      - .offset:         140
        .size:           4
        .value_kind:     by_value
      - .offset:         144
        .size:           4
        .value_kind:     by_value
      - .offset:         148
        .size:           4
        .value_kind:     by_value
      - .offset:         152
        .size:           1
        .value_kind:     by_value
      - .offset:         153
        .size:           1
        .value_kind:     by_value
      - .offset:         154
        .size:           1
        .value_kind:     by_value
    .group_segment_fixed_size: 0
    .kernarg_segment_align: 8
    .kernarg_segment_size: 156
    .language:       OpenCL C
    .language_version:
      - 2
      - 0
    .max_flat_workgroup_size: 1024
    .name:           _ZN9rocsparseL26csrgemm_fill_block_per_rowILj1024ELj64ELj8192ELj137ELj64EiidEEvT5_PKS1_S3_NS_24const_host_device_scalarIT6_EEPKT4_S3_PKS5_S9_S3_SB_S6_S9_S3_SB_S9_PS1_PS5_21rocsparse_index_base_SE_SE_SE_bbb
    .private_segment_fixed_size: 0
    .sgpr_count:     46
    .sgpr_spill_count: 0
    .symbol:         _ZN9rocsparseL26csrgemm_fill_block_per_rowILj1024ELj64ELj8192ELj137ELj64EiidEEvT5_PKS1_S3_NS_24const_host_device_scalarIT6_EEPKT4_S3_PKS5_S9_S3_SB_S6_S9_S3_SB_S9_PS1_PS5_21rocsparse_index_base_SE_SE_SE_bbb.kd
    .uniform_work_group_size: 1
    .uses_dynamic_stack: false
    .vgpr_count:     23
    .vgpr_spill_count: 0
    .wavefront_size: 32
    .workgroup_processor_mode: 1
  - .args:
      - .offset:         0
        .size:           4
        .value_kind:     by_value
      - .actual_access:  read_only
        .address_space:  global
        .offset:         8
        .size:           8
        .value_kind:     global_buffer
      - .actual_access:  read_only
        .address_space:  global
        .offset:         16
        .size:           8
        .value_kind:     global_buffer
      - .offset:         24
        .size:           8
        .value_kind:     by_value
      - .actual_access:  read_only
        .address_space:  global
        .offset:         32
        .size:           8
        .value_kind:     global_buffer
      - .actual_access:  read_only
        .address_space:  global
        .offset:         40
        .size:           8
        .value_kind:     global_buffer
      - .actual_access:  read_only
        .address_space:  global
        .offset:         48
        .size:           8
        .value_kind:     global_buffer
      - .actual_access:  read_only
        .address_space:  global
        .offset:         56
        .size:           8
        .value_kind:     global_buffer
      - .actual_access:  read_only
        .address_space:  global
        .offset:         64
        .size:           8
        .value_kind:     global_buffer
      - .actual_access:  read_only
        .address_space:  global
        .offset:         72
        .size:           8
        .value_kind:     global_buffer
      - .offset:         80
        .size:           8
        .value_kind:     by_value
      - .actual_access:  read_only
        .address_space:  global
        .offset:         88
        .size:           8
        .value_kind:     global_buffer
      - .actual_access:  read_only
        .address_space:  global
        .offset:         96
        .size:           8
        .value_kind:     global_buffer
      - .actual_access:  read_only
        .address_space:  global
        .offset:         104
        .size:           8
        .value_kind:     global_buffer
      - .actual_access:  read_only
        .address_space:  global
        .offset:         112
        .size:           8
        .value_kind:     global_buffer
      - .actual_access:  write_only
        .address_space:  global
        .offset:         120
        .size:           8
        .value_kind:     global_buffer
      - .actual_access:  write_only
        .address_space:  global
        .offset:         128
        .size:           8
        .value_kind:     global_buffer
      - .offset:         136
        .size:           4
        .value_kind:     by_value
      - .offset:         140
        .size:           4
        .value_kind:     by_value
      - .offset:         144
        .size:           4
        .value_kind:     by_value
      - .offset:         148
        .size:           4
        .value_kind:     by_value
      - .offset:         152
        .size:           1
        .value_kind:     by_value
      - .offset:         153
        .size:           1
        .value_kind:     by_value
      - .offset:         154
        .size:           1
        .value_kind:     by_value
    .group_segment_fixed_size: 0
    .kernarg_segment_align: 8
    .kernarg_segment_size: 156
    .language:       OpenCL C
    .language_version:
      - 2
      - 0
    .max_flat_workgroup_size: 1024
    .name:           _ZN9rocsparseL26csrgemm_fill_block_per_rowILj1024ELj64ELj16384ELj137ELj32EiidEEvT5_PKS1_S3_NS_24const_host_device_scalarIT6_EEPKT4_S3_PKS5_S9_S3_SB_S6_S9_S3_SB_S9_PS1_PS5_21rocsparse_index_base_SE_SE_SE_bbb
    .private_segment_fixed_size: 0
    .sgpr_count:     78
    .sgpr_spill_count: 0
    .symbol:         _ZN9rocsparseL26csrgemm_fill_block_per_rowILj1024ELj64ELj16384ELj137ELj32EiidEEvT5_PKS1_S3_NS_24const_host_device_scalarIT6_EEPKT4_S3_PKS5_S9_S3_SB_S6_S9_S3_SB_S9_PS1_PS5_21rocsparse_index_base_SE_SE_SE_bbb.kd
    .uniform_work_group_size: 1
    .uses_dynamic_stack: false
    .vgpr_count:     23
    .vgpr_spill_count: 0
    .wavefront_size: 32
    .workgroup_processor_mode: 1
  - .args:
      - .offset:         0
        .size:           4
        .value_kind:     by_value
      - .actual_access:  read_only
        .address_space:  global
        .offset:         8
        .size:           8
        .value_kind:     global_buffer
      - .actual_access:  read_only
        .address_space:  global
        .offset:         16
        .size:           8
        .value_kind:     global_buffer
      - .offset:         24
        .size:           8
        .value_kind:     by_value
      - .actual_access:  read_only
        .address_space:  global
        .offset:         32
        .size:           8
        .value_kind:     global_buffer
      - .actual_access:  read_only
        .address_space:  global
        .offset:         40
        .size:           8
        .value_kind:     global_buffer
      - .actual_access:  read_only
        .address_space:  global
        .offset:         48
        .size:           8
        .value_kind:     global_buffer
      - .actual_access:  read_only
        .address_space:  global
        .offset:         56
        .size:           8
        .value_kind:     global_buffer
      - .actual_access:  read_only
        .address_space:  global
        .offset:         64
        .size:           8
        .value_kind:     global_buffer
      - .actual_access:  read_only
        .address_space:  global
        .offset:         72
        .size:           8
        .value_kind:     global_buffer
      - .offset:         80
        .size:           8
        .value_kind:     by_value
      - .actual_access:  read_only
        .address_space:  global
        .offset:         88
        .size:           8
        .value_kind:     global_buffer
      - .actual_access:  read_only
        .address_space:  global
        .offset:         96
        .size:           8
        .value_kind:     global_buffer
      - .actual_access:  read_only
        .address_space:  global
        .offset:         104
        .size:           8
        .value_kind:     global_buffer
      - .actual_access:  read_only
        .address_space:  global
        .offset:         112
        .size:           8
        .value_kind:     global_buffer
      - .actual_access:  write_only
        .address_space:  global
        .offset:         120
        .size:           8
        .value_kind:     global_buffer
      - .actual_access:  write_only
        .address_space:  global
        .offset:         128
        .size:           8
        .value_kind:     global_buffer
      - .offset:         136
        .size:           4
        .value_kind:     by_value
      - .offset:         140
        .size:           4
        .value_kind:     by_value
      - .offset:         144
        .size:           4
        .value_kind:     by_value
      - .offset:         148
        .size:           4
        .value_kind:     by_value
      - .offset:         152
        .size:           1
        .value_kind:     by_value
      - .offset:         153
        .size:           1
        .value_kind:     by_value
      - .offset:         154
        .size:           1
        .value_kind:     by_value
    .group_segment_fixed_size: 0
    .kernarg_segment_align: 8
    .kernarg_segment_size: 156
    .language:       OpenCL C
    .language_version:
      - 2
      - 0
    .max_flat_workgroup_size: 1024
    .name:           _ZN9rocsparseL26csrgemm_fill_block_per_rowILj1024ELj64ELj16384ELj137ELj64EiidEEvT5_PKS1_S3_NS_24const_host_device_scalarIT6_EEPKT4_S3_PKS5_S9_S3_SB_S6_S9_S3_SB_S9_PS1_PS5_21rocsparse_index_base_SE_SE_SE_bbb
    .private_segment_fixed_size: 0
    .sgpr_count:     46
    .sgpr_spill_count: 0
    .symbol:         _ZN9rocsparseL26csrgemm_fill_block_per_rowILj1024ELj64ELj16384ELj137ELj64EiidEEvT5_PKS1_S3_NS_24const_host_device_scalarIT6_EEPKT4_S3_PKS5_S9_S3_SB_S6_S9_S3_SB_S9_PS1_PS5_21rocsparse_index_base_SE_SE_SE_bbb.kd
    .uniform_work_group_size: 1
    .uses_dynamic_stack: false
    .vgpr_count:     24
    .vgpr_spill_count: 0
    .wavefront_size: 32
    .workgroup_processor_mode: 1
  - .args:
      - .offset:         0
        .size:           4
        .value_kind:     by_value
      - .actual_access:  read_only
        .address_space:  global
        .offset:         8
        .size:           8
        .value_kind:     global_buffer
      - .actual_access:  read_only
        .address_space:  global
        .offset:         16
        .size:           8
        .value_kind:     global_buffer
      - .offset:         24
        .size:           8
        .value_kind:     by_value
      - .actual_access:  read_only
        .address_space:  global
        .offset:         32
        .size:           8
        .value_kind:     global_buffer
      - .actual_access:  read_only
        .address_space:  global
        .offset:         40
        .size:           8
        .value_kind:     global_buffer
      - .actual_access:  read_only
        .address_space:  global
        .offset:         48
        .size:           8
        .value_kind:     global_buffer
      - .actual_access:  read_only
        .address_space:  global
        .offset:         56
        .size:           8
        .value_kind:     global_buffer
      - .actual_access:  read_only
        .address_space:  global
        .offset:         64
        .size:           8
        .value_kind:     global_buffer
      - .actual_access:  read_only
        .address_space:  global
        .offset:         72
        .size:           8
        .value_kind:     global_buffer
      - .offset:         80
        .size:           8
        .value_kind:     by_value
      - .actual_access:  read_only
        .address_space:  global
        .offset:         88
        .size:           8
        .value_kind:     global_buffer
      - .actual_access:  read_only
        .address_space:  global
        .offset:         96
        .size:           8
        .value_kind:     global_buffer
      - .actual_access:  read_only
        .address_space:  global
        .offset:         104
        .size:           8
        .value_kind:     global_buffer
      - .actual_access:  read_only
        .address_space:  global
        .offset:         112
        .size:           8
        .value_kind:     global_buffer
      - .actual_access:  write_only
        .address_space:  global
        .offset:         120
        .size:           8
        .value_kind:     global_buffer
      - .actual_access:  write_only
        .address_space:  global
        .offset:         128
        .size:           8
        .value_kind:     global_buffer
      - .offset:         136
        .size:           4
        .value_kind:     by_value
      - .offset:         140
        .size:           4
        .value_kind:     by_value
      - .offset:         144
        .size:           4
        .value_kind:     by_value
      - .offset:         148
        .size:           4
        .value_kind:     by_value
      - .offset:         152
        .size:           1
        .value_kind:     by_value
      - .offset:         153
        .size:           1
        .value_kind:     by_value
      - .offset:         154
        .size:           1
        .value_kind:     by_value
    .group_segment_fixed_size: 0
    .kernarg_segment_align: 8
    .kernarg_segment_size: 156
    .language:       OpenCL C
    .language_version:
      - 2
      - 0
    .max_flat_workgroup_size: 1024
    .name:           _ZN9rocsparseL26csrgemm_fill_block_per_rowILj1024ELj64ELj32768ELj137ELj32EiidEEvT5_PKS1_S3_NS_24const_host_device_scalarIT6_EEPKT4_S3_PKS5_S9_S3_SB_S6_S9_S3_SB_S9_PS1_PS5_21rocsparse_index_base_SE_SE_SE_bbb
    .private_segment_fixed_size: 0
    .sgpr_count:     78
    .sgpr_spill_count: 0
    .symbol:         _ZN9rocsparseL26csrgemm_fill_block_per_rowILj1024ELj64ELj32768ELj137ELj32EiidEEvT5_PKS1_S3_NS_24const_host_device_scalarIT6_EEPKT4_S3_PKS5_S9_S3_SB_S6_S9_S3_SB_S9_PS1_PS5_21rocsparse_index_base_SE_SE_SE_bbb.kd
    .uniform_work_group_size: 1
    .uses_dynamic_stack: false
    .vgpr_count:     23
    .vgpr_spill_count: 0
    .wavefront_size: 32
    .workgroup_processor_mode: 1
  - .args:
      - .offset:         0
        .size:           4
        .value_kind:     by_value
      - .actual_access:  read_only
        .address_space:  global
        .offset:         8
        .size:           8
        .value_kind:     global_buffer
      - .actual_access:  read_only
        .address_space:  global
        .offset:         16
        .size:           8
        .value_kind:     global_buffer
      - .offset:         24
        .size:           8
        .value_kind:     by_value
      - .actual_access:  read_only
        .address_space:  global
        .offset:         32
        .size:           8
        .value_kind:     global_buffer
      - .actual_access:  read_only
        .address_space:  global
        .offset:         40
        .size:           8
        .value_kind:     global_buffer
      - .actual_access:  read_only
        .address_space:  global
        .offset:         48
        .size:           8
        .value_kind:     global_buffer
      - .actual_access:  read_only
        .address_space:  global
        .offset:         56
        .size:           8
        .value_kind:     global_buffer
      - .actual_access:  read_only
        .address_space:  global
        .offset:         64
        .size:           8
        .value_kind:     global_buffer
      - .actual_access:  read_only
        .address_space:  global
        .offset:         72
        .size:           8
        .value_kind:     global_buffer
      - .offset:         80
        .size:           8
        .value_kind:     by_value
      - .actual_access:  read_only
        .address_space:  global
        .offset:         88
        .size:           8
        .value_kind:     global_buffer
      - .actual_access:  read_only
        .address_space:  global
        .offset:         96
        .size:           8
        .value_kind:     global_buffer
      - .actual_access:  read_only
        .address_space:  global
        .offset:         104
        .size:           8
        .value_kind:     global_buffer
      - .actual_access:  read_only
        .address_space:  global
        .offset:         112
        .size:           8
        .value_kind:     global_buffer
      - .actual_access:  write_only
        .address_space:  global
        .offset:         120
        .size:           8
        .value_kind:     global_buffer
      - .actual_access:  write_only
        .address_space:  global
        .offset:         128
        .size:           8
        .value_kind:     global_buffer
      - .offset:         136
        .size:           4
        .value_kind:     by_value
      - .offset:         140
        .size:           4
        .value_kind:     by_value
      - .offset:         144
        .size:           4
        .value_kind:     by_value
      - .offset:         148
        .size:           4
        .value_kind:     by_value
      - .offset:         152
        .size:           1
        .value_kind:     by_value
      - .offset:         153
        .size:           1
        .value_kind:     by_value
      - .offset:         154
        .size:           1
        .value_kind:     by_value
    .group_segment_fixed_size: 0
    .kernarg_segment_align: 8
    .kernarg_segment_size: 156
    .language:       OpenCL C
    .language_version:
      - 2
      - 0
    .max_flat_workgroup_size: 1024
    .name:           _ZN9rocsparseL26csrgemm_fill_block_per_rowILj1024ELj64ELj32768ELj137ELj64EiidEEvT5_PKS1_S3_NS_24const_host_device_scalarIT6_EEPKT4_S3_PKS5_S9_S3_SB_S6_S9_S3_SB_S9_PS1_PS5_21rocsparse_index_base_SE_SE_SE_bbb
    .private_segment_fixed_size: 0
    .sgpr_count:     46
    .sgpr_spill_count: 0
    .symbol:         _ZN9rocsparseL26csrgemm_fill_block_per_rowILj1024ELj64ELj32768ELj137ELj64EiidEEvT5_PKS1_S3_NS_24const_host_device_scalarIT6_EEPKT4_S3_PKS5_S9_S3_SB_S6_S9_S3_SB_S9_PS1_PS5_21rocsparse_index_base_SE_SE_SE_bbb.kd
    .uniform_work_group_size: 1
    .uses_dynamic_stack: false
    .vgpr_count:     24
    .vgpr_spill_count: 0
    .wavefront_size: 32
    .workgroup_processor_mode: 1
  - .args:
      - .offset:         0
        .size:           4
        .value_kind:     by_value
      - .actual_access:  read_only
        .address_space:  global
        .offset:         8
        .size:           8
        .value_kind:     global_buffer
      - .actual_access:  read_only
        .address_space:  global
        .offset:         16
        .size:           8
        .value_kind:     global_buffer
      - .offset:         24
        .size:           8
        .value_kind:     by_value
      - .actual_access:  read_only
        .address_space:  global
        .offset:         32
        .size:           8
        .value_kind:     global_buffer
      - .actual_access:  read_only
        .address_space:  global
        .offset:         40
        .size:           8
        .value_kind:     global_buffer
      - .actual_access:  read_only
        .address_space:  global
        .offset:         48
        .size:           8
        .value_kind:     global_buffer
      - .actual_access:  read_only
        .address_space:  global
        .offset:         56
        .size:           8
        .value_kind:     global_buffer
      - .actual_access:  read_only
        .address_space:  global
        .offset:         64
        .size:           8
        .value_kind:     global_buffer
      - .actual_access:  read_only
        .address_space:  global
        .offset:         72
        .size:           8
        .value_kind:     global_buffer
      - .offset:         80
        .size:           8
        .value_kind:     by_value
      - .actual_access:  read_only
        .address_space:  global
        .offset:         88
        .size:           8
        .value_kind:     global_buffer
      - .actual_access:  read_only
        .address_space:  global
        .offset:         96
        .size:           8
        .value_kind:     global_buffer
      - .actual_access:  read_only
        .address_space:  global
        .offset:         104
        .size:           8
        .value_kind:     global_buffer
      - .actual_access:  read_only
        .address_space:  global
        .offset:         112
        .size:           8
        .value_kind:     global_buffer
      - .actual_access:  write_only
        .address_space:  global
        .offset:         120
        .size:           8
        .value_kind:     global_buffer
      - .actual_access:  write_only
        .address_space:  global
        .offset:         128
        .size:           8
        .value_kind:     global_buffer
      - .address_space:  global
        .offset:         136
        .size:           8
        .value_kind:     global_buffer
      - .offset:         144
        .size:           4
        .value_kind:     by_value
      - .offset:         148
        .size:           4
        .value_kind:     by_value
      - .offset:         152
        .size:           4
        .value_kind:     by_value
      - .offset:         156
        .size:           4
        .value_kind:     by_value
      - .offset:         160
        .size:           1
        .value_kind:     by_value
      - .offset:         161
        .size:           1
        .value_kind:     by_value
      - .offset:         162
        .size:           1
        .value_kind:     by_value
    .group_segment_fixed_size: 18440
    .kernarg_segment_align: 8
    .kernarg_segment_size: 164
    .language:       OpenCL C
    .language_version:
      - 2
      - 0
    .max_flat_workgroup_size: 512
    .name:           _ZN9rocsparseL36csrgemm_fill_block_per_row_multipassILj512ELj16ELj2048ELj32EiidEEvT4_PKS1_S3_NS_24const_host_device_scalarIT5_EEPKT3_S3_PKS5_S9_S3_SB_S6_S9_S3_SB_S9_PS1_PS5_PS7_21rocsparse_index_base_SF_SF_SF_bbb
    .private_segment_fixed_size: 0
    .sgpr_count:     64
    .sgpr_spill_count: 0
    .symbol:         _ZN9rocsparseL36csrgemm_fill_block_per_row_multipassILj512ELj16ELj2048ELj32EiidEEvT4_PKS1_S3_NS_24const_host_device_scalarIT5_EEPKT3_S3_PKS5_S9_S3_SB_S6_S9_S3_SB_S9_PS1_PS5_PS7_21rocsparse_index_base_SF_SF_SF_bbb.kd
    .uniform_work_group_size: 1
    .uses_dynamic_stack: false
    .vgpr_count:     41
    .vgpr_spill_count: 0
    .wavefront_size: 32
    .workgroup_processor_mode: 1
  - .args:
      - .offset:         0
        .size:           4
        .value_kind:     by_value
      - .actual_access:  read_only
        .address_space:  global
        .offset:         8
        .size:           8
        .value_kind:     global_buffer
      - .actual_access:  read_only
        .address_space:  global
        .offset:         16
        .size:           8
        .value_kind:     global_buffer
      - .offset:         24
        .size:           8
        .value_kind:     by_value
      - .actual_access:  read_only
        .address_space:  global
        .offset:         32
        .size:           8
        .value_kind:     global_buffer
      - .actual_access:  read_only
        .address_space:  global
        .offset:         40
        .size:           8
        .value_kind:     global_buffer
      - .actual_access:  read_only
        .address_space:  global
        .offset:         48
        .size:           8
        .value_kind:     global_buffer
      - .actual_access:  read_only
        .address_space:  global
        .offset:         56
        .size:           8
        .value_kind:     global_buffer
      - .actual_access:  read_only
        .address_space:  global
        .offset:         64
        .size:           8
        .value_kind:     global_buffer
      - .actual_access:  read_only
        .address_space:  global
        .offset:         72
        .size:           8
        .value_kind:     global_buffer
      - .offset:         80
        .size:           8
        .value_kind:     by_value
      - .actual_access:  read_only
        .address_space:  global
        .offset:         88
        .size:           8
        .value_kind:     global_buffer
      - .actual_access:  read_only
        .address_space:  global
        .offset:         96
        .size:           8
        .value_kind:     global_buffer
      - .actual_access:  read_only
        .address_space:  global
        .offset:         104
        .size:           8
        .value_kind:     global_buffer
      - .actual_access:  read_only
        .address_space:  global
        .offset:         112
        .size:           8
        .value_kind:     global_buffer
      - .actual_access:  write_only
        .address_space:  global
        .offset:         120
        .size:           8
        .value_kind:     global_buffer
      - .actual_access:  write_only
        .address_space:  global
        .offset:         128
        .size:           8
        .value_kind:     global_buffer
      - .address_space:  global
        .offset:         136
        .size:           8
        .value_kind:     global_buffer
      - .offset:         144
        .size:           4
        .value_kind:     by_value
      - .offset:         148
        .size:           4
        .value_kind:     by_value
      - .offset:         152
        .size:           4
        .value_kind:     by_value
      - .offset:         156
        .size:           4
        .value_kind:     by_value
      - .offset:         160
        .size:           1
        .value_kind:     by_value
      - .offset:         161
        .size:           1
        .value_kind:     by_value
      - .offset:         162
        .size:           1
        .value_kind:     by_value
    .group_segment_fixed_size: 18440
    .kernarg_segment_align: 8
    .kernarg_segment_size: 164
    .language:       OpenCL C
    .language_version:
      - 2
      - 0
    .max_flat_workgroup_size: 512
    .name:           _ZN9rocsparseL36csrgemm_fill_block_per_row_multipassILj512ELj16ELj2048ELj64EiidEEvT4_PKS1_S3_NS_24const_host_device_scalarIT5_EEPKT3_S3_PKS5_S9_S3_SB_S6_S9_S3_SB_S9_PS1_PS5_PS7_21rocsparse_index_base_SF_SF_SF_bbb
    .private_segment_fixed_size: 0
    .sgpr_count:     56
    .sgpr_spill_count: 0
    .symbol:         _ZN9rocsparseL36csrgemm_fill_block_per_row_multipassILj512ELj16ELj2048ELj64EiidEEvT4_PKS1_S3_NS_24const_host_device_scalarIT5_EEPKT3_S3_PKS5_S9_S3_SB_S6_S9_S3_SB_S9_PS1_PS5_PS7_21rocsparse_index_base_SF_SF_SF_bbb.kd
    .uniform_work_group_size: 1
    .uses_dynamic_stack: false
    .vgpr_count:     39
    .vgpr_spill_count: 0
    .wavefront_size: 32
    .workgroup_processor_mode: 1
  - .args:
      - .offset:         0
        .size:           4
        .value_kind:     by_value
      - .actual_access:  read_only
        .address_space:  global
        .offset:         8
        .size:           8
        .value_kind:     global_buffer
      - .actual_access:  write_only
        .address_space:  global
        .offset:         16
        .size:           8
        .value_kind:     global_buffer
      - .actual_access:  write_only
        .address_space:  global
        .offset:         24
        .size:           8
        .value_kind:     global_buffer
      - .offset:         32
        .size:           4
        .value_kind:     by_value
      - .offset:         40
        .size:           4
        .value_kind:     hidden_block_count_x
      - .offset:         44
        .size:           4
        .value_kind:     hidden_block_count_y
      - .offset:         48
        .size:           4
        .value_kind:     hidden_block_count_z
      - .offset:         52
        .size:           2
        .value_kind:     hidden_group_size_x
      - .offset:         54
        .size:           2
        .value_kind:     hidden_group_size_y
      - .offset:         56
        .size:           2
        .value_kind:     hidden_group_size_z
      - .offset:         58
        .size:           2
        .value_kind:     hidden_remainder_x
      - .offset:         60
        .size:           2
        .value_kind:     hidden_remainder_y
      - .offset:         62
        .size:           2
        .value_kind:     hidden_remainder_z
      - .offset:         80
        .size:           8
        .value_kind:     hidden_global_offset_x
      - .offset:         88
        .size:           8
        .value_kind:     hidden_global_offset_y
      - .offset:         96
        .size:           8
        .value_kind:     hidden_global_offset_z
      - .offset:         104
        .size:           2
        .value_kind:     hidden_grid_dims
    .group_segment_fixed_size: 11264
    .kernarg_segment_align: 8
    .kernarg_segment_size: 296
    .language:       OpenCL C
    .language_version:
      - 2
      - 0
    .max_flat_workgroup_size: 256
    .name:           _ZN9rocsparseL26csrgemm_group_reduce_part2ILj256ELj11E21rocsparse_complex_numIfEiiEEvT3_PKT2_PS3_Pij
    .private_segment_fixed_size: 0
    .sgpr_count:     28
    .sgpr_spill_count: 0
    .symbol:         _ZN9rocsparseL26csrgemm_group_reduce_part2ILj256ELj11E21rocsparse_complex_numIfEiiEEvT3_PKT2_PS3_Pij.kd
    .uniform_work_group_size: 1
    .uses_dynamic_stack: false
    .vgpr_count:     25
    .vgpr_spill_count: 0
    .wavefront_size: 32
    .workgroup_processor_mode: 1
  - .args:
      - .offset:         0
        .size:           4
        .value_kind:     by_value
      - .offset:         4
        .size:           4
        .value_kind:     by_value
      - .actual_access:  read_only
        .address_space:  global
        .offset:         8
        .size:           8
        .value_kind:     global_buffer
      - .actual_access:  read_only
        .address_space:  global
        .offset:         16
        .size:           8
        .value_kind:     global_buffer
      - .offset:         24
        .size:           8
        .value_kind:     by_value
      - .actual_access:  read_only
        .address_space:  global
        .offset:         32
        .size:           8
        .value_kind:     global_buffer
      - .actual_access:  read_only
        .address_space:  global
        .offset:         40
        .size:           8
        .value_kind:     global_buffer
      - .actual_access:  read_only
        .address_space:  global
        .offset:         48
        .size:           8
        .value_kind:     global_buffer
      - .actual_access:  read_only
        .address_space:  global
        .offset:         56
        .size:           8
        .value_kind:     global_buffer
      - .actual_access:  read_only
        .address_space:  global
        .offset:         64
        .size:           8
        .value_kind:     global_buffer
      - .actual_access:  read_only
        .address_space:  global
        .offset:         72
        .size:           8
        .value_kind:     global_buffer
      - .offset:         80
        .size:           8
        .value_kind:     by_value
      - .actual_access:  read_only
        .address_space:  global
        .offset:         88
        .size:           8
        .value_kind:     global_buffer
      - .actual_access:  read_only
        .address_space:  global
        .offset:         96
        .size:           8
        .value_kind:     global_buffer
      - .actual_access:  read_only
        .address_space:  global
        .offset:         104
        .size:           8
        .value_kind:     global_buffer
      - .actual_access:  read_only
        .address_space:  global
        .offset:         112
        .size:           8
        .value_kind:     global_buffer
      - .actual_access:  write_only
        .address_space:  global
        .offset:         120
        .size:           8
        .value_kind:     global_buffer
      - .actual_access:  write_only
        .address_space:  global
        .offset:         128
        .size:           8
        .value_kind:     global_buffer
      - .offset:         136
        .size:           4
        .value_kind:     by_value
      - .offset:         140
        .size:           4
        .value_kind:     by_value
      - .offset:         144
        .size:           4
        .value_kind:     by_value
      - .offset:         148
        .size:           4
        .value_kind:     by_value
      - .offset:         152
        .size:           1
        .value_kind:     by_value
      - .offset:         153
        .size:           1
        .value_kind:     by_value
      - .offset:         154
        .size:           1
        .value_kind:     by_value
    .group_segment_fixed_size: 6144
    .kernarg_segment_align: 8
    .kernarg_segment_size: 156
    .language:       OpenCL C
    .language_version:
      - 2
      - 0
    .max_flat_workgroup_size: 256
    .name:           _ZN9rocsparseL23csrgemm_fill_wf_per_rowILj256ELj8ELj16ELj137Eii21rocsparse_complex_numIfEEEvT4_S3_PKS3_S5_NS_24const_host_device_scalarIT5_EEPKT3_S5_PKS7_SB_S5_SD_S8_SB_S5_SD_SB_PS3_PS7_21rocsparse_index_base_SG_SG_SG_bbb
    .private_segment_fixed_size: 0
    .sgpr_count:     46
    .sgpr_spill_count: 0
    .symbol:         _ZN9rocsparseL23csrgemm_fill_wf_per_rowILj256ELj8ELj16ELj137Eii21rocsparse_complex_numIfEEEvT4_S3_PKS3_S5_NS_24const_host_device_scalarIT5_EEPKT3_S5_PKS7_SB_S5_SD_S8_SB_S5_SD_SB_PS3_PS7_21rocsparse_index_base_SG_SG_SG_bbb.kd
    .uniform_work_group_size: 1
    .uses_dynamic_stack: false
    .vgpr_count:     22
    .vgpr_spill_count: 0
    .wavefront_size: 32
    .workgroup_processor_mode: 1
  - .args:
      - .offset:         0
        .size:           4
        .value_kind:     by_value
      - .offset:         4
        .size:           4
        .value_kind:     by_value
      - .actual_access:  read_only
        .address_space:  global
        .offset:         8
        .size:           8
        .value_kind:     global_buffer
      - .actual_access:  read_only
        .address_space:  global
        .offset:         16
        .size:           8
        .value_kind:     global_buffer
      - .offset:         24
        .size:           8
        .value_kind:     by_value
      - .actual_access:  read_only
        .address_space:  global
        .offset:         32
        .size:           8
        .value_kind:     global_buffer
      - .actual_access:  read_only
        .address_space:  global
        .offset:         40
        .size:           8
        .value_kind:     global_buffer
      - .actual_access:  read_only
        .address_space:  global
        .offset:         48
        .size:           8
        .value_kind:     global_buffer
      - .actual_access:  read_only
        .address_space:  global
        .offset:         56
        .size:           8
        .value_kind:     global_buffer
      - .actual_access:  read_only
        .address_space:  global
        .offset:         64
        .size:           8
        .value_kind:     global_buffer
      - .actual_access:  read_only
        .address_space:  global
        .offset:         72
        .size:           8
        .value_kind:     global_buffer
      - .offset:         80
        .size:           8
        .value_kind:     by_value
      - .actual_access:  read_only
        .address_space:  global
        .offset:         88
        .size:           8
        .value_kind:     global_buffer
      - .actual_access:  read_only
        .address_space:  global
        .offset:         96
        .size:           8
        .value_kind:     global_buffer
      - .actual_access:  read_only
        .address_space:  global
        .offset:         104
        .size:           8
        .value_kind:     global_buffer
      - .actual_access:  read_only
        .address_space:  global
        .offset:         112
        .size:           8
        .value_kind:     global_buffer
      - .actual_access:  write_only
        .address_space:  global
        .offset:         120
        .size:           8
        .value_kind:     global_buffer
      - .actual_access:  write_only
        .address_space:  global
        .offset:         128
        .size:           8
        .value_kind:     global_buffer
      - .offset:         136
        .size:           4
        .value_kind:     by_value
      - .offset:         140
        .size:           4
        .value_kind:     by_value
      - .offset:         144
        .size:           4
        .value_kind:     by_value
      - .offset:         148
        .size:           4
        .value_kind:     by_value
      - .offset:         152
        .size:           1
        .value_kind:     by_value
      - .offset:         153
        .size:           1
        .value_kind:     by_value
      - .offset:         154
        .size:           1
        .value_kind:     by_value
    .group_segment_fixed_size: 6144
    .kernarg_segment_align: 8
    .kernarg_segment_size: 156
    .language:       OpenCL C
    .language_version:
      - 2
      - 0
    .max_flat_workgroup_size: 256
    .name:           _ZN9rocsparseL23csrgemm_fill_wf_per_rowILj256ELj16ELj32ELj137Eii21rocsparse_complex_numIfEEEvT4_S3_PKS3_S5_NS_24const_host_device_scalarIT5_EEPKT3_S5_PKS7_SB_S5_SD_S8_SB_S5_SD_SB_PS3_PS7_21rocsparse_index_base_SG_SG_SG_bbb
    .private_segment_fixed_size: 0
    .sgpr_count:     46
    .sgpr_spill_count: 0
    .symbol:         _ZN9rocsparseL23csrgemm_fill_wf_per_rowILj256ELj16ELj32ELj137Eii21rocsparse_complex_numIfEEEvT4_S3_PKS3_S5_NS_24const_host_device_scalarIT5_EEPKT3_S5_PKS7_SB_S5_SD_S8_SB_S5_SD_SB_PS3_PS7_21rocsparse_index_base_SG_SG_SG_bbb.kd
    .uniform_work_group_size: 1
    .uses_dynamic_stack: false
    .vgpr_count:     38
    .vgpr_spill_count: 0
    .wavefront_size: 32
    .workgroup_processor_mode: 1
  - .args:
      - .offset:         0
        .size:           4
        .value_kind:     by_value
      - .actual_access:  read_only
        .address_space:  global
        .offset:         8
        .size:           8
        .value_kind:     global_buffer
      - .actual_access:  read_only
        .address_space:  global
        .offset:         16
        .size:           8
        .value_kind:     global_buffer
      - .offset:         24
        .size:           8
        .value_kind:     by_value
      - .actual_access:  read_only
        .address_space:  global
        .offset:         32
        .size:           8
        .value_kind:     global_buffer
      - .actual_access:  read_only
        .address_space:  global
        .offset:         40
        .size:           8
        .value_kind:     global_buffer
      - .actual_access:  read_only
        .address_space:  global
        .offset:         48
        .size:           8
        .value_kind:     global_buffer
      - .actual_access:  read_only
        .address_space:  global
        .offset:         56
        .size:           8
        .value_kind:     global_buffer
      - .actual_access:  read_only
        .address_space:  global
        .offset:         64
        .size:           8
        .value_kind:     global_buffer
      - .actual_access:  read_only
        .address_space:  global
        .offset:         72
        .size:           8
        .value_kind:     global_buffer
      - .offset:         80
        .size:           8
        .value_kind:     by_value
      - .actual_access:  read_only
        .address_space:  global
        .offset:         88
        .size:           8
        .value_kind:     global_buffer
      - .actual_access:  read_only
        .address_space:  global
        .offset:         96
        .size:           8
        .value_kind:     global_buffer
      - .actual_access:  read_only
        .address_space:  global
        .offset:         104
        .size:           8
        .value_kind:     global_buffer
      - .actual_access:  read_only
        .address_space:  global
        .offset:         112
        .size:           8
        .value_kind:     global_buffer
      - .actual_access:  write_only
        .address_space:  global
        .offset:         120
        .size:           8
        .value_kind:     global_buffer
      - .actual_access:  write_only
        .address_space:  global
        .offset:         128
        .size:           8
        .value_kind:     global_buffer
      - .offset:         136
        .size:           4
        .value_kind:     by_value
      - .offset:         140
        .size:           4
        .value_kind:     by_value
      - .offset:         144
        .size:           4
        .value_kind:     by_value
      - .offset:         148
        .size:           4
        .value_kind:     by_value
      - .offset:         152
        .size:           1
        .value_kind:     by_value
      - .offset:         153
        .size:           1
        .value_kind:     by_value
      - .offset:         154
        .size:           1
        .value_kind:     by_value
    .group_segment_fixed_size: 0
    .kernarg_segment_align: 8
    .kernarg_segment_size: 156
    .language:       OpenCL C
    .language_version:
      - 2
      - 0
    .max_flat_workgroup_size: 128
    .name:           _ZN9rocsparseL26csrgemm_fill_block_per_rowILj128ELj16ELj256ELj137ELj32Eii21rocsparse_complex_numIfEEEvT5_PKS3_S5_NS_24const_host_device_scalarIT6_EEPKT4_S5_PKS7_SB_S5_SD_S8_SB_S5_SD_SB_PS3_PS7_21rocsparse_index_base_SG_SG_SG_bbb
    .private_segment_fixed_size: 0
    .sgpr_count:     48
    .sgpr_spill_count: 0
    .symbol:         _ZN9rocsparseL26csrgemm_fill_block_per_rowILj128ELj16ELj256ELj137ELj32Eii21rocsparse_complex_numIfEEEvT5_PKS3_S5_NS_24const_host_device_scalarIT6_EEPKT4_S5_PKS7_SB_S5_SD_S8_SB_S5_SD_SB_PS3_PS7_21rocsparse_index_base_SG_SG_SG_bbb.kd
    .uniform_work_group_size: 1
    .uses_dynamic_stack: false
    .vgpr_count:     16
    .vgpr_spill_count: 0
    .wavefront_size: 32
    .workgroup_processor_mode: 1
  - .args:
      - .offset:         0
        .size:           4
        .value_kind:     by_value
      - .actual_access:  read_only
        .address_space:  global
        .offset:         8
        .size:           8
        .value_kind:     global_buffer
      - .actual_access:  read_only
        .address_space:  global
        .offset:         16
        .size:           8
        .value_kind:     global_buffer
      - .offset:         24
        .size:           8
        .value_kind:     by_value
      - .actual_access:  read_only
        .address_space:  global
        .offset:         32
        .size:           8
        .value_kind:     global_buffer
      - .actual_access:  read_only
        .address_space:  global
        .offset:         40
        .size:           8
        .value_kind:     global_buffer
      - .actual_access:  read_only
        .address_space:  global
        .offset:         48
        .size:           8
        .value_kind:     global_buffer
      - .actual_access:  read_only
        .address_space:  global
        .offset:         56
        .size:           8
        .value_kind:     global_buffer
      - .actual_access:  read_only
        .address_space:  global
        .offset:         64
        .size:           8
        .value_kind:     global_buffer
      - .actual_access:  read_only
        .address_space:  global
        .offset:         72
        .size:           8
        .value_kind:     global_buffer
      - .offset:         80
        .size:           8
        .value_kind:     by_value
      - .actual_access:  read_only
        .address_space:  global
        .offset:         88
        .size:           8
        .value_kind:     global_buffer
      - .actual_access:  read_only
        .address_space:  global
        .offset:         96
        .size:           8
        .value_kind:     global_buffer
      - .actual_access:  read_only
        .address_space:  global
        .offset:         104
        .size:           8
        .value_kind:     global_buffer
      - .actual_access:  read_only
        .address_space:  global
        .offset:         112
        .size:           8
        .value_kind:     global_buffer
      - .actual_access:  write_only
        .address_space:  global
        .offset:         120
        .size:           8
        .value_kind:     global_buffer
      - .actual_access:  write_only
        .address_space:  global
        .offset:         128
        .size:           8
        .value_kind:     global_buffer
      - .offset:         136
        .size:           4
        .value_kind:     by_value
      - .offset:         140
        .size:           4
        .value_kind:     by_value
      - .offset:         144
        .size:           4
        .value_kind:     by_value
      - .offset:         148
        .size:           4
        .value_kind:     by_value
      - .offset:         152
        .size:           1
        .value_kind:     by_value
      - .offset:         153
        .size:           1
        .value_kind:     by_value
      - .offset:         154
        .size:           1
        .value_kind:     by_value
    .group_segment_fixed_size: 0
    .kernarg_segment_align: 8
    .kernarg_segment_size: 156
    .language:       OpenCL C
    .language_version:
      - 2
      - 0
    .max_flat_workgroup_size: 128
    .name:           _ZN9rocsparseL26csrgemm_fill_block_per_rowILj128ELj16ELj256ELj137ELj64Eii21rocsparse_complex_numIfEEEvT5_PKS3_S5_NS_24const_host_device_scalarIT6_EEPKT4_S5_PKS7_SB_S5_SD_S8_SB_S5_SD_SB_PS3_PS7_21rocsparse_index_base_SG_SG_SG_bbb
    .private_segment_fixed_size: 0
    .sgpr_count:     48
    .sgpr_spill_count: 0
    .symbol:         _ZN9rocsparseL26csrgemm_fill_block_per_rowILj128ELj16ELj256ELj137ELj64Eii21rocsparse_complex_numIfEEEvT5_PKS3_S5_NS_24const_host_device_scalarIT6_EEPKT4_S5_PKS7_SB_S5_SD_S8_SB_S5_SD_SB_PS3_PS7_21rocsparse_index_base_SG_SG_SG_bbb.kd
    .uniform_work_group_size: 1
    .uses_dynamic_stack: false
    .vgpr_count:     17
    .vgpr_spill_count: 0
    .wavefront_size: 32
    .workgroup_processor_mode: 1
  - .args:
      - .offset:         0
        .size:           4
        .value_kind:     by_value
      - .actual_access:  read_only
        .address_space:  global
        .offset:         8
        .size:           8
        .value_kind:     global_buffer
      - .actual_access:  read_only
        .address_space:  global
        .offset:         16
        .size:           8
        .value_kind:     global_buffer
      - .offset:         24
        .size:           8
        .value_kind:     by_value
      - .actual_access:  read_only
        .address_space:  global
        .offset:         32
        .size:           8
        .value_kind:     global_buffer
      - .actual_access:  read_only
        .address_space:  global
        .offset:         40
        .size:           8
        .value_kind:     global_buffer
      - .actual_access:  read_only
        .address_space:  global
        .offset:         48
        .size:           8
        .value_kind:     global_buffer
      - .actual_access:  read_only
        .address_space:  global
        .offset:         56
        .size:           8
        .value_kind:     global_buffer
      - .actual_access:  read_only
        .address_space:  global
        .offset:         64
        .size:           8
        .value_kind:     global_buffer
      - .actual_access:  read_only
        .address_space:  global
        .offset:         72
        .size:           8
        .value_kind:     global_buffer
      - .offset:         80
        .size:           8
        .value_kind:     by_value
      - .actual_access:  read_only
        .address_space:  global
        .offset:         88
        .size:           8
        .value_kind:     global_buffer
      - .actual_access:  read_only
        .address_space:  global
        .offset:         96
        .size:           8
        .value_kind:     global_buffer
      - .actual_access:  read_only
        .address_space:  global
        .offset:         104
        .size:           8
        .value_kind:     global_buffer
      - .actual_access:  read_only
        .address_space:  global
        .offset:         112
        .size:           8
        .value_kind:     global_buffer
      - .actual_access:  write_only
        .address_space:  global
        .offset:         120
        .size:           8
        .value_kind:     global_buffer
      - .actual_access:  write_only
        .address_space:  global
        .offset:         128
        .size:           8
        .value_kind:     global_buffer
      - .offset:         136
        .size:           4
        .value_kind:     by_value
      - .offset:         140
        .size:           4
        .value_kind:     by_value
      - .offset:         144
        .size:           4
        .value_kind:     by_value
      - .offset:         148
        .size:           4
        .value_kind:     by_value
      - .offset:         152
        .size:           1
        .value_kind:     by_value
      - .offset:         153
        .size:           1
        .value_kind:     by_value
      - .offset:         154
        .size:           1
        .value_kind:     by_value
    .group_segment_fixed_size: 0
    .kernarg_segment_align: 8
    .kernarg_segment_size: 156
    .language:       OpenCL C
    .language_version:
      - 2
      - 0
    .max_flat_workgroup_size: 256
    .name:           _ZN9rocsparseL26csrgemm_fill_block_per_rowILj256ELj32ELj512ELj137ELj32Eii21rocsparse_complex_numIfEEEvT5_PKS3_S5_NS_24const_host_device_scalarIT6_EEPKT4_S5_PKS7_SB_S5_SD_S8_SB_S5_SD_SB_PS3_PS7_21rocsparse_index_base_SG_SG_SG_bbb
    .private_segment_fixed_size: 0
    .sgpr_count:     48
    .sgpr_spill_count: 0
    .symbol:         _ZN9rocsparseL26csrgemm_fill_block_per_rowILj256ELj32ELj512ELj137ELj32Eii21rocsparse_complex_numIfEEEvT5_PKS3_S5_NS_24const_host_device_scalarIT6_EEPKT4_S5_PKS7_SB_S5_SD_S8_SB_S5_SD_SB_PS3_PS7_21rocsparse_index_base_SG_SG_SG_bbb.kd
    .uniform_work_group_size: 1
    .uses_dynamic_stack: false
    .vgpr_count:     17
    .vgpr_spill_count: 0
    .wavefront_size: 32
    .workgroup_processor_mode: 1
  - .args:
      - .offset:         0
        .size:           4
        .value_kind:     by_value
      - .actual_access:  read_only
        .address_space:  global
        .offset:         8
        .size:           8
        .value_kind:     global_buffer
      - .actual_access:  read_only
        .address_space:  global
        .offset:         16
        .size:           8
        .value_kind:     global_buffer
      - .offset:         24
        .size:           8
        .value_kind:     by_value
      - .actual_access:  read_only
        .address_space:  global
        .offset:         32
        .size:           8
        .value_kind:     global_buffer
      - .actual_access:  read_only
        .address_space:  global
        .offset:         40
        .size:           8
        .value_kind:     global_buffer
      - .actual_access:  read_only
        .address_space:  global
        .offset:         48
        .size:           8
        .value_kind:     global_buffer
      - .actual_access:  read_only
        .address_space:  global
        .offset:         56
        .size:           8
        .value_kind:     global_buffer
      - .actual_access:  read_only
        .address_space:  global
        .offset:         64
        .size:           8
        .value_kind:     global_buffer
      - .actual_access:  read_only
        .address_space:  global
        .offset:         72
        .size:           8
        .value_kind:     global_buffer
      - .offset:         80
        .size:           8
        .value_kind:     by_value
      - .actual_access:  read_only
        .address_space:  global
        .offset:         88
        .size:           8
        .value_kind:     global_buffer
      - .actual_access:  read_only
        .address_space:  global
        .offset:         96
        .size:           8
        .value_kind:     global_buffer
      - .actual_access:  read_only
        .address_space:  global
        .offset:         104
        .size:           8
        .value_kind:     global_buffer
      - .actual_access:  read_only
        .address_space:  global
        .offset:         112
        .size:           8
        .value_kind:     global_buffer
      - .actual_access:  write_only
        .address_space:  global
        .offset:         120
        .size:           8
        .value_kind:     global_buffer
      - .actual_access:  write_only
        .address_space:  global
        .offset:         128
        .size:           8
        .value_kind:     global_buffer
      - .offset:         136
        .size:           4
        .value_kind:     by_value
      - .offset:         140
        .size:           4
        .value_kind:     by_value
      - .offset:         144
        .size:           4
        .value_kind:     by_value
      - .offset:         148
        .size:           4
        .value_kind:     by_value
      - .offset:         152
        .size:           1
        .value_kind:     by_value
      - .offset:         153
        .size:           1
        .value_kind:     by_value
      - .offset:         154
        .size:           1
        .value_kind:     by_value
    .group_segment_fixed_size: 0
    .kernarg_segment_align: 8
    .kernarg_segment_size: 156
    .language:       OpenCL C
    .language_version:
      - 2
      - 0
    .max_flat_workgroup_size: 256
    .name:           _ZN9rocsparseL26csrgemm_fill_block_per_rowILj256ELj32ELj512ELj137ELj64Eii21rocsparse_complex_numIfEEEvT5_PKS3_S5_NS_24const_host_device_scalarIT6_EEPKT4_S5_PKS7_SB_S5_SD_S8_SB_S5_SD_SB_PS3_PS7_21rocsparse_index_base_SG_SG_SG_bbb
    .private_segment_fixed_size: 0
    .sgpr_count:     48
    .sgpr_spill_count: 0
    .symbol:         _ZN9rocsparseL26csrgemm_fill_block_per_rowILj256ELj32ELj512ELj137ELj64Eii21rocsparse_complex_numIfEEEvT5_PKS3_S5_NS_24const_host_device_scalarIT6_EEPKT4_S5_PKS7_SB_S5_SD_S8_SB_S5_SD_SB_PS3_PS7_21rocsparse_index_base_SG_SG_SG_bbb.kd
    .uniform_work_group_size: 1
    .uses_dynamic_stack: false
    .vgpr_count:     16
    .vgpr_spill_count: 0
    .wavefront_size: 32
    .workgroup_processor_mode: 1
  - .args:
      - .offset:         0
        .size:           4
        .value_kind:     by_value
      - .actual_access:  read_only
        .address_space:  global
        .offset:         8
        .size:           8
        .value_kind:     global_buffer
      - .actual_access:  read_only
        .address_space:  global
        .offset:         16
        .size:           8
        .value_kind:     global_buffer
      - .offset:         24
        .size:           8
        .value_kind:     by_value
      - .actual_access:  read_only
        .address_space:  global
        .offset:         32
        .size:           8
        .value_kind:     global_buffer
      - .actual_access:  read_only
        .address_space:  global
        .offset:         40
        .size:           8
        .value_kind:     global_buffer
      - .actual_access:  read_only
        .address_space:  global
        .offset:         48
        .size:           8
        .value_kind:     global_buffer
      - .actual_access:  read_only
        .address_space:  global
        .offset:         56
        .size:           8
        .value_kind:     global_buffer
      - .actual_access:  read_only
        .address_space:  global
        .offset:         64
        .size:           8
        .value_kind:     global_buffer
      - .actual_access:  read_only
        .address_space:  global
        .offset:         72
        .size:           8
        .value_kind:     global_buffer
      - .offset:         80
        .size:           8
        .value_kind:     by_value
      - .actual_access:  read_only
        .address_space:  global
        .offset:         88
        .size:           8
        .value_kind:     global_buffer
      - .actual_access:  read_only
        .address_space:  global
        .offset:         96
        .size:           8
        .value_kind:     global_buffer
      - .actual_access:  read_only
        .address_space:  global
        .offset:         104
        .size:           8
        .value_kind:     global_buffer
      - .actual_access:  read_only
        .address_space:  global
        .offset:         112
        .size:           8
        .value_kind:     global_buffer
      - .actual_access:  write_only
        .address_space:  global
        .offset:         120
        .size:           8
        .value_kind:     global_buffer
      - .actual_access:  write_only
        .address_space:  global
        .offset:         128
        .size:           8
        .value_kind:     global_buffer
      - .offset:         136
        .size:           4
        .value_kind:     by_value
      - .offset:         140
        .size:           4
        .value_kind:     by_value
      - .offset:         144
        .size:           4
        .value_kind:     by_value
      - .offset:         148
        .size:           4
        .value_kind:     by_value
      - .offset:         152
        .size:           1
        .value_kind:     by_value
      - .offset:         153
        .size:           1
        .value_kind:     by_value
      - .offset:         154
        .size:           1
        .value_kind:     by_value
    .group_segment_fixed_size: 0
    .kernarg_segment_align: 8
    .kernarg_segment_size: 156
    .language:       OpenCL C
    .language_version:
      - 2
      - 0
    .max_flat_workgroup_size: 512
    .name:           _ZN9rocsparseL26csrgemm_fill_block_per_rowILj512ELj32ELj1024ELj137ELj32Eii21rocsparse_complex_numIfEEEvT5_PKS3_S5_NS_24const_host_device_scalarIT6_EEPKT4_S5_PKS7_SB_S5_SD_S8_SB_S5_SD_SB_PS3_PS7_21rocsparse_index_base_SG_SG_SG_bbb
    .private_segment_fixed_size: 0
    .sgpr_count:     47
    .sgpr_spill_count: 0
    .symbol:         _ZN9rocsparseL26csrgemm_fill_block_per_rowILj512ELj32ELj1024ELj137ELj32Eii21rocsparse_complex_numIfEEEvT5_PKS3_S5_NS_24const_host_device_scalarIT6_EEPKT4_S5_PKS7_SB_S5_SD_S8_SB_S5_SD_SB_PS3_PS7_21rocsparse_index_base_SG_SG_SG_bbb.kd
    .uniform_work_group_size: 1
    .uses_dynamic_stack: false
    .vgpr_count:     17
    .vgpr_spill_count: 0
    .wavefront_size: 32
    .workgroup_processor_mode: 1
  - .args:
      - .offset:         0
        .size:           4
        .value_kind:     by_value
      - .actual_access:  read_only
        .address_space:  global
        .offset:         8
        .size:           8
        .value_kind:     global_buffer
      - .actual_access:  read_only
        .address_space:  global
        .offset:         16
        .size:           8
        .value_kind:     global_buffer
      - .offset:         24
        .size:           8
        .value_kind:     by_value
      - .actual_access:  read_only
        .address_space:  global
        .offset:         32
        .size:           8
        .value_kind:     global_buffer
      - .actual_access:  read_only
        .address_space:  global
        .offset:         40
        .size:           8
        .value_kind:     global_buffer
      - .actual_access:  read_only
        .address_space:  global
        .offset:         48
        .size:           8
        .value_kind:     global_buffer
      - .actual_access:  read_only
        .address_space:  global
        .offset:         56
        .size:           8
        .value_kind:     global_buffer
      - .actual_access:  read_only
        .address_space:  global
        .offset:         64
        .size:           8
        .value_kind:     global_buffer
      - .actual_access:  read_only
        .address_space:  global
        .offset:         72
        .size:           8
        .value_kind:     global_buffer
      - .offset:         80
        .size:           8
        .value_kind:     by_value
      - .actual_access:  read_only
        .address_space:  global
        .offset:         88
        .size:           8
        .value_kind:     global_buffer
      - .actual_access:  read_only
        .address_space:  global
        .offset:         96
        .size:           8
        .value_kind:     global_buffer
      - .actual_access:  read_only
        .address_space:  global
        .offset:         104
        .size:           8
        .value_kind:     global_buffer
      - .actual_access:  read_only
        .address_space:  global
        .offset:         112
        .size:           8
        .value_kind:     global_buffer
      - .actual_access:  write_only
        .address_space:  global
        .offset:         120
        .size:           8
        .value_kind:     global_buffer
      - .actual_access:  write_only
        .address_space:  global
        .offset:         128
        .size:           8
        .value_kind:     global_buffer
      - .offset:         136
        .size:           4
        .value_kind:     by_value
      - .offset:         140
        .size:           4
        .value_kind:     by_value
      - .offset:         144
        .size:           4
        .value_kind:     by_value
      - .offset:         148
        .size:           4
        .value_kind:     by_value
      - .offset:         152
        .size:           1
        .value_kind:     by_value
      - .offset:         153
        .size:           1
        .value_kind:     by_value
      - .offset:         154
        .size:           1
        .value_kind:     by_value
    .group_segment_fixed_size: 0
    .kernarg_segment_align: 8
    .kernarg_segment_size: 156
    .language:       OpenCL C
    .language_version:
      - 2
      - 0
    .max_flat_workgroup_size: 512
    .name:           _ZN9rocsparseL26csrgemm_fill_block_per_rowILj512ELj32ELj1024ELj137ELj64Eii21rocsparse_complex_numIfEEEvT5_PKS3_S5_NS_24const_host_device_scalarIT6_EEPKT4_S5_PKS7_SB_S5_SD_S8_SB_S5_SD_SB_PS3_PS7_21rocsparse_index_base_SG_SG_SG_bbb
    .private_segment_fixed_size: 0
    .sgpr_count:     47
    .sgpr_spill_count: 0
    .symbol:         _ZN9rocsparseL26csrgemm_fill_block_per_rowILj512ELj32ELj1024ELj137ELj64Eii21rocsparse_complex_numIfEEEvT5_PKS3_S5_NS_24const_host_device_scalarIT6_EEPKT4_S5_PKS7_SB_S5_SD_S8_SB_S5_SD_SB_PS3_PS7_21rocsparse_index_base_SG_SG_SG_bbb.kd
    .uniform_work_group_size: 1
    .uses_dynamic_stack: false
    .vgpr_count:     16
    .vgpr_spill_count: 0
    .wavefront_size: 32
    .workgroup_processor_mode: 1
  - .args:
      - .offset:         0
        .size:           4
        .value_kind:     by_value
      - .actual_access:  read_only
        .address_space:  global
        .offset:         8
        .size:           8
        .value_kind:     global_buffer
      - .actual_access:  read_only
        .address_space:  global
        .offset:         16
        .size:           8
        .value_kind:     global_buffer
      - .offset:         24
        .size:           8
        .value_kind:     by_value
      - .actual_access:  read_only
        .address_space:  global
        .offset:         32
        .size:           8
        .value_kind:     global_buffer
      - .actual_access:  read_only
        .address_space:  global
        .offset:         40
        .size:           8
        .value_kind:     global_buffer
      - .actual_access:  read_only
        .address_space:  global
        .offset:         48
        .size:           8
        .value_kind:     global_buffer
      - .actual_access:  read_only
        .address_space:  global
        .offset:         56
        .size:           8
        .value_kind:     global_buffer
      - .actual_access:  read_only
        .address_space:  global
        .offset:         64
        .size:           8
        .value_kind:     global_buffer
      - .actual_access:  read_only
        .address_space:  global
        .offset:         72
        .size:           8
        .value_kind:     global_buffer
      - .offset:         80
        .size:           8
        .value_kind:     by_value
      - .actual_access:  read_only
        .address_space:  global
        .offset:         88
        .size:           8
        .value_kind:     global_buffer
      - .actual_access:  read_only
        .address_space:  global
        .offset:         96
        .size:           8
        .value_kind:     global_buffer
      - .actual_access:  read_only
        .address_space:  global
        .offset:         104
        .size:           8
        .value_kind:     global_buffer
      - .actual_access:  read_only
        .address_space:  global
        .offset:         112
        .size:           8
        .value_kind:     global_buffer
      - .actual_access:  write_only
        .address_space:  global
        .offset:         120
        .size:           8
        .value_kind:     global_buffer
      - .actual_access:  write_only
        .address_space:  global
        .offset:         128
        .size:           8
        .value_kind:     global_buffer
      - .offset:         136
        .size:           4
        .value_kind:     by_value
      - .offset:         140
        .size:           4
        .value_kind:     by_value
      - .offset:         144
        .size:           4
        .value_kind:     by_value
      - .offset:         148
        .size:           4
        .value_kind:     by_value
      - .offset:         152
        .size:           1
        .value_kind:     by_value
      - .offset:         153
        .size:           1
        .value_kind:     by_value
      - .offset:         154
        .size:           1
        .value_kind:     by_value
    .group_segment_fixed_size: 0
    .kernarg_segment_align: 8
    .kernarg_segment_size: 156
    .language:       OpenCL C
    .language_version:
      - 2
      - 0
    .max_flat_workgroup_size: 1024
    .name:           _ZN9rocsparseL26csrgemm_fill_block_per_rowILj1024ELj32ELj2048ELj137ELj32Eii21rocsparse_complex_numIfEEEvT5_PKS3_S5_NS_24const_host_device_scalarIT6_EEPKT4_S5_PKS7_SB_S5_SD_S8_SB_S5_SD_SB_PS3_PS7_21rocsparse_index_base_SG_SG_SG_bbb
    .private_segment_fixed_size: 0
    .sgpr_count:     52
    .sgpr_spill_count: 0
    .symbol:         _ZN9rocsparseL26csrgemm_fill_block_per_rowILj1024ELj32ELj2048ELj137ELj32Eii21rocsparse_complex_numIfEEEvT5_PKS3_S5_NS_24const_host_device_scalarIT6_EEPKT4_S5_PKS7_SB_S5_SD_S8_SB_S5_SD_SB_PS3_PS7_21rocsparse_index_base_SG_SG_SG_bbb.kd
    .uniform_work_group_size: 1
    .uses_dynamic_stack: false
    .vgpr_count:     17
    .vgpr_spill_count: 0
    .wavefront_size: 32
    .workgroup_processor_mode: 1
  - .args:
      - .offset:         0
        .size:           4
        .value_kind:     by_value
      - .actual_access:  read_only
        .address_space:  global
        .offset:         8
        .size:           8
        .value_kind:     global_buffer
      - .actual_access:  read_only
        .address_space:  global
        .offset:         16
        .size:           8
        .value_kind:     global_buffer
      - .offset:         24
        .size:           8
        .value_kind:     by_value
      - .actual_access:  read_only
        .address_space:  global
        .offset:         32
        .size:           8
        .value_kind:     global_buffer
      - .actual_access:  read_only
        .address_space:  global
        .offset:         40
        .size:           8
        .value_kind:     global_buffer
      - .actual_access:  read_only
        .address_space:  global
        .offset:         48
        .size:           8
        .value_kind:     global_buffer
      - .actual_access:  read_only
        .address_space:  global
        .offset:         56
        .size:           8
        .value_kind:     global_buffer
      - .actual_access:  read_only
        .address_space:  global
        .offset:         64
        .size:           8
        .value_kind:     global_buffer
      - .actual_access:  read_only
        .address_space:  global
        .offset:         72
        .size:           8
        .value_kind:     global_buffer
      - .offset:         80
        .size:           8
        .value_kind:     by_value
      - .actual_access:  read_only
        .address_space:  global
        .offset:         88
        .size:           8
        .value_kind:     global_buffer
      - .actual_access:  read_only
        .address_space:  global
        .offset:         96
        .size:           8
        .value_kind:     global_buffer
      - .actual_access:  read_only
        .address_space:  global
        .offset:         104
        .size:           8
        .value_kind:     global_buffer
      - .actual_access:  read_only
        .address_space:  global
        .offset:         112
        .size:           8
        .value_kind:     global_buffer
      - .actual_access:  write_only
        .address_space:  global
        .offset:         120
        .size:           8
        .value_kind:     global_buffer
      - .actual_access:  write_only
        .address_space:  global
        .offset:         128
        .size:           8
        .value_kind:     global_buffer
      - .offset:         136
        .size:           4
        .value_kind:     by_value
      - .offset:         140
        .size:           4
        .value_kind:     by_value
      - .offset:         144
        .size:           4
        .value_kind:     by_value
      - .offset:         148
        .size:           4
        .value_kind:     by_value
      - .offset:         152
        .size:           1
        .value_kind:     by_value
      - .offset:         153
        .size:           1
        .value_kind:     by_value
      - .offset:         154
        .size:           1
        .value_kind:     by_value
    .group_segment_fixed_size: 0
    .kernarg_segment_align: 8
    .kernarg_segment_size: 156
    .language:       OpenCL C
    .language_version:
      - 2
      - 0
    .max_flat_workgroup_size: 1024
    .name:           _ZN9rocsparseL26csrgemm_fill_block_per_rowILj1024ELj32ELj2048ELj137ELj64Eii21rocsparse_complex_numIfEEEvT5_PKS3_S5_NS_24const_host_device_scalarIT6_EEPKT4_S5_PKS7_SB_S5_SD_S8_SB_S5_SD_SB_PS3_PS7_21rocsparse_index_base_SG_SG_SG_bbb
    .private_segment_fixed_size: 0
    .sgpr_count:     47
    .sgpr_spill_count: 0
    .symbol:         _ZN9rocsparseL26csrgemm_fill_block_per_rowILj1024ELj32ELj2048ELj137ELj64Eii21rocsparse_complex_numIfEEEvT5_PKS3_S5_NS_24const_host_device_scalarIT6_EEPKT4_S5_PKS7_SB_S5_SD_S8_SB_S5_SD_SB_PS3_PS7_21rocsparse_index_base_SG_SG_SG_bbb.kd
    .uniform_work_group_size: 1
    .uses_dynamic_stack: false
    .vgpr_count:     16
    .vgpr_spill_count: 0
    .wavefront_size: 32
    .workgroup_processor_mode: 1
  - .args:
      - .offset:         0
        .size:           4
        .value_kind:     by_value
      - .actual_access:  read_only
        .address_space:  global
        .offset:         8
        .size:           8
        .value_kind:     global_buffer
      - .actual_access:  read_only
        .address_space:  global
        .offset:         16
        .size:           8
        .value_kind:     global_buffer
      - .offset:         24
        .size:           8
        .value_kind:     by_value
      - .actual_access:  read_only
        .address_space:  global
        .offset:         32
        .size:           8
        .value_kind:     global_buffer
      - .actual_access:  read_only
        .address_space:  global
        .offset:         40
        .size:           8
        .value_kind:     global_buffer
      - .actual_access:  read_only
        .address_space:  global
        .offset:         48
        .size:           8
        .value_kind:     global_buffer
      - .actual_access:  read_only
        .address_space:  global
        .offset:         56
        .size:           8
        .value_kind:     global_buffer
      - .actual_access:  read_only
        .address_space:  global
        .offset:         64
        .size:           8
        .value_kind:     global_buffer
      - .actual_access:  read_only
        .address_space:  global
        .offset:         72
        .size:           8
        .value_kind:     global_buffer
      - .offset:         80
        .size:           8
        .value_kind:     by_value
      - .actual_access:  read_only
        .address_space:  global
        .offset:         88
        .size:           8
        .value_kind:     global_buffer
      - .actual_access:  read_only
        .address_space:  global
        .offset:         96
        .size:           8
        .value_kind:     global_buffer
      - .actual_access:  read_only
        .address_space:  global
        .offset:         104
        .size:           8
        .value_kind:     global_buffer
      - .actual_access:  read_only
        .address_space:  global
        .offset:         112
        .size:           8
        .value_kind:     global_buffer
      - .actual_access:  write_only
        .address_space:  global
        .offset:         120
        .size:           8
        .value_kind:     global_buffer
      - .actual_access:  write_only
        .address_space:  global
        .offset:         128
        .size:           8
        .value_kind:     global_buffer
      - .offset:         136
        .size:           4
        .value_kind:     by_value
      - .offset:         140
        .size:           4
        .value_kind:     by_value
      - .offset:         144
        .size:           4
        .value_kind:     by_value
      - .offset:         148
        .size:           4
        .value_kind:     by_value
      - .offset:         152
        .size:           1
        .value_kind:     by_value
      - .offset:         153
        .size:           1
        .value_kind:     by_value
      - .offset:         154
        .size:           1
        .value_kind:     by_value
    .group_segment_fixed_size: 0
    .kernarg_segment_align: 8
    .kernarg_segment_size: 156
    .language:       OpenCL C
    .language_version:
      - 2
      - 0
    .max_flat_workgroup_size: 1024
    .name:           _ZN9rocsparseL26csrgemm_fill_block_per_rowILj1024ELj64ELj4096ELj137ELj32Eii21rocsparse_complex_numIfEEEvT5_PKS3_S5_NS_24const_host_device_scalarIT6_EEPKT4_S5_PKS7_SB_S5_SD_S8_SB_S5_SD_SB_PS3_PS7_21rocsparse_index_base_SG_SG_SG_bbb
    .private_segment_fixed_size: 0
    .sgpr_count:     52
    .sgpr_spill_count: 0
    .symbol:         _ZN9rocsparseL26csrgemm_fill_block_per_rowILj1024ELj64ELj4096ELj137ELj32Eii21rocsparse_complex_numIfEEEvT5_PKS3_S5_NS_24const_host_device_scalarIT6_EEPKT4_S5_PKS7_SB_S5_SD_S8_SB_S5_SD_SB_PS3_PS7_21rocsparse_index_base_SG_SG_SG_bbb.kd
    .uniform_work_group_size: 1
    .uses_dynamic_stack: false
    .vgpr_count:     16
    .vgpr_spill_count: 0
    .wavefront_size: 32
    .workgroup_processor_mode: 1
  - .args:
      - .offset:         0
        .size:           4
        .value_kind:     by_value
      - .actual_access:  read_only
        .address_space:  global
        .offset:         8
        .size:           8
        .value_kind:     global_buffer
      - .actual_access:  read_only
        .address_space:  global
        .offset:         16
        .size:           8
        .value_kind:     global_buffer
      - .offset:         24
        .size:           8
        .value_kind:     by_value
      - .actual_access:  read_only
        .address_space:  global
        .offset:         32
        .size:           8
        .value_kind:     global_buffer
      - .actual_access:  read_only
        .address_space:  global
        .offset:         40
        .size:           8
        .value_kind:     global_buffer
      - .actual_access:  read_only
        .address_space:  global
        .offset:         48
        .size:           8
        .value_kind:     global_buffer
      - .actual_access:  read_only
        .address_space:  global
        .offset:         56
        .size:           8
        .value_kind:     global_buffer
      - .actual_access:  read_only
        .address_space:  global
        .offset:         64
        .size:           8
        .value_kind:     global_buffer
      - .actual_access:  read_only
        .address_space:  global
        .offset:         72
        .size:           8
        .value_kind:     global_buffer
      - .offset:         80
        .size:           8
        .value_kind:     by_value
      - .actual_access:  read_only
        .address_space:  global
        .offset:         88
        .size:           8
        .value_kind:     global_buffer
      - .actual_access:  read_only
        .address_space:  global
        .offset:         96
        .size:           8
        .value_kind:     global_buffer
      - .actual_access:  read_only
        .address_space:  global
        .offset:         104
        .size:           8
        .value_kind:     global_buffer
      - .actual_access:  read_only
        .address_space:  global
        .offset:         112
        .size:           8
        .value_kind:     global_buffer
      - .actual_access:  write_only
        .address_space:  global
        .offset:         120
        .size:           8
        .value_kind:     global_buffer
      - .actual_access:  write_only
        .address_space:  global
        .offset:         128
        .size:           8
        .value_kind:     global_buffer
      - .offset:         136
        .size:           4
        .value_kind:     by_value
      - .offset:         140
        .size:           4
        .value_kind:     by_value
      - .offset:         144
        .size:           4
        .value_kind:     by_value
      - .offset:         148
        .size:           4
        .value_kind:     by_value
      - .offset:         152
        .size:           1
        .value_kind:     by_value
      - .offset:         153
        .size:           1
        .value_kind:     by_value
      - .offset:         154
        .size:           1
        .value_kind:     by_value
    .group_segment_fixed_size: 0
    .kernarg_segment_align: 8
    .kernarg_segment_size: 156
    .language:       OpenCL C
    .language_version:
      - 2
      - 0
    .max_flat_workgroup_size: 1024
    .name:           _ZN9rocsparseL26csrgemm_fill_block_per_rowILj1024ELj64ELj4096ELj137ELj64Eii21rocsparse_complex_numIfEEEvT5_PKS3_S5_NS_24const_host_device_scalarIT6_EEPKT4_S5_PKS7_SB_S5_SD_S8_SB_S5_SD_SB_PS3_PS7_21rocsparse_index_base_SG_SG_SG_bbb
    .private_segment_fixed_size: 0
    .sgpr_count:     47
    .sgpr_spill_count: 0
    .symbol:         _ZN9rocsparseL26csrgemm_fill_block_per_rowILj1024ELj64ELj4096ELj137ELj64Eii21rocsparse_complex_numIfEEEvT5_PKS3_S5_NS_24const_host_device_scalarIT6_EEPKT4_S5_PKS7_SB_S5_SD_S8_SB_S5_SD_SB_PS3_PS7_21rocsparse_index_base_SG_SG_SG_bbb.kd
    .uniform_work_group_size: 1
    .uses_dynamic_stack: false
    .vgpr_count:     17
    .vgpr_spill_count: 0
    .wavefront_size: 32
    .workgroup_processor_mode: 1
  - .args:
      - .offset:         0
        .size:           4
        .value_kind:     by_value
      - .actual_access:  read_only
        .address_space:  global
        .offset:         8
        .size:           8
        .value_kind:     global_buffer
      - .actual_access:  read_only
        .address_space:  global
        .offset:         16
        .size:           8
        .value_kind:     global_buffer
      - .offset:         24
        .size:           8
        .value_kind:     by_value
      - .actual_access:  read_only
        .address_space:  global
        .offset:         32
        .size:           8
        .value_kind:     global_buffer
      - .actual_access:  read_only
        .address_space:  global
        .offset:         40
        .size:           8
        .value_kind:     global_buffer
      - .actual_access:  read_only
        .address_space:  global
        .offset:         48
        .size:           8
        .value_kind:     global_buffer
      - .actual_access:  read_only
        .address_space:  global
        .offset:         56
        .size:           8
        .value_kind:     global_buffer
      - .actual_access:  read_only
        .address_space:  global
        .offset:         64
        .size:           8
        .value_kind:     global_buffer
      - .actual_access:  read_only
        .address_space:  global
        .offset:         72
        .size:           8
        .value_kind:     global_buffer
      - .offset:         80
        .size:           8
        .value_kind:     by_value
      - .actual_access:  read_only
        .address_space:  global
        .offset:         88
        .size:           8
        .value_kind:     global_buffer
      - .actual_access:  read_only
        .address_space:  global
        .offset:         96
        .size:           8
        .value_kind:     global_buffer
      - .actual_access:  read_only
        .address_space:  global
        .offset:         104
        .size:           8
        .value_kind:     global_buffer
      - .actual_access:  read_only
        .address_space:  global
        .offset:         112
        .size:           8
        .value_kind:     global_buffer
      - .actual_access:  write_only
        .address_space:  global
        .offset:         120
        .size:           8
        .value_kind:     global_buffer
      - .actual_access:  write_only
        .address_space:  global
        .offset:         128
        .size:           8
        .value_kind:     global_buffer
      - .offset:         136
        .size:           4
        .value_kind:     by_value
      - .offset:         140
        .size:           4
        .value_kind:     by_value
      - .offset:         144
        .size:           4
        .value_kind:     by_value
      - .offset:         148
        .size:           4
        .value_kind:     by_value
      - .offset:         152
        .size:           1
        .value_kind:     by_value
      - .offset:         153
        .size:           1
        .value_kind:     by_value
      - .offset:         154
        .size:           1
        .value_kind:     by_value
    .group_segment_fixed_size: 0
    .kernarg_segment_align: 8
    .kernarg_segment_size: 156
    .language:       OpenCL C
    .language_version:
      - 2
      - 0
    .max_flat_workgroup_size: 1024
    .name:           _ZN9rocsparseL26csrgemm_fill_block_per_rowILj1024ELj64ELj8192ELj137ELj32Eii21rocsparse_complex_numIfEEEvT5_PKS3_S5_NS_24const_host_device_scalarIT6_EEPKT4_S5_PKS7_SB_S5_SD_S8_SB_S5_SD_SB_PS3_PS7_21rocsparse_index_base_SG_SG_SG_bbb
    .private_segment_fixed_size: 0
    .sgpr_count:     78
    .sgpr_spill_count: 0
    .symbol:         _ZN9rocsparseL26csrgemm_fill_block_per_rowILj1024ELj64ELj8192ELj137ELj32Eii21rocsparse_complex_numIfEEEvT5_PKS3_S5_NS_24const_host_device_scalarIT6_EEPKT4_S5_PKS7_SB_S5_SD_S8_SB_S5_SD_SB_PS3_PS7_21rocsparse_index_base_SG_SG_SG_bbb.kd
    .uniform_work_group_size: 1
    .uses_dynamic_stack: false
    .vgpr_count:     15
    .vgpr_spill_count: 0
    .wavefront_size: 32
    .workgroup_processor_mode: 1
  - .args:
      - .offset:         0
        .size:           4
        .value_kind:     by_value
      - .actual_access:  read_only
        .address_space:  global
        .offset:         8
        .size:           8
        .value_kind:     global_buffer
      - .actual_access:  read_only
        .address_space:  global
        .offset:         16
        .size:           8
        .value_kind:     global_buffer
      - .offset:         24
        .size:           8
        .value_kind:     by_value
      - .actual_access:  read_only
        .address_space:  global
        .offset:         32
        .size:           8
        .value_kind:     global_buffer
      - .actual_access:  read_only
        .address_space:  global
        .offset:         40
        .size:           8
        .value_kind:     global_buffer
      - .actual_access:  read_only
        .address_space:  global
        .offset:         48
        .size:           8
        .value_kind:     global_buffer
      - .actual_access:  read_only
        .address_space:  global
        .offset:         56
        .size:           8
        .value_kind:     global_buffer
      - .actual_access:  read_only
        .address_space:  global
        .offset:         64
        .size:           8
        .value_kind:     global_buffer
      - .actual_access:  read_only
        .address_space:  global
        .offset:         72
        .size:           8
        .value_kind:     global_buffer
      - .offset:         80
        .size:           8
        .value_kind:     by_value
      - .actual_access:  read_only
        .address_space:  global
        .offset:         88
        .size:           8
        .value_kind:     global_buffer
      - .actual_access:  read_only
        .address_space:  global
        .offset:         96
        .size:           8
        .value_kind:     global_buffer
      - .actual_access:  read_only
        .address_space:  global
        .offset:         104
        .size:           8
        .value_kind:     global_buffer
      - .actual_access:  read_only
        .address_space:  global
        .offset:         112
        .size:           8
        .value_kind:     global_buffer
      - .actual_access:  write_only
        .address_space:  global
        .offset:         120
        .size:           8
        .value_kind:     global_buffer
      - .actual_access:  write_only
        .address_space:  global
        .offset:         128
        .size:           8
        .value_kind:     global_buffer
      - .offset:         136
        .size:           4
        .value_kind:     by_value
      - .offset:         140
        .size:           4
        .value_kind:     by_value
      - .offset:         144
        .size:           4
        .value_kind:     by_value
      - .offset:         148
        .size:           4
        .value_kind:     by_value
      - .offset:         152
        .size:           1
        .value_kind:     by_value
      - .offset:         153
        .size:           1
        .value_kind:     by_value
      - .offset:         154
        .size:           1
        .value_kind:     by_value
    .group_segment_fixed_size: 0
    .kernarg_segment_align: 8
    .kernarg_segment_size: 156
    .language:       OpenCL C
    .language_version:
      - 2
      - 0
    .max_flat_workgroup_size: 1024
    .name:           _ZN9rocsparseL26csrgemm_fill_block_per_rowILj1024ELj64ELj8192ELj137ELj64Eii21rocsparse_complex_numIfEEEvT5_PKS3_S5_NS_24const_host_device_scalarIT6_EEPKT4_S5_PKS7_SB_S5_SD_S8_SB_S5_SD_SB_PS3_PS7_21rocsparse_index_base_SG_SG_SG_bbb
    .private_segment_fixed_size: 0
    .sgpr_count:     47
    .sgpr_spill_count: 0
    .symbol:         _ZN9rocsparseL26csrgemm_fill_block_per_rowILj1024ELj64ELj8192ELj137ELj64Eii21rocsparse_complex_numIfEEEvT5_PKS3_S5_NS_24const_host_device_scalarIT6_EEPKT4_S5_PKS7_SB_S5_SD_S8_SB_S5_SD_SB_PS3_PS7_21rocsparse_index_base_SG_SG_SG_bbb.kd
    .uniform_work_group_size: 1
    .uses_dynamic_stack: false
    .vgpr_count:     16
    .vgpr_spill_count: 0
    .wavefront_size: 32
    .workgroup_processor_mode: 1
  - .args:
      - .offset:         0
        .size:           4
        .value_kind:     by_value
      - .actual_access:  read_only
        .address_space:  global
        .offset:         8
        .size:           8
        .value_kind:     global_buffer
      - .actual_access:  read_only
        .address_space:  global
        .offset:         16
        .size:           8
        .value_kind:     global_buffer
      - .offset:         24
        .size:           8
        .value_kind:     by_value
      - .actual_access:  read_only
        .address_space:  global
        .offset:         32
        .size:           8
        .value_kind:     global_buffer
      - .actual_access:  read_only
        .address_space:  global
        .offset:         40
        .size:           8
        .value_kind:     global_buffer
      - .actual_access:  read_only
        .address_space:  global
        .offset:         48
        .size:           8
        .value_kind:     global_buffer
      - .actual_access:  read_only
        .address_space:  global
        .offset:         56
        .size:           8
        .value_kind:     global_buffer
      - .actual_access:  read_only
        .address_space:  global
        .offset:         64
        .size:           8
        .value_kind:     global_buffer
      - .actual_access:  read_only
        .address_space:  global
        .offset:         72
        .size:           8
        .value_kind:     global_buffer
      - .offset:         80
        .size:           8
        .value_kind:     by_value
      - .actual_access:  read_only
        .address_space:  global
        .offset:         88
        .size:           8
        .value_kind:     global_buffer
      - .actual_access:  read_only
        .address_space:  global
        .offset:         96
        .size:           8
        .value_kind:     global_buffer
      - .actual_access:  read_only
        .address_space:  global
        .offset:         104
        .size:           8
        .value_kind:     global_buffer
      - .actual_access:  read_only
        .address_space:  global
        .offset:         112
        .size:           8
        .value_kind:     global_buffer
      - .actual_access:  write_only
        .address_space:  global
        .offset:         120
        .size:           8
        .value_kind:     global_buffer
      - .actual_access:  write_only
        .address_space:  global
        .offset:         128
        .size:           8
        .value_kind:     global_buffer
      - .offset:         136
        .size:           4
        .value_kind:     by_value
      - .offset:         140
        .size:           4
        .value_kind:     by_value
      - .offset:         144
        .size:           4
        .value_kind:     by_value
      - .offset:         148
        .size:           4
        .value_kind:     by_value
      - .offset:         152
        .size:           1
        .value_kind:     by_value
      - .offset:         153
        .size:           1
        .value_kind:     by_value
      - .offset:         154
        .size:           1
        .value_kind:     by_value
    .group_segment_fixed_size: 0
    .kernarg_segment_align: 8
    .kernarg_segment_size: 156
    .language:       OpenCL C
    .language_version:
      - 2
      - 0
    .max_flat_workgroup_size: 1024
    .name:           _ZN9rocsparseL26csrgemm_fill_block_per_rowILj1024ELj64ELj16384ELj137ELj32Eii21rocsparse_complex_numIfEEEvT5_PKS3_S5_NS_24const_host_device_scalarIT6_EEPKT4_S5_PKS7_SB_S5_SD_S8_SB_S5_SD_SB_PS3_PS7_21rocsparse_index_base_SG_SG_SG_bbb
    .private_segment_fixed_size: 0
    .sgpr_count:     78
    .sgpr_spill_count: 0
    .symbol:         _ZN9rocsparseL26csrgemm_fill_block_per_rowILj1024ELj64ELj16384ELj137ELj32Eii21rocsparse_complex_numIfEEEvT5_PKS3_S5_NS_24const_host_device_scalarIT6_EEPKT4_S5_PKS7_SB_S5_SD_S8_SB_S5_SD_SB_PS3_PS7_21rocsparse_index_base_SG_SG_SG_bbb.kd
    .uniform_work_group_size: 1
    .uses_dynamic_stack: false
    .vgpr_count:     16
    .vgpr_spill_count: 0
    .wavefront_size: 32
    .workgroup_processor_mode: 1
  - .args:
      - .offset:         0
        .size:           4
        .value_kind:     by_value
      - .actual_access:  read_only
        .address_space:  global
        .offset:         8
        .size:           8
        .value_kind:     global_buffer
      - .actual_access:  read_only
        .address_space:  global
        .offset:         16
        .size:           8
        .value_kind:     global_buffer
      - .offset:         24
        .size:           8
        .value_kind:     by_value
      - .actual_access:  read_only
        .address_space:  global
        .offset:         32
        .size:           8
        .value_kind:     global_buffer
      - .actual_access:  read_only
        .address_space:  global
        .offset:         40
        .size:           8
        .value_kind:     global_buffer
      - .actual_access:  read_only
        .address_space:  global
        .offset:         48
        .size:           8
        .value_kind:     global_buffer
      - .actual_access:  read_only
        .address_space:  global
        .offset:         56
        .size:           8
        .value_kind:     global_buffer
      - .actual_access:  read_only
        .address_space:  global
        .offset:         64
        .size:           8
        .value_kind:     global_buffer
      - .actual_access:  read_only
        .address_space:  global
        .offset:         72
        .size:           8
        .value_kind:     global_buffer
      - .offset:         80
        .size:           8
        .value_kind:     by_value
      - .actual_access:  read_only
        .address_space:  global
        .offset:         88
        .size:           8
        .value_kind:     global_buffer
      - .actual_access:  read_only
        .address_space:  global
        .offset:         96
        .size:           8
        .value_kind:     global_buffer
      - .actual_access:  read_only
        .address_space:  global
        .offset:         104
        .size:           8
        .value_kind:     global_buffer
      - .actual_access:  read_only
        .address_space:  global
        .offset:         112
        .size:           8
        .value_kind:     global_buffer
      - .actual_access:  write_only
        .address_space:  global
        .offset:         120
        .size:           8
        .value_kind:     global_buffer
      - .actual_access:  write_only
        .address_space:  global
        .offset:         128
        .size:           8
        .value_kind:     global_buffer
      - .offset:         136
        .size:           4
        .value_kind:     by_value
      - .offset:         140
        .size:           4
        .value_kind:     by_value
      - .offset:         144
        .size:           4
        .value_kind:     by_value
      - .offset:         148
        .size:           4
        .value_kind:     by_value
      - .offset:         152
        .size:           1
        .value_kind:     by_value
      - .offset:         153
        .size:           1
        .value_kind:     by_value
      - .offset:         154
        .size:           1
        .value_kind:     by_value
    .group_segment_fixed_size: 0
    .kernarg_segment_align: 8
    .kernarg_segment_size: 156
    .language:       OpenCL C
    .language_version:
      - 2
      - 0
    .max_flat_workgroup_size: 1024
    .name:           _ZN9rocsparseL26csrgemm_fill_block_per_rowILj1024ELj64ELj16384ELj137ELj64Eii21rocsparse_complex_numIfEEEvT5_PKS3_S5_NS_24const_host_device_scalarIT6_EEPKT4_S5_PKS7_SB_S5_SD_S8_SB_S5_SD_SB_PS3_PS7_21rocsparse_index_base_SG_SG_SG_bbb
    .private_segment_fixed_size: 0
    .sgpr_count:     47
    .sgpr_spill_count: 0
    .symbol:         _ZN9rocsparseL26csrgemm_fill_block_per_rowILj1024ELj64ELj16384ELj137ELj64Eii21rocsparse_complex_numIfEEEvT5_PKS3_S5_NS_24const_host_device_scalarIT6_EEPKT4_S5_PKS7_SB_S5_SD_S8_SB_S5_SD_SB_PS3_PS7_21rocsparse_index_base_SG_SG_SG_bbb.kd
    .uniform_work_group_size: 1
    .uses_dynamic_stack: false
    .vgpr_count:     17
    .vgpr_spill_count: 0
    .wavefront_size: 32
    .workgroup_processor_mode: 1
  - .args:
      - .offset:         0
        .size:           4
        .value_kind:     by_value
      - .actual_access:  read_only
        .address_space:  global
        .offset:         8
        .size:           8
        .value_kind:     global_buffer
      - .actual_access:  read_only
        .address_space:  global
        .offset:         16
        .size:           8
        .value_kind:     global_buffer
      - .offset:         24
        .size:           8
        .value_kind:     by_value
      - .actual_access:  read_only
        .address_space:  global
        .offset:         32
        .size:           8
        .value_kind:     global_buffer
      - .actual_access:  read_only
        .address_space:  global
        .offset:         40
        .size:           8
        .value_kind:     global_buffer
      - .actual_access:  read_only
        .address_space:  global
        .offset:         48
        .size:           8
        .value_kind:     global_buffer
      - .actual_access:  read_only
        .address_space:  global
        .offset:         56
        .size:           8
        .value_kind:     global_buffer
      - .actual_access:  read_only
        .address_space:  global
        .offset:         64
        .size:           8
        .value_kind:     global_buffer
      - .actual_access:  read_only
        .address_space:  global
        .offset:         72
        .size:           8
        .value_kind:     global_buffer
      - .offset:         80
        .size:           8
        .value_kind:     by_value
      - .actual_access:  read_only
        .address_space:  global
        .offset:         88
        .size:           8
        .value_kind:     global_buffer
      - .actual_access:  read_only
        .address_space:  global
        .offset:         96
        .size:           8
        .value_kind:     global_buffer
      - .actual_access:  read_only
        .address_space:  global
        .offset:         104
        .size:           8
        .value_kind:     global_buffer
      - .actual_access:  read_only
        .address_space:  global
        .offset:         112
        .size:           8
        .value_kind:     global_buffer
      - .actual_access:  write_only
        .address_space:  global
        .offset:         120
        .size:           8
        .value_kind:     global_buffer
      - .actual_access:  write_only
        .address_space:  global
        .offset:         128
        .size:           8
        .value_kind:     global_buffer
      - .offset:         136
        .size:           4
        .value_kind:     by_value
      - .offset:         140
        .size:           4
        .value_kind:     by_value
      - .offset:         144
        .size:           4
        .value_kind:     by_value
      - .offset:         148
        .size:           4
        .value_kind:     by_value
      - .offset:         152
        .size:           1
        .value_kind:     by_value
      - .offset:         153
        .size:           1
        .value_kind:     by_value
      - .offset:         154
        .size:           1
        .value_kind:     by_value
    .group_segment_fixed_size: 0
    .kernarg_segment_align: 8
    .kernarg_segment_size: 156
    .language:       OpenCL C
    .language_version:
      - 2
      - 0
    .max_flat_workgroup_size: 1024
    .name:           _ZN9rocsparseL26csrgemm_fill_block_per_rowILj1024ELj64ELj32768ELj137ELj32Eii21rocsparse_complex_numIfEEEvT5_PKS3_S5_NS_24const_host_device_scalarIT6_EEPKT4_S5_PKS7_SB_S5_SD_S8_SB_S5_SD_SB_PS3_PS7_21rocsparse_index_base_SG_SG_SG_bbb
    .private_segment_fixed_size: 0
    .sgpr_count:     78
    .sgpr_spill_count: 0
    .symbol:         _ZN9rocsparseL26csrgemm_fill_block_per_rowILj1024ELj64ELj32768ELj137ELj32Eii21rocsparse_complex_numIfEEEvT5_PKS3_S5_NS_24const_host_device_scalarIT6_EEPKT4_S5_PKS7_SB_S5_SD_S8_SB_S5_SD_SB_PS3_PS7_21rocsparse_index_base_SG_SG_SG_bbb.kd
    .uniform_work_group_size: 1
    .uses_dynamic_stack: false
    .vgpr_count:     16
    .vgpr_spill_count: 0
    .wavefront_size: 32
    .workgroup_processor_mode: 1
  - .args:
      - .offset:         0
        .size:           4
        .value_kind:     by_value
      - .actual_access:  read_only
        .address_space:  global
        .offset:         8
        .size:           8
        .value_kind:     global_buffer
      - .actual_access:  read_only
        .address_space:  global
        .offset:         16
        .size:           8
        .value_kind:     global_buffer
      - .offset:         24
        .size:           8
        .value_kind:     by_value
      - .actual_access:  read_only
        .address_space:  global
        .offset:         32
        .size:           8
        .value_kind:     global_buffer
      - .actual_access:  read_only
        .address_space:  global
        .offset:         40
        .size:           8
        .value_kind:     global_buffer
      - .actual_access:  read_only
        .address_space:  global
        .offset:         48
        .size:           8
        .value_kind:     global_buffer
      - .actual_access:  read_only
        .address_space:  global
        .offset:         56
        .size:           8
        .value_kind:     global_buffer
      - .actual_access:  read_only
        .address_space:  global
        .offset:         64
        .size:           8
        .value_kind:     global_buffer
      - .actual_access:  read_only
        .address_space:  global
        .offset:         72
        .size:           8
        .value_kind:     global_buffer
      - .offset:         80
        .size:           8
        .value_kind:     by_value
      - .actual_access:  read_only
        .address_space:  global
        .offset:         88
        .size:           8
        .value_kind:     global_buffer
      - .actual_access:  read_only
        .address_space:  global
        .offset:         96
        .size:           8
        .value_kind:     global_buffer
      - .actual_access:  read_only
        .address_space:  global
        .offset:         104
        .size:           8
        .value_kind:     global_buffer
      - .actual_access:  read_only
        .address_space:  global
        .offset:         112
        .size:           8
        .value_kind:     global_buffer
      - .actual_access:  write_only
        .address_space:  global
        .offset:         120
        .size:           8
        .value_kind:     global_buffer
      - .actual_access:  write_only
        .address_space:  global
        .offset:         128
        .size:           8
        .value_kind:     global_buffer
      - .offset:         136
        .size:           4
        .value_kind:     by_value
      - .offset:         140
        .size:           4
        .value_kind:     by_value
      - .offset:         144
        .size:           4
        .value_kind:     by_value
      - .offset:         148
        .size:           4
        .value_kind:     by_value
      - .offset:         152
        .size:           1
        .value_kind:     by_value
      - .offset:         153
        .size:           1
        .value_kind:     by_value
      - .offset:         154
        .size:           1
        .value_kind:     by_value
    .group_segment_fixed_size: 0
    .kernarg_segment_align: 8
    .kernarg_segment_size: 156
    .language:       OpenCL C
    .language_version:
      - 2
      - 0
    .max_flat_workgroup_size: 1024
    .name:           _ZN9rocsparseL26csrgemm_fill_block_per_rowILj1024ELj64ELj32768ELj137ELj64Eii21rocsparse_complex_numIfEEEvT5_PKS3_S5_NS_24const_host_device_scalarIT6_EEPKT4_S5_PKS7_SB_S5_SD_S8_SB_S5_SD_SB_PS3_PS7_21rocsparse_index_base_SG_SG_SG_bbb
    .private_segment_fixed_size: 0
    .sgpr_count:     47
    .sgpr_spill_count: 0
    .symbol:         _ZN9rocsparseL26csrgemm_fill_block_per_rowILj1024ELj64ELj32768ELj137ELj64Eii21rocsparse_complex_numIfEEEvT5_PKS3_S5_NS_24const_host_device_scalarIT6_EEPKT4_S5_PKS7_SB_S5_SD_S8_SB_S5_SD_SB_PS3_PS7_21rocsparse_index_base_SG_SG_SG_bbb.kd
    .uniform_work_group_size: 1
    .uses_dynamic_stack: false
    .vgpr_count:     17
    .vgpr_spill_count: 0
    .wavefront_size: 32
    .workgroup_processor_mode: 1
  - .args:
      - .offset:         0
        .size:           4
        .value_kind:     by_value
      - .actual_access:  read_only
        .address_space:  global
        .offset:         8
        .size:           8
        .value_kind:     global_buffer
      - .actual_access:  read_only
        .address_space:  global
        .offset:         16
        .size:           8
        .value_kind:     global_buffer
      - .offset:         24
        .size:           8
        .value_kind:     by_value
      - .actual_access:  read_only
        .address_space:  global
        .offset:         32
        .size:           8
        .value_kind:     global_buffer
      - .actual_access:  read_only
        .address_space:  global
        .offset:         40
        .size:           8
        .value_kind:     global_buffer
      - .actual_access:  read_only
        .address_space:  global
        .offset:         48
        .size:           8
        .value_kind:     global_buffer
      - .actual_access:  read_only
        .address_space:  global
        .offset:         56
        .size:           8
        .value_kind:     global_buffer
      - .actual_access:  read_only
        .address_space:  global
        .offset:         64
        .size:           8
        .value_kind:     global_buffer
      - .actual_access:  read_only
        .address_space:  global
        .offset:         72
        .size:           8
        .value_kind:     global_buffer
      - .offset:         80
        .size:           8
        .value_kind:     by_value
      - .actual_access:  read_only
        .address_space:  global
        .offset:         88
        .size:           8
        .value_kind:     global_buffer
      - .actual_access:  read_only
        .address_space:  global
        .offset:         96
        .size:           8
        .value_kind:     global_buffer
      - .actual_access:  read_only
        .address_space:  global
        .offset:         104
        .size:           8
        .value_kind:     global_buffer
      - .actual_access:  read_only
        .address_space:  global
        .offset:         112
        .size:           8
        .value_kind:     global_buffer
      - .actual_access:  write_only
        .address_space:  global
        .offset:         120
        .size:           8
        .value_kind:     global_buffer
      - .actual_access:  write_only
        .address_space:  global
        .offset:         128
        .size:           8
        .value_kind:     global_buffer
      - .address_space:  global
        .offset:         136
        .size:           8
        .value_kind:     global_buffer
      - .offset:         144
        .size:           4
        .value_kind:     by_value
      - .offset:         148
        .size:           4
        .value_kind:     by_value
      - .offset:         152
        .size:           4
        .value_kind:     by_value
      - .offset:         156
        .size:           4
        .value_kind:     by_value
      - .offset:         160
        .size:           1
        .value_kind:     by_value
      - .offset:         161
        .size:           1
        .value_kind:     by_value
      - .offset:         162
        .size:           1
        .value_kind:     by_value
    .group_segment_fixed_size: 18436
    .kernarg_segment_align: 8
    .kernarg_segment_size: 164
    .language:       OpenCL C
    .language_version:
      - 2
      - 0
    .max_flat_workgroup_size: 512
    .name:           _ZN9rocsparseL36csrgemm_fill_block_per_row_multipassILj512ELj16ELj2048ELj32Eii21rocsparse_complex_numIfEEEvT4_PKS3_S5_NS_24const_host_device_scalarIT5_EEPKT3_S5_PKS7_SB_S5_SD_S8_SB_S5_SD_SB_PS3_PS7_PS9_21rocsparse_index_base_SH_SH_SH_bbb
    .private_segment_fixed_size: 0
    .sgpr_count:     68
    .sgpr_spill_count: 0
    .symbol:         _ZN9rocsparseL36csrgemm_fill_block_per_row_multipassILj512ELj16ELj2048ELj32Eii21rocsparse_complex_numIfEEEvT4_PKS3_S5_NS_24const_host_device_scalarIT5_EEPKT3_S5_PKS7_SB_S5_SD_S8_SB_S5_SD_SB_PS3_PS7_PS9_21rocsparse_index_base_SH_SH_SH_bbb.kd
    .uniform_work_group_size: 1
    .uses_dynamic_stack: false
    .vgpr_count:     37
    .vgpr_spill_count: 0
    .wavefront_size: 32
    .workgroup_processor_mode: 1
  - .args:
      - .offset:         0
        .size:           4
        .value_kind:     by_value
      - .actual_access:  read_only
        .address_space:  global
        .offset:         8
        .size:           8
        .value_kind:     global_buffer
      - .actual_access:  read_only
        .address_space:  global
        .offset:         16
        .size:           8
        .value_kind:     global_buffer
      - .offset:         24
        .size:           8
        .value_kind:     by_value
      - .actual_access:  read_only
        .address_space:  global
        .offset:         32
        .size:           8
        .value_kind:     global_buffer
      - .actual_access:  read_only
        .address_space:  global
        .offset:         40
        .size:           8
        .value_kind:     global_buffer
      - .actual_access:  read_only
        .address_space:  global
        .offset:         48
        .size:           8
        .value_kind:     global_buffer
      - .actual_access:  read_only
        .address_space:  global
        .offset:         56
        .size:           8
        .value_kind:     global_buffer
      - .actual_access:  read_only
        .address_space:  global
        .offset:         64
        .size:           8
        .value_kind:     global_buffer
      - .actual_access:  read_only
        .address_space:  global
        .offset:         72
        .size:           8
        .value_kind:     global_buffer
      - .offset:         80
        .size:           8
        .value_kind:     by_value
      - .actual_access:  read_only
        .address_space:  global
        .offset:         88
        .size:           8
        .value_kind:     global_buffer
      - .actual_access:  read_only
        .address_space:  global
        .offset:         96
        .size:           8
        .value_kind:     global_buffer
      - .actual_access:  read_only
        .address_space:  global
        .offset:         104
        .size:           8
        .value_kind:     global_buffer
      - .actual_access:  read_only
        .address_space:  global
        .offset:         112
        .size:           8
        .value_kind:     global_buffer
      - .actual_access:  write_only
        .address_space:  global
        .offset:         120
        .size:           8
        .value_kind:     global_buffer
      - .actual_access:  write_only
        .address_space:  global
        .offset:         128
        .size:           8
        .value_kind:     global_buffer
      - .address_space:  global
        .offset:         136
        .size:           8
        .value_kind:     global_buffer
      - .offset:         144
        .size:           4
        .value_kind:     by_value
      - .offset:         148
        .size:           4
        .value_kind:     by_value
      - .offset:         152
        .size:           4
        .value_kind:     by_value
      - .offset:         156
        .size:           4
        .value_kind:     by_value
      - .offset:         160
        .size:           1
        .value_kind:     by_value
      - .offset:         161
        .size:           1
        .value_kind:     by_value
      - .offset:         162
        .size:           1
        .value_kind:     by_value
    .group_segment_fixed_size: 18436
    .kernarg_segment_align: 8
    .kernarg_segment_size: 164
    .language:       OpenCL C
    .language_version:
      - 2
      - 0
    .max_flat_workgroup_size: 512
    .name:           _ZN9rocsparseL36csrgemm_fill_block_per_row_multipassILj512ELj16ELj2048ELj64Eii21rocsparse_complex_numIfEEEvT4_PKS3_S5_NS_24const_host_device_scalarIT5_EEPKT3_S5_PKS7_SB_S5_SD_S8_SB_S5_SD_SB_PS3_PS7_PS9_21rocsparse_index_base_SH_SH_SH_bbb
    .private_segment_fixed_size: 0
    .sgpr_count:     60
    .sgpr_spill_count: 0
    .symbol:         _ZN9rocsparseL36csrgemm_fill_block_per_row_multipassILj512ELj16ELj2048ELj64Eii21rocsparse_complex_numIfEEEvT4_PKS3_S5_NS_24const_host_device_scalarIT5_EEPKT3_S5_PKS7_SB_S5_SD_S8_SB_S5_SD_SB_PS3_PS7_PS9_21rocsparse_index_base_SH_SH_SH_bbb.kd
    .uniform_work_group_size: 1
    .uses_dynamic_stack: false
    .vgpr_count:     33
    .vgpr_spill_count: 0
    .wavefront_size: 32
    .workgroup_processor_mode: 1
  - .args:
      - .offset:         0
        .size:           4
        .value_kind:     by_value
      - .actual_access:  read_only
        .address_space:  global
        .offset:         8
        .size:           8
        .value_kind:     global_buffer
      - .actual_access:  write_only
        .address_space:  global
        .offset:         16
        .size:           8
        .value_kind:     global_buffer
      - .actual_access:  write_only
        .address_space:  global
        .offset:         24
        .size:           8
        .value_kind:     global_buffer
      - .offset:         32
        .size:           4
        .value_kind:     by_value
      - .offset:         40
        .size:           4
        .value_kind:     hidden_block_count_x
      - .offset:         44
        .size:           4
        .value_kind:     hidden_block_count_y
      - .offset:         48
        .size:           4
        .value_kind:     hidden_block_count_z
      - .offset:         52
        .size:           2
        .value_kind:     hidden_group_size_x
      - .offset:         54
        .size:           2
        .value_kind:     hidden_group_size_y
      - .offset:         56
        .size:           2
        .value_kind:     hidden_group_size_z
      - .offset:         58
        .size:           2
        .value_kind:     hidden_remainder_x
      - .offset:         60
        .size:           2
        .value_kind:     hidden_remainder_y
      - .offset:         62
        .size:           2
        .value_kind:     hidden_remainder_z
      - .offset:         80
        .size:           8
        .value_kind:     hidden_global_offset_x
      - .offset:         88
        .size:           8
        .value_kind:     hidden_global_offset_y
      - .offset:         96
        .size:           8
        .value_kind:     hidden_global_offset_z
      - .offset:         104
        .size:           2
        .value_kind:     hidden_grid_dims
    .group_segment_fixed_size: 11264
    .kernarg_segment_align: 8
    .kernarg_segment_size: 296
    .language:       OpenCL C
    .language_version:
      - 2
      - 0
    .max_flat_workgroup_size: 256
    .name:           _ZN9rocsparseL26csrgemm_group_reduce_part2ILj256ELj11E21rocsparse_complex_numIdEiiEEvT3_PKT2_PS3_Pij
    .private_segment_fixed_size: 0
    .sgpr_count:     28
    .sgpr_spill_count: 0
    .symbol:         _ZN9rocsparseL26csrgemm_group_reduce_part2ILj256ELj11E21rocsparse_complex_numIdEiiEEvT3_PKT2_PS3_Pij.kd
    .uniform_work_group_size: 1
    .uses_dynamic_stack: false
    .vgpr_count:     25
    .vgpr_spill_count: 0
    .wavefront_size: 32
    .workgroup_processor_mode: 1
  - .args:
      - .offset:         0
        .size:           4
        .value_kind:     by_value
      - .offset:         4
        .size:           4
        .value_kind:     by_value
      - .actual_access:  read_only
        .address_space:  global
        .offset:         8
        .size:           8
        .value_kind:     global_buffer
      - .actual_access:  read_only
        .address_space:  global
        .offset:         16
        .size:           8
        .value_kind:     global_buffer
      - .offset:         24
        .size:           16
        .value_kind:     by_value
      - .actual_access:  read_only
        .address_space:  global
        .offset:         40
        .size:           8
        .value_kind:     global_buffer
      - .actual_access:  read_only
        .address_space:  global
        .offset:         48
        .size:           8
        .value_kind:     global_buffer
      - .actual_access:  read_only
        .address_space:  global
        .offset:         56
        .size:           8
        .value_kind:     global_buffer
      - .actual_access:  read_only
        .address_space:  global
        .offset:         64
        .size:           8
        .value_kind:     global_buffer
      - .actual_access:  read_only
        .address_space:  global
        .offset:         72
        .size:           8
        .value_kind:     global_buffer
      - .actual_access:  read_only
        .address_space:  global
        .offset:         80
        .size:           8
        .value_kind:     global_buffer
      - .offset:         88
        .size:           16
        .value_kind:     by_value
      - .actual_access:  read_only
        .address_space:  global
        .offset:         104
        .size:           8
        .value_kind:     global_buffer
      - .actual_access:  read_only
        .address_space:  global
        .offset:         112
        .size:           8
        .value_kind:     global_buffer
      - .actual_access:  read_only
        .address_space:  global
        .offset:         120
        .size:           8
        .value_kind:     global_buffer
      - .actual_access:  read_only
        .address_space:  global
        .offset:         128
        .size:           8
        .value_kind:     global_buffer
      - .actual_access:  write_only
        .address_space:  global
        .offset:         136
        .size:           8
        .value_kind:     global_buffer
      - .actual_access:  write_only
        .address_space:  global
        .offset:         144
        .size:           8
        .value_kind:     global_buffer
      - .offset:         152
        .size:           4
        .value_kind:     by_value
      - .offset:         156
        .size:           4
        .value_kind:     by_value
      - .offset:         160
        .size:           4
        .value_kind:     by_value
      - .offset:         164
        .size:           4
        .value_kind:     by_value
      - .offset:         168
        .size:           1
        .value_kind:     by_value
      - .offset:         169
        .size:           1
        .value_kind:     by_value
      - .offset:         170
        .size:           1
        .value_kind:     by_value
    .group_segment_fixed_size: 14336
    .kernarg_segment_align: 8
    .kernarg_segment_size: 172
    .language:       OpenCL C
    .language_version:
      - 2
      - 0
    .max_flat_workgroup_size: 256
    .name:           _ZN9rocsparseL23csrgemm_fill_wf_per_rowILj256ELj8ELj16ELj137Eii21rocsparse_complex_numIdEEEvT4_S3_PKS3_S5_NS_24const_host_device_scalarIT5_EEPKT3_S5_PKS7_SB_S5_SD_S8_SB_S5_SD_SB_PS3_PS7_21rocsparse_index_base_SG_SG_SG_bbb
    .private_segment_fixed_size: 0
    .sgpr_count:     50
    .sgpr_spill_count: 0
    .symbol:         _ZN9rocsparseL23csrgemm_fill_wf_per_rowILj256ELj8ELj16ELj137Eii21rocsparse_complex_numIdEEEvT4_S3_PKS3_S5_NS_24const_host_device_scalarIT5_EEPKT3_S5_PKS7_SB_S5_SD_S8_SB_S5_SD_SB_PS3_PS7_21rocsparse_index_base_SG_SG_SG_bbb.kd
    .uniform_work_group_size: 1
    .uses_dynamic_stack: false
    .vgpr_count:     35
    .vgpr_spill_count: 0
    .wavefront_size: 32
    .workgroup_processor_mode: 1
  - .args:
      - .offset:         0
        .size:           4
        .value_kind:     by_value
      - .offset:         4
        .size:           4
        .value_kind:     by_value
      - .actual_access:  read_only
        .address_space:  global
        .offset:         8
        .size:           8
        .value_kind:     global_buffer
      - .actual_access:  read_only
        .address_space:  global
        .offset:         16
        .size:           8
        .value_kind:     global_buffer
      - .offset:         24
        .size:           16
        .value_kind:     by_value
      - .actual_access:  read_only
        .address_space:  global
        .offset:         40
        .size:           8
        .value_kind:     global_buffer
      - .actual_access:  read_only
        .address_space:  global
        .offset:         48
        .size:           8
        .value_kind:     global_buffer
      - .actual_access:  read_only
        .address_space:  global
        .offset:         56
        .size:           8
        .value_kind:     global_buffer
      - .actual_access:  read_only
        .address_space:  global
        .offset:         64
        .size:           8
        .value_kind:     global_buffer
      - .actual_access:  read_only
        .address_space:  global
        .offset:         72
        .size:           8
        .value_kind:     global_buffer
      - .actual_access:  read_only
        .address_space:  global
        .offset:         80
        .size:           8
        .value_kind:     global_buffer
      - .offset:         88
        .size:           16
        .value_kind:     by_value
      - .actual_access:  read_only
        .address_space:  global
        .offset:         104
        .size:           8
        .value_kind:     global_buffer
      - .actual_access:  read_only
        .address_space:  global
        .offset:         112
        .size:           8
        .value_kind:     global_buffer
      - .actual_access:  read_only
        .address_space:  global
        .offset:         120
        .size:           8
        .value_kind:     global_buffer
      - .actual_access:  read_only
        .address_space:  global
        .offset:         128
        .size:           8
        .value_kind:     global_buffer
      - .actual_access:  write_only
        .address_space:  global
        .offset:         136
        .size:           8
        .value_kind:     global_buffer
      - .actual_access:  write_only
        .address_space:  global
        .offset:         144
        .size:           8
        .value_kind:     global_buffer
      - .offset:         152
        .size:           4
        .value_kind:     by_value
      - .offset:         156
        .size:           4
        .value_kind:     by_value
      - .offset:         160
        .size:           4
        .value_kind:     by_value
      - .offset:         164
        .size:           4
        .value_kind:     by_value
      - .offset:         168
        .size:           1
        .value_kind:     by_value
      - .offset:         169
        .size:           1
        .value_kind:     by_value
      - .offset:         170
        .size:           1
        .value_kind:     by_value
    .group_segment_fixed_size: 14336
    .kernarg_segment_align: 8
    .kernarg_segment_size: 172
    .language:       OpenCL C
    .language_version:
      - 2
      - 0
    .max_flat_workgroup_size: 256
    .name:           _ZN9rocsparseL23csrgemm_fill_wf_per_rowILj256ELj16ELj32ELj137Eii21rocsparse_complex_numIdEEEvT4_S3_PKS3_S5_NS_24const_host_device_scalarIT5_EEPKT3_S5_PKS7_SB_S5_SD_S8_SB_S5_SD_SB_PS3_PS7_21rocsparse_index_base_SG_SG_SG_bbb
    .private_segment_fixed_size: 0
    .sgpr_count:     50
    .sgpr_spill_count: 0
    .symbol:         _ZN9rocsparseL23csrgemm_fill_wf_per_rowILj256ELj16ELj32ELj137Eii21rocsparse_complex_numIdEEEvT4_S3_PKS3_S5_NS_24const_host_device_scalarIT5_EEPKT3_S5_PKS7_SB_S5_SD_S8_SB_S5_SD_SB_PS3_PS7_21rocsparse_index_base_SG_SG_SG_bbb.kd
    .uniform_work_group_size: 1
    .uses_dynamic_stack: false
    .vgpr_count:     39
    .vgpr_spill_count: 0
    .wavefront_size: 32
    .workgroup_processor_mode: 1
  - .args:
      - .offset:         0
        .size:           4
        .value_kind:     by_value
      - .actual_access:  read_only
        .address_space:  global
        .offset:         8
        .size:           8
        .value_kind:     global_buffer
      - .actual_access:  read_only
        .address_space:  global
        .offset:         16
        .size:           8
        .value_kind:     global_buffer
      - .offset:         24
        .size:           16
        .value_kind:     by_value
      - .actual_access:  read_only
        .address_space:  global
        .offset:         40
        .size:           8
        .value_kind:     global_buffer
      - .actual_access:  read_only
        .address_space:  global
        .offset:         48
        .size:           8
        .value_kind:     global_buffer
      - .actual_access:  read_only
        .address_space:  global
        .offset:         56
        .size:           8
        .value_kind:     global_buffer
      - .actual_access:  read_only
        .address_space:  global
        .offset:         64
        .size:           8
        .value_kind:     global_buffer
      - .actual_access:  read_only
        .address_space:  global
        .offset:         72
        .size:           8
        .value_kind:     global_buffer
      - .actual_access:  read_only
        .address_space:  global
        .offset:         80
        .size:           8
        .value_kind:     global_buffer
      - .offset:         88
        .size:           16
        .value_kind:     by_value
      - .actual_access:  read_only
        .address_space:  global
        .offset:         104
        .size:           8
        .value_kind:     global_buffer
      - .actual_access:  read_only
        .address_space:  global
        .offset:         112
        .size:           8
        .value_kind:     global_buffer
      - .actual_access:  read_only
        .address_space:  global
        .offset:         120
        .size:           8
        .value_kind:     global_buffer
      - .actual_access:  read_only
        .address_space:  global
        .offset:         128
        .size:           8
        .value_kind:     global_buffer
      - .actual_access:  write_only
        .address_space:  global
        .offset:         136
        .size:           8
        .value_kind:     global_buffer
      - .actual_access:  write_only
        .address_space:  global
        .offset:         144
        .size:           8
        .value_kind:     global_buffer
      - .offset:         152
        .size:           4
        .value_kind:     by_value
      - .offset:         156
        .size:           4
        .value_kind:     by_value
      - .offset:         160
        .size:           4
        .value_kind:     by_value
      - .offset:         164
        .size:           4
        .value_kind:     by_value
      - .offset:         168
        .size:           1
        .value_kind:     by_value
      - .offset:         169
        .size:           1
        .value_kind:     by_value
      - .offset:         170
        .size:           1
        .value_kind:     by_value
    .group_segment_fixed_size: 0
    .kernarg_segment_align: 8
    .kernarg_segment_size: 172
    .language:       OpenCL C
    .language_version:
      - 2
      - 0
    .max_flat_workgroup_size: 128
    .name:           _ZN9rocsparseL26csrgemm_fill_block_per_rowILj128ELj16ELj256ELj137ELj32Eii21rocsparse_complex_numIdEEEvT5_PKS3_S5_NS_24const_host_device_scalarIT6_EEPKT4_S5_PKS7_SB_S5_SD_S8_SB_S5_SD_SB_PS3_PS7_21rocsparse_index_base_SG_SG_SG_bbb
    .private_segment_fixed_size: 40
    .sgpr_count:     46
    .sgpr_spill_count: 0
    .symbol:         _ZN9rocsparseL26csrgemm_fill_block_per_rowILj128ELj16ELj256ELj137ELj32Eii21rocsparse_complex_numIdEEEvT5_PKS3_S5_NS_24const_host_device_scalarIT6_EEPKT4_S5_PKS7_SB_S5_SD_S8_SB_S5_SD_SB_PS3_PS7_21rocsparse_index_base_SG_SG_SG_bbb.kd
    .uniform_work_group_size: 1
    .uses_dynamic_stack: false
    .vgpr_count:     31
    .vgpr_spill_count: 0
    .wavefront_size: 32
    .workgroup_processor_mode: 1
  - .args:
      - .offset:         0
        .size:           4
        .value_kind:     by_value
      - .actual_access:  read_only
        .address_space:  global
        .offset:         8
        .size:           8
        .value_kind:     global_buffer
      - .actual_access:  read_only
        .address_space:  global
        .offset:         16
        .size:           8
        .value_kind:     global_buffer
      - .offset:         24
        .size:           16
        .value_kind:     by_value
      - .actual_access:  read_only
        .address_space:  global
        .offset:         40
        .size:           8
        .value_kind:     global_buffer
      - .actual_access:  read_only
        .address_space:  global
        .offset:         48
        .size:           8
        .value_kind:     global_buffer
      - .actual_access:  read_only
        .address_space:  global
        .offset:         56
        .size:           8
        .value_kind:     global_buffer
      - .actual_access:  read_only
        .address_space:  global
        .offset:         64
        .size:           8
        .value_kind:     global_buffer
      - .actual_access:  read_only
        .address_space:  global
        .offset:         72
        .size:           8
        .value_kind:     global_buffer
      - .actual_access:  read_only
        .address_space:  global
        .offset:         80
        .size:           8
        .value_kind:     global_buffer
      - .offset:         88
        .size:           16
        .value_kind:     by_value
      - .actual_access:  read_only
        .address_space:  global
        .offset:         104
        .size:           8
        .value_kind:     global_buffer
      - .actual_access:  read_only
        .address_space:  global
        .offset:         112
        .size:           8
        .value_kind:     global_buffer
      - .actual_access:  read_only
        .address_space:  global
        .offset:         120
        .size:           8
        .value_kind:     global_buffer
      - .actual_access:  read_only
        .address_space:  global
        .offset:         128
        .size:           8
        .value_kind:     global_buffer
      - .actual_access:  write_only
        .address_space:  global
        .offset:         136
        .size:           8
        .value_kind:     global_buffer
      - .actual_access:  write_only
        .address_space:  global
        .offset:         144
        .size:           8
        .value_kind:     global_buffer
      - .offset:         152
        .size:           4
        .value_kind:     by_value
      - .offset:         156
        .size:           4
        .value_kind:     by_value
      - .offset:         160
        .size:           4
        .value_kind:     by_value
      - .offset:         164
        .size:           4
        .value_kind:     by_value
      - .offset:         168
        .size:           1
        .value_kind:     by_value
      - .offset:         169
        .size:           1
        .value_kind:     by_value
      - .offset:         170
        .size:           1
        .value_kind:     by_value
    .group_segment_fixed_size: 0
    .kernarg_segment_align: 8
    .kernarg_segment_size: 172
    .language:       OpenCL C
    .language_version:
      - 2
      - 0
    .max_flat_workgroup_size: 128
    .name:           _ZN9rocsparseL26csrgemm_fill_block_per_rowILj128ELj16ELj256ELj137ELj64Eii21rocsparse_complex_numIdEEEvT5_PKS3_S5_NS_24const_host_device_scalarIT6_EEPKT4_S5_PKS7_SB_S5_SD_S8_SB_S5_SD_SB_PS3_PS7_21rocsparse_index_base_SG_SG_SG_bbb
    .private_segment_fixed_size: 40
    .sgpr_count:     46
    .sgpr_spill_count: 0
    .symbol:         _ZN9rocsparseL26csrgemm_fill_block_per_rowILj128ELj16ELj256ELj137ELj64Eii21rocsparse_complex_numIdEEEvT5_PKS3_S5_NS_24const_host_device_scalarIT6_EEPKT4_S5_PKS7_SB_S5_SD_S8_SB_S5_SD_SB_PS3_PS7_21rocsparse_index_base_SG_SG_SG_bbb.kd
    .uniform_work_group_size: 1
    .uses_dynamic_stack: false
    .vgpr_count:     32
    .vgpr_spill_count: 0
    .wavefront_size: 32
    .workgroup_processor_mode: 1
  - .args:
      - .offset:         0
        .size:           4
        .value_kind:     by_value
      - .actual_access:  read_only
        .address_space:  global
        .offset:         8
        .size:           8
        .value_kind:     global_buffer
      - .actual_access:  read_only
        .address_space:  global
        .offset:         16
        .size:           8
        .value_kind:     global_buffer
      - .offset:         24
        .size:           16
        .value_kind:     by_value
      - .actual_access:  read_only
        .address_space:  global
        .offset:         40
        .size:           8
        .value_kind:     global_buffer
      - .actual_access:  read_only
        .address_space:  global
        .offset:         48
        .size:           8
        .value_kind:     global_buffer
      - .actual_access:  read_only
        .address_space:  global
        .offset:         56
        .size:           8
        .value_kind:     global_buffer
      - .actual_access:  read_only
        .address_space:  global
        .offset:         64
        .size:           8
        .value_kind:     global_buffer
      - .actual_access:  read_only
        .address_space:  global
        .offset:         72
        .size:           8
        .value_kind:     global_buffer
      - .actual_access:  read_only
        .address_space:  global
        .offset:         80
        .size:           8
        .value_kind:     global_buffer
      - .offset:         88
        .size:           16
        .value_kind:     by_value
      - .actual_access:  read_only
        .address_space:  global
        .offset:         104
        .size:           8
        .value_kind:     global_buffer
      - .actual_access:  read_only
        .address_space:  global
        .offset:         112
        .size:           8
        .value_kind:     global_buffer
      - .actual_access:  read_only
        .address_space:  global
        .offset:         120
        .size:           8
        .value_kind:     global_buffer
      - .actual_access:  read_only
        .address_space:  global
        .offset:         128
        .size:           8
        .value_kind:     global_buffer
      - .actual_access:  write_only
        .address_space:  global
        .offset:         136
        .size:           8
        .value_kind:     global_buffer
      - .actual_access:  write_only
        .address_space:  global
        .offset:         144
        .size:           8
        .value_kind:     global_buffer
      - .offset:         152
        .size:           4
        .value_kind:     by_value
      - .offset:         156
        .size:           4
        .value_kind:     by_value
      - .offset:         160
        .size:           4
        .value_kind:     by_value
      - .offset:         164
        .size:           4
        .value_kind:     by_value
      - .offset:         168
        .size:           1
        .value_kind:     by_value
      - .offset:         169
        .size:           1
        .value_kind:     by_value
      - .offset:         170
        .size:           1
        .value_kind:     by_value
    .group_segment_fixed_size: 0
    .kernarg_segment_align: 8
    .kernarg_segment_size: 172
    .language:       OpenCL C
    .language_version:
      - 2
      - 0
    .max_flat_workgroup_size: 256
    .name:           _ZN9rocsparseL26csrgemm_fill_block_per_rowILj256ELj32ELj512ELj137ELj32Eii21rocsparse_complex_numIdEEEvT5_PKS3_S5_NS_24const_host_device_scalarIT6_EEPKT4_S5_PKS7_SB_S5_SD_S8_SB_S5_SD_SB_PS3_PS7_21rocsparse_index_base_SG_SG_SG_bbb
    .private_segment_fixed_size: 40
    .sgpr_count:     46
    .sgpr_spill_count: 0
    .symbol:         _ZN9rocsparseL26csrgemm_fill_block_per_rowILj256ELj32ELj512ELj137ELj32Eii21rocsparse_complex_numIdEEEvT5_PKS3_S5_NS_24const_host_device_scalarIT6_EEPKT4_S5_PKS7_SB_S5_SD_S8_SB_S5_SD_SB_PS3_PS7_21rocsparse_index_base_SG_SG_SG_bbb.kd
    .uniform_work_group_size: 1
    .uses_dynamic_stack: false
    .vgpr_count:     32
    .vgpr_spill_count: 0
    .wavefront_size: 32
    .workgroup_processor_mode: 1
  - .args:
      - .offset:         0
        .size:           4
        .value_kind:     by_value
      - .actual_access:  read_only
        .address_space:  global
        .offset:         8
        .size:           8
        .value_kind:     global_buffer
      - .actual_access:  read_only
        .address_space:  global
        .offset:         16
        .size:           8
        .value_kind:     global_buffer
      - .offset:         24
        .size:           16
        .value_kind:     by_value
      - .actual_access:  read_only
        .address_space:  global
        .offset:         40
        .size:           8
        .value_kind:     global_buffer
      - .actual_access:  read_only
        .address_space:  global
        .offset:         48
        .size:           8
        .value_kind:     global_buffer
      - .actual_access:  read_only
        .address_space:  global
        .offset:         56
        .size:           8
        .value_kind:     global_buffer
      - .actual_access:  read_only
        .address_space:  global
        .offset:         64
        .size:           8
        .value_kind:     global_buffer
      - .actual_access:  read_only
        .address_space:  global
        .offset:         72
        .size:           8
        .value_kind:     global_buffer
      - .actual_access:  read_only
        .address_space:  global
        .offset:         80
        .size:           8
        .value_kind:     global_buffer
      - .offset:         88
        .size:           16
        .value_kind:     by_value
      - .actual_access:  read_only
        .address_space:  global
        .offset:         104
        .size:           8
        .value_kind:     global_buffer
      - .actual_access:  read_only
        .address_space:  global
        .offset:         112
        .size:           8
        .value_kind:     global_buffer
      - .actual_access:  read_only
        .address_space:  global
        .offset:         120
        .size:           8
        .value_kind:     global_buffer
      - .actual_access:  read_only
        .address_space:  global
        .offset:         128
        .size:           8
        .value_kind:     global_buffer
      - .actual_access:  write_only
        .address_space:  global
        .offset:         136
        .size:           8
        .value_kind:     global_buffer
      - .actual_access:  write_only
        .address_space:  global
        .offset:         144
        .size:           8
        .value_kind:     global_buffer
      - .offset:         152
        .size:           4
        .value_kind:     by_value
      - .offset:         156
        .size:           4
        .value_kind:     by_value
      - .offset:         160
        .size:           4
        .value_kind:     by_value
      - .offset:         164
        .size:           4
        .value_kind:     by_value
      - .offset:         168
        .size:           1
        .value_kind:     by_value
      - .offset:         169
        .size:           1
        .value_kind:     by_value
      - .offset:         170
        .size:           1
        .value_kind:     by_value
    .group_segment_fixed_size: 0
    .kernarg_segment_align: 8
    .kernarg_segment_size: 172
    .language:       OpenCL C
    .language_version:
      - 2
      - 0
    .max_flat_workgroup_size: 256
    .name:           _ZN9rocsparseL26csrgemm_fill_block_per_rowILj256ELj32ELj512ELj137ELj64Eii21rocsparse_complex_numIdEEEvT5_PKS3_S5_NS_24const_host_device_scalarIT6_EEPKT4_S5_PKS7_SB_S5_SD_S8_SB_S5_SD_SB_PS3_PS7_21rocsparse_index_base_SG_SG_SG_bbb
    .private_segment_fixed_size: 40
    .sgpr_count:     46
    .sgpr_spill_count: 0
    .symbol:         _ZN9rocsparseL26csrgemm_fill_block_per_rowILj256ELj32ELj512ELj137ELj64Eii21rocsparse_complex_numIdEEEvT5_PKS3_S5_NS_24const_host_device_scalarIT6_EEPKT4_S5_PKS7_SB_S5_SD_S8_SB_S5_SD_SB_PS3_PS7_21rocsparse_index_base_SG_SG_SG_bbb.kd
    .uniform_work_group_size: 1
    .uses_dynamic_stack: false
    .vgpr_count:     31
    .vgpr_spill_count: 0
    .wavefront_size: 32
    .workgroup_processor_mode: 1
  - .args:
      - .offset:         0
        .size:           4
        .value_kind:     by_value
      - .actual_access:  read_only
        .address_space:  global
        .offset:         8
        .size:           8
        .value_kind:     global_buffer
      - .actual_access:  read_only
        .address_space:  global
        .offset:         16
        .size:           8
        .value_kind:     global_buffer
      - .offset:         24
        .size:           16
        .value_kind:     by_value
      - .actual_access:  read_only
        .address_space:  global
        .offset:         40
        .size:           8
        .value_kind:     global_buffer
      - .actual_access:  read_only
        .address_space:  global
        .offset:         48
        .size:           8
        .value_kind:     global_buffer
      - .actual_access:  read_only
        .address_space:  global
        .offset:         56
        .size:           8
        .value_kind:     global_buffer
      - .actual_access:  read_only
        .address_space:  global
        .offset:         64
        .size:           8
        .value_kind:     global_buffer
      - .actual_access:  read_only
        .address_space:  global
        .offset:         72
        .size:           8
        .value_kind:     global_buffer
      - .actual_access:  read_only
        .address_space:  global
        .offset:         80
        .size:           8
        .value_kind:     global_buffer
      - .offset:         88
        .size:           16
        .value_kind:     by_value
      - .actual_access:  read_only
        .address_space:  global
        .offset:         104
        .size:           8
        .value_kind:     global_buffer
      - .actual_access:  read_only
        .address_space:  global
        .offset:         112
        .size:           8
        .value_kind:     global_buffer
      - .actual_access:  read_only
        .address_space:  global
        .offset:         120
        .size:           8
        .value_kind:     global_buffer
      - .actual_access:  read_only
        .address_space:  global
        .offset:         128
        .size:           8
        .value_kind:     global_buffer
      - .actual_access:  write_only
        .address_space:  global
        .offset:         136
        .size:           8
        .value_kind:     global_buffer
      - .actual_access:  write_only
        .address_space:  global
        .offset:         144
        .size:           8
        .value_kind:     global_buffer
      - .offset:         152
        .size:           4
        .value_kind:     by_value
      - .offset:         156
        .size:           4
        .value_kind:     by_value
      - .offset:         160
        .size:           4
        .value_kind:     by_value
      - .offset:         164
        .size:           4
        .value_kind:     by_value
      - .offset:         168
        .size:           1
        .value_kind:     by_value
      - .offset:         169
        .size:           1
        .value_kind:     by_value
      - .offset:         170
        .size:           1
        .value_kind:     by_value
    .group_segment_fixed_size: 0
    .kernarg_segment_align: 8
    .kernarg_segment_size: 172
    .language:       OpenCL C
    .language_version:
      - 2
      - 0
    .max_flat_workgroup_size: 512
    .name:           _ZN9rocsparseL26csrgemm_fill_block_per_rowILj512ELj32ELj1024ELj137ELj32Eii21rocsparse_complex_numIdEEEvT5_PKS3_S5_NS_24const_host_device_scalarIT6_EEPKT4_S5_PKS7_SB_S5_SD_S8_SB_S5_SD_SB_PS3_PS7_21rocsparse_index_base_SG_SG_SG_bbb
    .private_segment_fixed_size: 40
    .sgpr_count:     50
    .sgpr_spill_count: 0
    .symbol:         _ZN9rocsparseL26csrgemm_fill_block_per_rowILj512ELj32ELj1024ELj137ELj32Eii21rocsparse_complex_numIdEEEvT5_PKS3_S5_NS_24const_host_device_scalarIT6_EEPKT4_S5_PKS7_SB_S5_SD_S8_SB_S5_SD_SB_PS3_PS7_21rocsparse_index_base_SG_SG_SG_bbb.kd
    .uniform_work_group_size: 1
    .uses_dynamic_stack: false
    .vgpr_count:     32
    .vgpr_spill_count: 0
    .wavefront_size: 32
    .workgroup_processor_mode: 1
  - .args:
      - .offset:         0
        .size:           4
        .value_kind:     by_value
      - .actual_access:  read_only
        .address_space:  global
        .offset:         8
        .size:           8
        .value_kind:     global_buffer
      - .actual_access:  read_only
        .address_space:  global
        .offset:         16
        .size:           8
        .value_kind:     global_buffer
      - .offset:         24
        .size:           16
        .value_kind:     by_value
      - .actual_access:  read_only
        .address_space:  global
        .offset:         40
        .size:           8
        .value_kind:     global_buffer
      - .actual_access:  read_only
        .address_space:  global
        .offset:         48
        .size:           8
        .value_kind:     global_buffer
      - .actual_access:  read_only
        .address_space:  global
        .offset:         56
        .size:           8
        .value_kind:     global_buffer
      - .actual_access:  read_only
        .address_space:  global
        .offset:         64
        .size:           8
        .value_kind:     global_buffer
      - .actual_access:  read_only
        .address_space:  global
        .offset:         72
        .size:           8
        .value_kind:     global_buffer
      - .actual_access:  read_only
        .address_space:  global
        .offset:         80
        .size:           8
        .value_kind:     global_buffer
      - .offset:         88
        .size:           16
        .value_kind:     by_value
      - .actual_access:  read_only
        .address_space:  global
        .offset:         104
        .size:           8
        .value_kind:     global_buffer
      - .actual_access:  read_only
        .address_space:  global
        .offset:         112
        .size:           8
        .value_kind:     global_buffer
      - .actual_access:  read_only
        .address_space:  global
        .offset:         120
        .size:           8
        .value_kind:     global_buffer
      - .actual_access:  read_only
        .address_space:  global
        .offset:         128
        .size:           8
        .value_kind:     global_buffer
      - .actual_access:  write_only
        .address_space:  global
        .offset:         136
        .size:           8
        .value_kind:     global_buffer
      - .actual_access:  write_only
        .address_space:  global
        .offset:         144
        .size:           8
        .value_kind:     global_buffer
      - .offset:         152
        .size:           4
        .value_kind:     by_value
      - .offset:         156
        .size:           4
        .value_kind:     by_value
      - .offset:         160
        .size:           4
        .value_kind:     by_value
      - .offset:         164
        .size:           4
        .value_kind:     by_value
      - .offset:         168
        .size:           1
        .value_kind:     by_value
      - .offset:         169
        .size:           1
        .value_kind:     by_value
      - .offset:         170
        .size:           1
        .value_kind:     by_value
    .group_segment_fixed_size: 0
    .kernarg_segment_align: 8
    .kernarg_segment_size: 172
    .language:       OpenCL C
    .language_version:
      - 2
      - 0
    .max_flat_workgroup_size: 512
    .name:           _ZN9rocsparseL26csrgemm_fill_block_per_rowILj512ELj32ELj1024ELj137ELj64Eii21rocsparse_complex_numIdEEEvT5_PKS3_S5_NS_24const_host_device_scalarIT6_EEPKT4_S5_PKS7_SB_S5_SD_S8_SB_S5_SD_SB_PS3_PS7_21rocsparse_index_base_SG_SG_SG_bbb
    .private_segment_fixed_size: 40
    .sgpr_count:     50
    .sgpr_spill_count: 0
    .symbol:         _ZN9rocsparseL26csrgemm_fill_block_per_rowILj512ELj32ELj1024ELj137ELj64Eii21rocsparse_complex_numIdEEEvT5_PKS3_S5_NS_24const_host_device_scalarIT6_EEPKT4_S5_PKS7_SB_S5_SD_S8_SB_S5_SD_SB_PS3_PS7_21rocsparse_index_base_SG_SG_SG_bbb.kd
    .uniform_work_group_size: 1
    .uses_dynamic_stack: false
    .vgpr_count:     31
    .vgpr_spill_count: 0
    .wavefront_size: 32
    .workgroup_processor_mode: 1
  - .args:
      - .offset:         0
        .size:           4
        .value_kind:     by_value
      - .actual_access:  read_only
        .address_space:  global
        .offset:         8
        .size:           8
        .value_kind:     global_buffer
      - .actual_access:  read_only
        .address_space:  global
        .offset:         16
        .size:           8
        .value_kind:     global_buffer
      - .offset:         24
        .size:           16
        .value_kind:     by_value
      - .actual_access:  read_only
        .address_space:  global
        .offset:         40
        .size:           8
        .value_kind:     global_buffer
      - .actual_access:  read_only
        .address_space:  global
        .offset:         48
        .size:           8
        .value_kind:     global_buffer
      - .actual_access:  read_only
        .address_space:  global
        .offset:         56
        .size:           8
        .value_kind:     global_buffer
      - .actual_access:  read_only
        .address_space:  global
        .offset:         64
        .size:           8
        .value_kind:     global_buffer
      - .actual_access:  read_only
        .address_space:  global
        .offset:         72
        .size:           8
        .value_kind:     global_buffer
      - .actual_access:  read_only
        .address_space:  global
        .offset:         80
        .size:           8
        .value_kind:     global_buffer
      - .offset:         88
        .size:           16
        .value_kind:     by_value
      - .actual_access:  read_only
        .address_space:  global
        .offset:         104
        .size:           8
        .value_kind:     global_buffer
      - .actual_access:  read_only
        .address_space:  global
        .offset:         112
        .size:           8
        .value_kind:     global_buffer
      - .actual_access:  read_only
        .address_space:  global
        .offset:         120
        .size:           8
        .value_kind:     global_buffer
      - .actual_access:  read_only
        .address_space:  global
        .offset:         128
        .size:           8
        .value_kind:     global_buffer
      - .actual_access:  write_only
        .address_space:  global
        .offset:         136
        .size:           8
        .value_kind:     global_buffer
      - .actual_access:  write_only
        .address_space:  global
        .offset:         144
        .size:           8
        .value_kind:     global_buffer
      - .offset:         152
        .size:           4
        .value_kind:     by_value
      - .offset:         156
        .size:           4
        .value_kind:     by_value
      - .offset:         160
        .size:           4
        .value_kind:     by_value
      - .offset:         164
        .size:           4
        .value_kind:     by_value
      - .offset:         168
        .size:           1
        .value_kind:     by_value
      - .offset:         169
        .size:           1
        .value_kind:     by_value
      - .offset:         170
        .size:           1
        .value_kind:     by_value
    .group_segment_fixed_size: 0
    .kernarg_segment_align: 8
    .kernarg_segment_size: 172
    .language:       OpenCL C
    .language_version:
      - 2
      - 0
    .max_flat_workgroup_size: 1024
    .name:           _ZN9rocsparseL26csrgemm_fill_block_per_rowILj1024ELj32ELj2048ELj137ELj32Eii21rocsparse_complex_numIdEEEvT5_PKS3_S5_NS_24const_host_device_scalarIT6_EEPKT4_S5_PKS7_SB_S5_SD_S8_SB_S5_SD_SB_PS3_PS7_21rocsparse_index_base_SG_SG_SG_bbb
    .private_segment_fixed_size: 40
    .sgpr_count:     54
    .sgpr_spill_count: 0
    .symbol:         _ZN9rocsparseL26csrgemm_fill_block_per_rowILj1024ELj32ELj2048ELj137ELj32Eii21rocsparse_complex_numIdEEEvT5_PKS3_S5_NS_24const_host_device_scalarIT6_EEPKT4_S5_PKS7_SB_S5_SD_S8_SB_S5_SD_SB_PS3_PS7_21rocsparse_index_base_SG_SG_SG_bbb.kd
    .uniform_work_group_size: 1
    .uses_dynamic_stack: false
    .vgpr_count:     32
    .vgpr_spill_count: 0
    .wavefront_size: 32
    .workgroup_processor_mode: 1
  - .args:
      - .offset:         0
        .size:           4
        .value_kind:     by_value
      - .actual_access:  read_only
        .address_space:  global
        .offset:         8
        .size:           8
        .value_kind:     global_buffer
      - .actual_access:  read_only
        .address_space:  global
        .offset:         16
        .size:           8
        .value_kind:     global_buffer
      - .offset:         24
        .size:           16
        .value_kind:     by_value
      - .actual_access:  read_only
        .address_space:  global
        .offset:         40
        .size:           8
        .value_kind:     global_buffer
      - .actual_access:  read_only
        .address_space:  global
        .offset:         48
        .size:           8
        .value_kind:     global_buffer
      - .actual_access:  read_only
        .address_space:  global
        .offset:         56
        .size:           8
        .value_kind:     global_buffer
      - .actual_access:  read_only
        .address_space:  global
        .offset:         64
        .size:           8
        .value_kind:     global_buffer
      - .actual_access:  read_only
        .address_space:  global
        .offset:         72
        .size:           8
        .value_kind:     global_buffer
      - .actual_access:  read_only
        .address_space:  global
        .offset:         80
        .size:           8
        .value_kind:     global_buffer
      - .offset:         88
        .size:           16
        .value_kind:     by_value
      - .actual_access:  read_only
        .address_space:  global
        .offset:         104
        .size:           8
        .value_kind:     global_buffer
      - .actual_access:  read_only
        .address_space:  global
        .offset:         112
        .size:           8
        .value_kind:     global_buffer
      - .actual_access:  read_only
        .address_space:  global
        .offset:         120
        .size:           8
        .value_kind:     global_buffer
      - .actual_access:  read_only
        .address_space:  global
        .offset:         128
        .size:           8
        .value_kind:     global_buffer
      - .actual_access:  write_only
        .address_space:  global
        .offset:         136
        .size:           8
        .value_kind:     global_buffer
      - .actual_access:  write_only
        .address_space:  global
        .offset:         144
        .size:           8
        .value_kind:     global_buffer
      - .offset:         152
        .size:           4
        .value_kind:     by_value
      - .offset:         156
        .size:           4
        .value_kind:     by_value
      - .offset:         160
        .size:           4
        .value_kind:     by_value
      - .offset:         164
        .size:           4
        .value_kind:     by_value
      - .offset:         168
        .size:           1
        .value_kind:     by_value
      - .offset:         169
        .size:           1
        .value_kind:     by_value
      - .offset:         170
        .size:           1
        .value_kind:     by_value
    .group_segment_fixed_size: 0
    .kernarg_segment_align: 8
    .kernarg_segment_size: 172
    .language:       OpenCL C
    .language_version:
      - 2
      - 0
    .max_flat_workgroup_size: 1024
    .name:           _ZN9rocsparseL26csrgemm_fill_block_per_rowILj1024ELj32ELj2048ELj137ELj64Eii21rocsparse_complex_numIdEEEvT5_PKS3_S5_NS_24const_host_device_scalarIT6_EEPKT4_S5_PKS7_SB_S5_SD_S8_SB_S5_SD_SB_PS3_PS7_21rocsparse_index_base_SG_SG_SG_bbb
    .private_segment_fixed_size: 40
    .sgpr_count:     50
    .sgpr_spill_count: 0
    .symbol:         _ZN9rocsparseL26csrgemm_fill_block_per_rowILj1024ELj32ELj2048ELj137ELj64Eii21rocsparse_complex_numIdEEEvT5_PKS3_S5_NS_24const_host_device_scalarIT6_EEPKT4_S5_PKS7_SB_S5_SD_S8_SB_S5_SD_SB_PS3_PS7_21rocsparse_index_base_SG_SG_SG_bbb.kd
    .uniform_work_group_size: 1
    .uses_dynamic_stack: false
    .vgpr_count:     31
    .vgpr_spill_count: 0
    .wavefront_size: 32
    .workgroup_processor_mode: 1
  - .args:
      - .offset:         0
        .size:           4
        .value_kind:     by_value
      - .actual_access:  read_only
        .address_space:  global
        .offset:         8
        .size:           8
        .value_kind:     global_buffer
      - .actual_access:  read_only
        .address_space:  global
        .offset:         16
        .size:           8
        .value_kind:     global_buffer
      - .offset:         24
        .size:           16
        .value_kind:     by_value
      - .actual_access:  read_only
        .address_space:  global
        .offset:         40
        .size:           8
        .value_kind:     global_buffer
      - .actual_access:  read_only
        .address_space:  global
        .offset:         48
        .size:           8
        .value_kind:     global_buffer
      - .actual_access:  read_only
        .address_space:  global
        .offset:         56
        .size:           8
        .value_kind:     global_buffer
      - .actual_access:  read_only
        .address_space:  global
        .offset:         64
        .size:           8
        .value_kind:     global_buffer
      - .actual_access:  read_only
        .address_space:  global
        .offset:         72
        .size:           8
        .value_kind:     global_buffer
      - .actual_access:  read_only
        .address_space:  global
        .offset:         80
        .size:           8
        .value_kind:     global_buffer
      - .offset:         88
        .size:           16
        .value_kind:     by_value
      - .actual_access:  read_only
        .address_space:  global
        .offset:         104
        .size:           8
        .value_kind:     global_buffer
      - .actual_access:  read_only
        .address_space:  global
        .offset:         112
        .size:           8
        .value_kind:     global_buffer
      - .actual_access:  read_only
        .address_space:  global
        .offset:         120
        .size:           8
        .value_kind:     global_buffer
      - .actual_access:  read_only
        .address_space:  global
        .offset:         128
        .size:           8
        .value_kind:     global_buffer
      - .actual_access:  write_only
        .address_space:  global
        .offset:         136
        .size:           8
        .value_kind:     global_buffer
      - .actual_access:  write_only
        .address_space:  global
        .offset:         144
        .size:           8
        .value_kind:     global_buffer
      - .offset:         152
        .size:           4
        .value_kind:     by_value
      - .offset:         156
        .size:           4
        .value_kind:     by_value
      - .offset:         160
        .size:           4
        .value_kind:     by_value
      - .offset:         164
        .size:           4
        .value_kind:     by_value
      - .offset:         168
        .size:           1
        .value_kind:     by_value
      - .offset:         169
        .size:           1
        .value_kind:     by_value
      - .offset:         170
        .size:           1
        .value_kind:     by_value
    .group_segment_fixed_size: 0
    .kernarg_segment_align: 8
    .kernarg_segment_size: 172
    .language:       OpenCL C
    .language_version:
      - 2
      - 0
    .max_flat_workgroup_size: 1024
    .name:           _ZN9rocsparseL26csrgemm_fill_block_per_rowILj1024ELj64ELj4096ELj137ELj32Eii21rocsparse_complex_numIdEEEvT5_PKS3_S5_NS_24const_host_device_scalarIT6_EEPKT4_S5_PKS7_SB_S5_SD_S8_SB_S5_SD_SB_PS3_PS7_21rocsparse_index_base_SG_SG_SG_bbb
    .private_segment_fixed_size: 40
    .sgpr_count:     78
    .sgpr_spill_count: 0
    .symbol:         _ZN9rocsparseL26csrgemm_fill_block_per_rowILj1024ELj64ELj4096ELj137ELj32Eii21rocsparse_complex_numIdEEEvT5_PKS3_S5_NS_24const_host_device_scalarIT6_EEPKT4_S5_PKS7_SB_S5_SD_S8_SB_S5_SD_SB_PS3_PS7_21rocsparse_index_base_SG_SG_SG_bbb.kd
    .uniform_work_group_size: 1
    .uses_dynamic_stack: false
    .vgpr_count:     31
    .vgpr_spill_count: 0
    .wavefront_size: 32
    .workgroup_processor_mode: 1
  - .args:
      - .offset:         0
        .size:           4
        .value_kind:     by_value
      - .actual_access:  read_only
        .address_space:  global
        .offset:         8
        .size:           8
        .value_kind:     global_buffer
      - .actual_access:  read_only
        .address_space:  global
        .offset:         16
        .size:           8
        .value_kind:     global_buffer
      - .offset:         24
        .size:           16
        .value_kind:     by_value
      - .actual_access:  read_only
        .address_space:  global
        .offset:         40
        .size:           8
        .value_kind:     global_buffer
      - .actual_access:  read_only
        .address_space:  global
        .offset:         48
        .size:           8
        .value_kind:     global_buffer
      - .actual_access:  read_only
        .address_space:  global
        .offset:         56
        .size:           8
        .value_kind:     global_buffer
      - .actual_access:  read_only
        .address_space:  global
        .offset:         64
        .size:           8
        .value_kind:     global_buffer
      - .actual_access:  read_only
        .address_space:  global
        .offset:         72
        .size:           8
        .value_kind:     global_buffer
      - .actual_access:  read_only
        .address_space:  global
        .offset:         80
        .size:           8
        .value_kind:     global_buffer
      - .offset:         88
        .size:           16
        .value_kind:     by_value
      - .actual_access:  read_only
        .address_space:  global
        .offset:         104
        .size:           8
        .value_kind:     global_buffer
      - .actual_access:  read_only
        .address_space:  global
        .offset:         112
        .size:           8
        .value_kind:     global_buffer
      - .actual_access:  read_only
        .address_space:  global
        .offset:         120
        .size:           8
        .value_kind:     global_buffer
      - .actual_access:  read_only
        .address_space:  global
        .offset:         128
        .size:           8
        .value_kind:     global_buffer
      - .actual_access:  write_only
        .address_space:  global
        .offset:         136
        .size:           8
        .value_kind:     global_buffer
      - .actual_access:  write_only
        .address_space:  global
        .offset:         144
        .size:           8
        .value_kind:     global_buffer
      - .offset:         152
        .size:           4
        .value_kind:     by_value
      - .offset:         156
        .size:           4
        .value_kind:     by_value
      - .offset:         160
        .size:           4
        .value_kind:     by_value
      - .offset:         164
        .size:           4
        .value_kind:     by_value
      - .offset:         168
        .size:           1
        .value_kind:     by_value
      - .offset:         169
        .size:           1
        .value_kind:     by_value
      - .offset:         170
        .size:           1
        .value_kind:     by_value
    .group_segment_fixed_size: 0
    .kernarg_segment_align: 8
    .kernarg_segment_size: 172
    .language:       OpenCL C
    .language_version:
      - 2
      - 0
    .max_flat_workgroup_size: 1024
    .name:           _ZN9rocsparseL26csrgemm_fill_block_per_rowILj1024ELj64ELj4096ELj137ELj64Eii21rocsparse_complex_numIdEEEvT5_PKS3_S5_NS_24const_host_device_scalarIT6_EEPKT4_S5_PKS7_SB_S5_SD_S8_SB_S5_SD_SB_PS3_PS7_21rocsparse_index_base_SG_SG_SG_bbb
    .private_segment_fixed_size: 40
    .sgpr_count:     50
    .sgpr_spill_count: 0
    .symbol:         _ZN9rocsparseL26csrgemm_fill_block_per_rowILj1024ELj64ELj4096ELj137ELj64Eii21rocsparse_complex_numIdEEEvT5_PKS3_S5_NS_24const_host_device_scalarIT6_EEPKT4_S5_PKS7_SB_S5_SD_S8_SB_S5_SD_SB_PS3_PS7_21rocsparse_index_base_SG_SG_SG_bbb.kd
    .uniform_work_group_size: 1
    .uses_dynamic_stack: false
    .vgpr_count:     32
    .vgpr_spill_count: 0
    .wavefront_size: 32
    .workgroup_processor_mode: 1
  - .args:
      - .offset:         0
        .size:           4
        .value_kind:     by_value
      - .actual_access:  read_only
        .address_space:  global
        .offset:         8
        .size:           8
        .value_kind:     global_buffer
      - .actual_access:  read_only
        .address_space:  global
        .offset:         16
        .size:           8
        .value_kind:     global_buffer
      - .offset:         24
        .size:           16
        .value_kind:     by_value
      - .actual_access:  read_only
        .address_space:  global
        .offset:         40
        .size:           8
        .value_kind:     global_buffer
      - .actual_access:  read_only
        .address_space:  global
        .offset:         48
        .size:           8
        .value_kind:     global_buffer
      - .actual_access:  read_only
        .address_space:  global
        .offset:         56
        .size:           8
        .value_kind:     global_buffer
      - .actual_access:  read_only
        .address_space:  global
        .offset:         64
        .size:           8
        .value_kind:     global_buffer
      - .actual_access:  read_only
        .address_space:  global
        .offset:         72
        .size:           8
        .value_kind:     global_buffer
      - .actual_access:  read_only
        .address_space:  global
        .offset:         80
        .size:           8
        .value_kind:     global_buffer
      - .offset:         88
        .size:           16
        .value_kind:     by_value
      - .actual_access:  read_only
        .address_space:  global
        .offset:         104
        .size:           8
        .value_kind:     global_buffer
      - .actual_access:  read_only
        .address_space:  global
        .offset:         112
        .size:           8
        .value_kind:     global_buffer
      - .actual_access:  read_only
        .address_space:  global
        .offset:         120
        .size:           8
        .value_kind:     global_buffer
      - .actual_access:  read_only
        .address_space:  global
        .offset:         128
        .size:           8
        .value_kind:     global_buffer
      - .actual_access:  write_only
        .address_space:  global
        .offset:         136
        .size:           8
        .value_kind:     global_buffer
      - .actual_access:  write_only
        .address_space:  global
        .offset:         144
        .size:           8
        .value_kind:     global_buffer
      - .offset:         152
        .size:           4
        .value_kind:     by_value
      - .offset:         156
        .size:           4
        .value_kind:     by_value
      - .offset:         160
        .size:           4
        .value_kind:     by_value
      - .offset:         164
        .size:           4
        .value_kind:     by_value
      - .offset:         168
        .size:           1
        .value_kind:     by_value
      - .offset:         169
        .size:           1
        .value_kind:     by_value
      - .offset:         170
        .size:           1
        .value_kind:     by_value
    .group_segment_fixed_size: 0
    .kernarg_segment_align: 8
    .kernarg_segment_size: 172
    .language:       OpenCL C
    .language_version:
      - 2
      - 0
    .max_flat_workgroup_size: 1024
    .name:           _ZN9rocsparseL26csrgemm_fill_block_per_rowILj1024ELj64ELj8192ELj137ELj32Eii21rocsparse_complex_numIdEEEvT5_PKS3_S5_NS_24const_host_device_scalarIT6_EEPKT4_S5_PKS7_SB_S5_SD_S8_SB_S5_SD_SB_PS3_PS7_21rocsparse_index_base_SG_SG_SG_bbb
    .private_segment_fixed_size: 40
    .sgpr_count:     78
    .sgpr_spill_count: 0
    .symbol:         _ZN9rocsparseL26csrgemm_fill_block_per_rowILj1024ELj64ELj8192ELj137ELj32Eii21rocsparse_complex_numIdEEEvT5_PKS3_S5_NS_24const_host_device_scalarIT6_EEPKT4_S5_PKS7_SB_S5_SD_S8_SB_S5_SD_SB_PS3_PS7_21rocsparse_index_base_SG_SG_SG_bbb.kd
    .uniform_work_group_size: 1
    .uses_dynamic_stack: false
    .vgpr_count:     30
    .vgpr_spill_count: 0
    .wavefront_size: 32
    .workgroup_processor_mode: 1
  - .args:
      - .offset:         0
        .size:           4
        .value_kind:     by_value
      - .actual_access:  read_only
        .address_space:  global
        .offset:         8
        .size:           8
        .value_kind:     global_buffer
      - .actual_access:  read_only
        .address_space:  global
        .offset:         16
        .size:           8
        .value_kind:     global_buffer
      - .offset:         24
        .size:           16
        .value_kind:     by_value
      - .actual_access:  read_only
        .address_space:  global
        .offset:         40
        .size:           8
        .value_kind:     global_buffer
      - .actual_access:  read_only
        .address_space:  global
        .offset:         48
        .size:           8
        .value_kind:     global_buffer
      - .actual_access:  read_only
        .address_space:  global
        .offset:         56
        .size:           8
        .value_kind:     global_buffer
      - .actual_access:  read_only
        .address_space:  global
        .offset:         64
        .size:           8
        .value_kind:     global_buffer
      - .actual_access:  read_only
        .address_space:  global
        .offset:         72
        .size:           8
        .value_kind:     global_buffer
      - .actual_access:  read_only
        .address_space:  global
        .offset:         80
        .size:           8
        .value_kind:     global_buffer
      - .offset:         88
        .size:           16
        .value_kind:     by_value
      - .actual_access:  read_only
        .address_space:  global
        .offset:         104
        .size:           8
        .value_kind:     global_buffer
      - .actual_access:  read_only
        .address_space:  global
        .offset:         112
        .size:           8
        .value_kind:     global_buffer
      - .actual_access:  read_only
        .address_space:  global
        .offset:         120
        .size:           8
        .value_kind:     global_buffer
      - .actual_access:  read_only
        .address_space:  global
        .offset:         128
        .size:           8
        .value_kind:     global_buffer
      - .actual_access:  write_only
        .address_space:  global
        .offset:         136
        .size:           8
        .value_kind:     global_buffer
      - .actual_access:  write_only
        .address_space:  global
        .offset:         144
        .size:           8
        .value_kind:     global_buffer
      - .offset:         152
        .size:           4
        .value_kind:     by_value
      - .offset:         156
        .size:           4
        .value_kind:     by_value
      - .offset:         160
        .size:           4
        .value_kind:     by_value
      - .offset:         164
        .size:           4
        .value_kind:     by_value
      - .offset:         168
        .size:           1
        .value_kind:     by_value
      - .offset:         169
        .size:           1
        .value_kind:     by_value
      - .offset:         170
        .size:           1
        .value_kind:     by_value
    .group_segment_fixed_size: 0
    .kernarg_segment_align: 8
    .kernarg_segment_size: 172
    .language:       OpenCL C
    .language_version:
      - 2
      - 0
    .max_flat_workgroup_size: 1024
    .name:           _ZN9rocsparseL26csrgemm_fill_block_per_rowILj1024ELj64ELj8192ELj137ELj64Eii21rocsparse_complex_numIdEEEvT5_PKS3_S5_NS_24const_host_device_scalarIT6_EEPKT4_S5_PKS7_SB_S5_SD_S8_SB_S5_SD_SB_PS3_PS7_21rocsparse_index_base_SG_SG_SG_bbb
    .private_segment_fixed_size: 40
    .sgpr_count:     46
    .sgpr_spill_count: 0
    .symbol:         _ZN9rocsparseL26csrgemm_fill_block_per_rowILj1024ELj64ELj8192ELj137ELj64Eii21rocsparse_complex_numIdEEEvT5_PKS3_S5_NS_24const_host_device_scalarIT6_EEPKT4_S5_PKS7_SB_S5_SD_S8_SB_S5_SD_SB_PS3_PS7_21rocsparse_index_base_SG_SG_SG_bbb.kd
    .uniform_work_group_size: 1
    .uses_dynamic_stack: false
    .vgpr_count:     31
    .vgpr_spill_count: 0
    .wavefront_size: 32
    .workgroup_processor_mode: 1
  - .args:
      - .offset:         0
        .size:           4
        .value_kind:     by_value
      - .actual_access:  read_only
        .address_space:  global
        .offset:         8
        .size:           8
        .value_kind:     global_buffer
      - .actual_access:  read_only
        .address_space:  global
        .offset:         16
        .size:           8
        .value_kind:     global_buffer
      - .offset:         24
        .size:           16
        .value_kind:     by_value
      - .actual_access:  read_only
        .address_space:  global
        .offset:         40
        .size:           8
        .value_kind:     global_buffer
      - .actual_access:  read_only
        .address_space:  global
        .offset:         48
        .size:           8
        .value_kind:     global_buffer
      - .actual_access:  read_only
        .address_space:  global
        .offset:         56
        .size:           8
        .value_kind:     global_buffer
      - .actual_access:  read_only
        .address_space:  global
        .offset:         64
        .size:           8
        .value_kind:     global_buffer
      - .actual_access:  read_only
        .address_space:  global
        .offset:         72
        .size:           8
        .value_kind:     global_buffer
      - .actual_access:  read_only
        .address_space:  global
        .offset:         80
        .size:           8
        .value_kind:     global_buffer
      - .offset:         88
        .size:           16
        .value_kind:     by_value
      - .actual_access:  read_only
        .address_space:  global
        .offset:         104
        .size:           8
        .value_kind:     global_buffer
      - .actual_access:  read_only
        .address_space:  global
        .offset:         112
        .size:           8
        .value_kind:     global_buffer
      - .actual_access:  read_only
        .address_space:  global
        .offset:         120
        .size:           8
        .value_kind:     global_buffer
      - .actual_access:  read_only
        .address_space:  global
        .offset:         128
        .size:           8
        .value_kind:     global_buffer
      - .actual_access:  write_only
        .address_space:  global
        .offset:         136
        .size:           8
        .value_kind:     global_buffer
      - .actual_access:  write_only
        .address_space:  global
        .offset:         144
        .size:           8
        .value_kind:     global_buffer
      - .offset:         152
        .size:           4
        .value_kind:     by_value
      - .offset:         156
        .size:           4
        .value_kind:     by_value
      - .offset:         160
        .size:           4
        .value_kind:     by_value
      - .offset:         164
        .size:           4
        .value_kind:     by_value
      - .offset:         168
        .size:           1
        .value_kind:     by_value
      - .offset:         169
        .size:           1
        .value_kind:     by_value
      - .offset:         170
        .size:           1
        .value_kind:     by_value
    .group_segment_fixed_size: 0
    .kernarg_segment_align: 8
    .kernarg_segment_size: 172
    .language:       OpenCL C
    .language_version:
      - 2
      - 0
    .max_flat_workgroup_size: 1024
    .name:           _ZN9rocsparseL26csrgemm_fill_block_per_rowILj1024ELj64ELj16384ELj137ELj32Eii21rocsparse_complex_numIdEEEvT5_PKS3_S5_NS_24const_host_device_scalarIT6_EEPKT4_S5_PKS7_SB_S5_SD_S8_SB_S5_SD_SB_PS3_PS7_21rocsparse_index_base_SG_SG_SG_bbb
    .private_segment_fixed_size: 40
    .sgpr_count:     78
    .sgpr_spill_count: 0
    .symbol:         _ZN9rocsparseL26csrgemm_fill_block_per_rowILj1024ELj64ELj16384ELj137ELj32Eii21rocsparse_complex_numIdEEEvT5_PKS3_S5_NS_24const_host_device_scalarIT6_EEPKT4_S5_PKS7_SB_S5_SD_S8_SB_S5_SD_SB_PS3_PS7_21rocsparse_index_base_SG_SG_SG_bbb.kd
    .uniform_work_group_size: 1
    .uses_dynamic_stack: false
    .vgpr_count:     31
    .vgpr_spill_count: 0
    .wavefront_size: 32
    .workgroup_processor_mode: 1
  - .args:
      - .offset:         0
        .size:           4
        .value_kind:     by_value
      - .actual_access:  read_only
        .address_space:  global
        .offset:         8
        .size:           8
        .value_kind:     global_buffer
      - .actual_access:  read_only
        .address_space:  global
        .offset:         16
        .size:           8
        .value_kind:     global_buffer
      - .offset:         24
        .size:           16
        .value_kind:     by_value
      - .actual_access:  read_only
        .address_space:  global
        .offset:         40
        .size:           8
        .value_kind:     global_buffer
      - .actual_access:  read_only
        .address_space:  global
        .offset:         48
        .size:           8
        .value_kind:     global_buffer
      - .actual_access:  read_only
        .address_space:  global
        .offset:         56
        .size:           8
        .value_kind:     global_buffer
      - .actual_access:  read_only
        .address_space:  global
        .offset:         64
        .size:           8
        .value_kind:     global_buffer
      - .actual_access:  read_only
        .address_space:  global
        .offset:         72
        .size:           8
        .value_kind:     global_buffer
      - .actual_access:  read_only
        .address_space:  global
        .offset:         80
        .size:           8
        .value_kind:     global_buffer
      - .offset:         88
        .size:           16
        .value_kind:     by_value
      - .actual_access:  read_only
        .address_space:  global
        .offset:         104
        .size:           8
        .value_kind:     global_buffer
      - .actual_access:  read_only
        .address_space:  global
        .offset:         112
        .size:           8
        .value_kind:     global_buffer
      - .actual_access:  read_only
        .address_space:  global
        .offset:         120
        .size:           8
        .value_kind:     global_buffer
      - .actual_access:  read_only
        .address_space:  global
        .offset:         128
        .size:           8
        .value_kind:     global_buffer
      - .actual_access:  write_only
        .address_space:  global
        .offset:         136
        .size:           8
        .value_kind:     global_buffer
      - .actual_access:  write_only
        .address_space:  global
        .offset:         144
        .size:           8
        .value_kind:     global_buffer
      - .offset:         152
        .size:           4
        .value_kind:     by_value
      - .offset:         156
        .size:           4
        .value_kind:     by_value
      - .offset:         160
        .size:           4
        .value_kind:     by_value
      - .offset:         164
        .size:           4
        .value_kind:     by_value
      - .offset:         168
        .size:           1
        .value_kind:     by_value
      - .offset:         169
        .size:           1
        .value_kind:     by_value
      - .offset:         170
        .size:           1
        .value_kind:     by_value
    .group_segment_fixed_size: 0
    .kernarg_segment_align: 8
    .kernarg_segment_size: 172
    .language:       OpenCL C
    .language_version:
      - 2
      - 0
    .max_flat_workgroup_size: 1024
    .name:           _ZN9rocsparseL26csrgemm_fill_block_per_rowILj1024ELj64ELj16384ELj137ELj64Eii21rocsparse_complex_numIdEEEvT5_PKS3_S5_NS_24const_host_device_scalarIT6_EEPKT4_S5_PKS7_SB_S5_SD_S8_SB_S5_SD_SB_PS3_PS7_21rocsparse_index_base_SG_SG_SG_bbb
    .private_segment_fixed_size: 40
    .sgpr_count:     50
    .sgpr_spill_count: 0
    .symbol:         _ZN9rocsparseL26csrgemm_fill_block_per_rowILj1024ELj64ELj16384ELj137ELj64Eii21rocsparse_complex_numIdEEEvT5_PKS3_S5_NS_24const_host_device_scalarIT6_EEPKT4_S5_PKS7_SB_S5_SD_S8_SB_S5_SD_SB_PS3_PS7_21rocsparse_index_base_SG_SG_SG_bbb.kd
    .uniform_work_group_size: 1
    .uses_dynamic_stack: false
    .vgpr_count:     32
    .vgpr_spill_count: 0
    .wavefront_size: 32
    .workgroup_processor_mode: 1
  - .args:
      - .offset:         0
        .size:           4
        .value_kind:     by_value
      - .actual_access:  read_only
        .address_space:  global
        .offset:         8
        .size:           8
        .value_kind:     global_buffer
      - .actual_access:  read_only
        .address_space:  global
        .offset:         16
        .size:           8
        .value_kind:     global_buffer
      - .offset:         24
        .size:           16
        .value_kind:     by_value
      - .actual_access:  read_only
        .address_space:  global
        .offset:         40
        .size:           8
        .value_kind:     global_buffer
      - .actual_access:  read_only
        .address_space:  global
        .offset:         48
        .size:           8
        .value_kind:     global_buffer
      - .actual_access:  read_only
        .address_space:  global
        .offset:         56
        .size:           8
        .value_kind:     global_buffer
      - .actual_access:  read_only
        .address_space:  global
        .offset:         64
        .size:           8
        .value_kind:     global_buffer
      - .actual_access:  read_only
        .address_space:  global
        .offset:         72
        .size:           8
        .value_kind:     global_buffer
      - .actual_access:  read_only
        .address_space:  global
        .offset:         80
        .size:           8
        .value_kind:     global_buffer
      - .offset:         88
        .size:           16
        .value_kind:     by_value
      - .actual_access:  read_only
        .address_space:  global
        .offset:         104
        .size:           8
        .value_kind:     global_buffer
      - .actual_access:  read_only
        .address_space:  global
        .offset:         112
        .size:           8
        .value_kind:     global_buffer
      - .actual_access:  read_only
        .address_space:  global
        .offset:         120
        .size:           8
        .value_kind:     global_buffer
      - .actual_access:  read_only
        .address_space:  global
        .offset:         128
        .size:           8
        .value_kind:     global_buffer
      - .actual_access:  write_only
        .address_space:  global
        .offset:         136
        .size:           8
        .value_kind:     global_buffer
      - .actual_access:  write_only
        .address_space:  global
        .offset:         144
        .size:           8
        .value_kind:     global_buffer
      - .offset:         152
        .size:           4
        .value_kind:     by_value
      - .offset:         156
        .size:           4
        .value_kind:     by_value
      - .offset:         160
        .size:           4
        .value_kind:     by_value
      - .offset:         164
        .size:           4
        .value_kind:     by_value
      - .offset:         168
        .size:           1
        .value_kind:     by_value
      - .offset:         169
        .size:           1
        .value_kind:     by_value
      - .offset:         170
        .size:           1
        .value_kind:     by_value
    .group_segment_fixed_size: 0
    .kernarg_segment_align: 8
    .kernarg_segment_size: 172
    .language:       OpenCL C
    .language_version:
      - 2
      - 0
    .max_flat_workgroup_size: 1024
    .name:           _ZN9rocsparseL26csrgemm_fill_block_per_rowILj1024ELj64ELj32768ELj137ELj32Eii21rocsparse_complex_numIdEEEvT5_PKS3_S5_NS_24const_host_device_scalarIT6_EEPKT4_S5_PKS7_SB_S5_SD_S8_SB_S5_SD_SB_PS3_PS7_21rocsparse_index_base_SG_SG_SG_bbb
    .private_segment_fixed_size: 40
    .sgpr_count:     78
    .sgpr_spill_count: 0
    .symbol:         _ZN9rocsparseL26csrgemm_fill_block_per_rowILj1024ELj64ELj32768ELj137ELj32Eii21rocsparse_complex_numIdEEEvT5_PKS3_S5_NS_24const_host_device_scalarIT6_EEPKT4_S5_PKS7_SB_S5_SD_S8_SB_S5_SD_SB_PS3_PS7_21rocsparse_index_base_SG_SG_SG_bbb.kd
    .uniform_work_group_size: 1
    .uses_dynamic_stack: false
    .vgpr_count:     31
    .vgpr_spill_count: 0
    .wavefront_size: 32
    .workgroup_processor_mode: 1
  - .args:
      - .offset:         0
        .size:           4
        .value_kind:     by_value
      - .actual_access:  read_only
        .address_space:  global
        .offset:         8
        .size:           8
        .value_kind:     global_buffer
      - .actual_access:  read_only
        .address_space:  global
        .offset:         16
        .size:           8
        .value_kind:     global_buffer
      - .offset:         24
        .size:           16
        .value_kind:     by_value
      - .actual_access:  read_only
        .address_space:  global
        .offset:         40
        .size:           8
        .value_kind:     global_buffer
      - .actual_access:  read_only
        .address_space:  global
        .offset:         48
        .size:           8
        .value_kind:     global_buffer
      - .actual_access:  read_only
        .address_space:  global
        .offset:         56
        .size:           8
        .value_kind:     global_buffer
      - .actual_access:  read_only
        .address_space:  global
        .offset:         64
        .size:           8
        .value_kind:     global_buffer
      - .actual_access:  read_only
        .address_space:  global
        .offset:         72
        .size:           8
        .value_kind:     global_buffer
      - .actual_access:  read_only
        .address_space:  global
        .offset:         80
        .size:           8
        .value_kind:     global_buffer
      - .offset:         88
        .size:           16
        .value_kind:     by_value
      - .actual_access:  read_only
        .address_space:  global
        .offset:         104
        .size:           8
        .value_kind:     global_buffer
      - .actual_access:  read_only
        .address_space:  global
        .offset:         112
        .size:           8
        .value_kind:     global_buffer
      - .actual_access:  read_only
        .address_space:  global
        .offset:         120
        .size:           8
        .value_kind:     global_buffer
      - .actual_access:  read_only
        .address_space:  global
        .offset:         128
        .size:           8
        .value_kind:     global_buffer
      - .actual_access:  write_only
        .address_space:  global
        .offset:         136
        .size:           8
        .value_kind:     global_buffer
      - .actual_access:  write_only
        .address_space:  global
        .offset:         144
        .size:           8
        .value_kind:     global_buffer
      - .offset:         152
        .size:           4
        .value_kind:     by_value
      - .offset:         156
        .size:           4
        .value_kind:     by_value
      - .offset:         160
        .size:           4
        .value_kind:     by_value
      - .offset:         164
        .size:           4
        .value_kind:     by_value
      - .offset:         168
        .size:           1
        .value_kind:     by_value
      - .offset:         169
        .size:           1
        .value_kind:     by_value
      - .offset:         170
        .size:           1
        .value_kind:     by_value
    .group_segment_fixed_size: 0
    .kernarg_segment_align: 8
    .kernarg_segment_size: 172
    .language:       OpenCL C
    .language_version:
      - 2
      - 0
    .max_flat_workgroup_size: 1024
    .name:           _ZN9rocsparseL26csrgemm_fill_block_per_rowILj1024ELj64ELj32768ELj137ELj64Eii21rocsparse_complex_numIdEEEvT5_PKS3_S5_NS_24const_host_device_scalarIT6_EEPKT4_S5_PKS7_SB_S5_SD_S8_SB_S5_SD_SB_PS3_PS7_21rocsparse_index_base_SG_SG_SG_bbb
    .private_segment_fixed_size: 40
    .sgpr_count:     50
    .sgpr_spill_count: 0
    .symbol:         _ZN9rocsparseL26csrgemm_fill_block_per_rowILj1024ELj64ELj32768ELj137ELj64Eii21rocsparse_complex_numIdEEEvT5_PKS3_S5_NS_24const_host_device_scalarIT6_EEPKT4_S5_PKS7_SB_S5_SD_S8_SB_S5_SD_SB_PS3_PS7_21rocsparse_index_base_SG_SG_SG_bbb.kd
    .uniform_work_group_size: 1
    .uses_dynamic_stack: false
    .vgpr_count:     32
    .vgpr_spill_count: 0
    .wavefront_size: 32
    .workgroup_processor_mode: 1
  - .args:
      - .offset:         0
        .size:           4
        .value_kind:     by_value
      - .actual_access:  read_only
        .address_space:  global
        .offset:         8
        .size:           8
        .value_kind:     global_buffer
      - .actual_access:  read_only
        .address_space:  global
        .offset:         16
        .size:           8
        .value_kind:     global_buffer
      - .offset:         24
        .size:           16
        .value_kind:     by_value
      - .actual_access:  read_only
        .address_space:  global
        .offset:         40
        .size:           8
        .value_kind:     global_buffer
      - .actual_access:  read_only
        .address_space:  global
        .offset:         48
        .size:           8
        .value_kind:     global_buffer
      - .actual_access:  read_only
        .address_space:  global
        .offset:         56
        .size:           8
        .value_kind:     global_buffer
      - .actual_access:  read_only
        .address_space:  global
        .offset:         64
        .size:           8
        .value_kind:     global_buffer
      - .actual_access:  read_only
        .address_space:  global
        .offset:         72
        .size:           8
        .value_kind:     global_buffer
      - .actual_access:  read_only
        .address_space:  global
        .offset:         80
        .size:           8
        .value_kind:     global_buffer
      - .offset:         88
        .size:           16
        .value_kind:     by_value
      - .actual_access:  read_only
        .address_space:  global
        .offset:         104
        .size:           8
        .value_kind:     global_buffer
      - .actual_access:  read_only
        .address_space:  global
        .offset:         112
        .size:           8
        .value_kind:     global_buffer
      - .actual_access:  read_only
        .address_space:  global
        .offset:         120
        .size:           8
        .value_kind:     global_buffer
      - .actual_access:  read_only
        .address_space:  global
        .offset:         128
        .size:           8
        .value_kind:     global_buffer
      - .actual_access:  write_only
        .address_space:  global
        .offset:         136
        .size:           8
        .value_kind:     global_buffer
      - .actual_access:  write_only
        .address_space:  global
        .offset:         144
        .size:           8
        .value_kind:     global_buffer
      - .address_space:  global
        .offset:         152
        .size:           8
        .value_kind:     global_buffer
      - .offset:         160
        .size:           4
        .value_kind:     by_value
      - .offset:         164
        .size:           4
        .value_kind:     by_value
      - .offset:         168
        .size:           4
        .value_kind:     by_value
      - .offset:         172
        .size:           4
        .value_kind:     by_value
      - .offset:         176
        .size:           1
        .value_kind:     by_value
      - .offset:         177
        .size:           1
        .value_kind:     by_value
      - .offset:         178
        .size:           1
        .value_kind:     by_value
    .group_segment_fixed_size: 43016
    .kernarg_segment_align: 8
    .kernarg_segment_size: 180
    .language:       OpenCL C
    .language_version:
      - 2
      - 0
    .max_flat_workgroup_size: 512
    .name:           _ZN9rocsparseL36csrgemm_fill_block_per_row_multipassILj512ELj16ELj2048ELj32Eii21rocsparse_complex_numIdEEEvT4_PKS3_S5_NS_24const_host_device_scalarIT5_EEPKT3_S5_PKS7_SB_S5_SD_S8_SB_S5_SD_SB_PS3_PS7_PS9_21rocsparse_index_base_SH_SH_SH_bbb
    .private_segment_fixed_size: 24
    .sgpr_count:     64
    .sgpr_spill_count: 0
    .symbol:         _ZN9rocsparseL36csrgemm_fill_block_per_row_multipassILj512ELj16ELj2048ELj32Eii21rocsparse_complex_numIdEEEvT4_PKS3_S5_NS_24const_host_device_scalarIT5_EEPKT3_S5_PKS7_SB_S5_SD_S8_SB_S5_SD_SB_PS3_PS7_PS9_21rocsparse_index_base_SH_SH_SH_bbb.kd
    .uniform_work_group_size: 1
    .uses_dynamic_stack: false
    .vgpr_count:     52
    .vgpr_spill_count: 0
    .wavefront_size: 32
    .workgroup_processor_mode: 1
  - .args:
      - .offset:         0
        .size:           4
        .value_kind:     by_value
      - .actual_access:  read_only
        .address_space:  global
        .offset:         8
        .size:           8
        .value_kind:     global_buffer
      - .actual_access:  read_only
        .address_space:  global
        .offset:         16
        .size:           8
        .value_kind:     global_buffer
      - .offset:         24
        .size:           16
        .value_kind:     by_value
      - .actual_access:  read_only
        .address_space:  global
        .offset:         40
        .size:           8
        .value_kind:     global_buffer
      - .actual_access:  read_only
        .address_space:  global
        .offset:         48
        .size:           8
        .value_kind:     global_buffer
      - .actual_access:  read_only
        .address_space:  global
        .offset:         56
        .size:           8
        .value_kind:     global_buffer
      - .actual_access:  read_only
        .address_space:  global
        .offset:         64
        .size:           8
        .value_kind:     global_buffer
      - .actual_access:  read_only
        .address_space:  global
        .offset:         72
        .size:           8
        .value_kind:     global_buffer
      - .actual_access:  read_only
        .address_space:  global
        .offset:         80
        .size:           8
        .value_kind:     global_buffer
      - .offset:         88
        .size:           16
        .value_kind:     by_value
      - .actual_access:  read_only
        .address_space:  global
        .offset:         104
        .size:           8
        .value_kind:     global_buffer
      - .actual_access:  read_only
        .address_space:  global
        .offset:         112
        .size:           8
        .value_kind:     global_buffer
      - .actual_access:  read_only
        .address_space:  global
        .offset:         120
        .size:           8
        .value_kind:     global_buffer
      - .actual_access:  read_only
        .address_space:  global
        .offset:         128
        .size:           8
        .value_kind:     global_buffer
      - .actual_access:  write_only
        .address_space:  global
        .offset:         136
        .size:           8
        .value_kind:     global_buffer
      - .actual_access:  write_only
        .address_space:  global
        .offset:         144
        .size:           8
        .value_kind:     global_buffer
      - .address_space:  global
        .offset:         152
        .size:           8
        .value_kind:     global_buffer
      - .offset:         160
        .size:           4
        .value_kind:     by_value
      - .offset:         164
        .size:           4
        .value_kind:     by_value
      - .offset:         168
        .size:           4
        .value_kind:     by_value
      - .offset:         172
        .size:           4
        .value_kind:     by_value
      - .offset:         176
        .size:           1
        .value_kind:     by_value
      - .offset:         177
        .size:           1
        .value_kind:     by_value
      - .offset:         178
        .size:           1
        .value_kind:     by_value
    .group_segment_fixed_size: 43016
    .kernarg_segment_align: 8
    .kernarg_segment_size: 180
    .language:       OpenCL C
    .language_version:
      - 2
      - 0
    .max_flat_workgroup_size: 512
    .name:           _ZN9rocsparseL36csrgemm_fill_block_per_row_multipassILj512ELj16ELj2048ELj64Eii21rocsparse_complex_numIdEEEvT4_PKS3_S5_NS_24const_host_device_scalarIT5_EEPKT3_S5_PKS7_SB_S5_SD_S8_SB_S5_SD_SB_PS3_PS7_PS9_21rocsparse_index_base_SH_SH_SH_bbb
    .private_segment_fixed_size: 24
    .sgpr_count:     56
    .sgpr_spill_count: 0
    .symbol:         _ZN9rocsparseL36csrgemm_fill_block_per_row_multipassILj512ELj16ELj2048ELj64Eii21rocsparse_complex_numIdEEEvT4_PKS3_S5_NS_24const_host_device_scalarIT5_EEPKT3_S5_PKS7_SB_S5_SD_S8_SB_S5_SD_SB_PS3_PS7_PS9_21rocsparse_index_base_SH_SH_SH_bbb.kd
    .uniform_work_group_size: 1
    .uses_dynamic_stack: false
    .vgpr_count:     52
    .vgpr_spill_count: 0
    .wavefront_size: 32
    .workgroup_processor_mode: 1
  - .args:
      - .offset:         0
        .size:           8
        .value_kind:     by_value
      - .actual_access:  read_only
        .address_space:  global
        .offset:         8
        .size:           8
        .value_kind:     global_buffer
      - .actual_access:  write_only
        .address_space:  global
        .offset:         16
        .size:           8
        .value_kind:     global_buffer
      - .offset:         24
        .size:           4
        .value_kind:     hidden_block_count_x
      - .offset:         28
        .size:           4
        .value_kind:     hidden_block_count_y
      - .offset:         32
        .size:           4
        .value_kind:     hidden_block_count_z
      - .offset:         36
        .size:           2
        .value_kind:     hidden_group_size_x
      - .offset:         38
        .size:           2
        .value_kind:     hidden_group_size_y
      - .offset:         40
        .size:           2
        .value_kind:     hidden_group_size_z
      - .offset:         42
        .size:           2
        .value_kind:     hidden_remainder_x
      - .offset:         44
        .size:           2
        .value_kind:     hidden_remainder_y
      - .offset:         46
        .size:           2
        .value_kind:     hidden_remainder_z
      - .offset:         64
        .size:           8
        .value_kind:     hidden_global_offset_x
      - .offset:         72
        .size:           8
        .value_kind:     hidden_global_offset_y
      - .offset:         80
        .size:           8
        .value_kind:     hidden_global_offset_z
      - .offset:         88
        .size:           2
        .value_kind:     hidden_grid_dims
    .group_segment_fixed_size: 2048
    .kernarg_segment_align: 8
    .kernarg_segment_size: 280
    .language:       OpenCL C
    .language_version:
      - 2
      - 0
    .max_flat_workgroup_size: 256
    .name:           _ZN9rocsparseL25csrgemm_max_row_nnz_part1ILj256EllEEvT1_PKT0_PS1_
    .private_segment_fixed_size: 0
    .sgpr_count:     18
    .sgpr_spill_count: 0
    .symbol:         _ZN9rocsparseL25csrgemm_max_row_nnz_part1ILj256EllEEvT1_PKT0_PS1_.kd
    .uniform_work_group_size: 1
    .uses_dynamic_stack: false
    .vgpr_count:     11
    .vgpr_spill_count: 0
    .wavefront_size: 32
    .workgroup_processor_mode: 1
  - .args:
      - .address_space:  global
        .offset:         0
        .size:           8
        .value_kind:     global_buffer
    .group_segment_fixed_size: 2048
    .kernarg_segment_align: 8
    .kernarg_segment_size: 8
    .language:       OpenCL C
    .language_version:
      - 2
      - 0
    .max_flat_workgroup_size: 256
    .name:           _ZN9rocsparseL25csrgemm_max_row_nnz_part2ILj256ElEEvPT0_
    .private_segment_fixed_size: 0
    .sgpr_count:     6
    .sgpr_spill_count: 0
    .symbol:         _ZN9rocsparseL25csrgemm_max_row_nnz_part2ILj256ElEEvPT0_.kd
    .uniform_work_group_size: 1
    .uses_dynamic_stack: false
    .vgpr_count:     6
    .vgpr_spill_count: 0
    .wavefront_size: 32
    .workgroup_processor_mode: 1
  - .args:
      - .offset:         0
        .size:           8
        .value_kind:     by_value
      - .actual_access:  read_only
        .address_space:  global
        .offset:         8
        .size:           8
        .value_kind:     global_buffer
      - .actual_access:  write_only
        .address_space:  global
        .offset:         16
        .size:           8
        .value_kind:     global_buffer
      - .actual_access:  write_only
        .address_space:  global
        .offset:         24
        .size:           8
        .value_kind:     global_buffer
      - .offset:         32
        .size:           4
        .value_kind:     by_value
      - .offset:         40
        .size:           4
        .value_kind:     hidden_block_count_x
      - .offset:         44
        .size:           4
        .value_kind:     hidden_block_count_y
      - .offset:         48
        .size:           4
        .value_kind:     hidden_block_count_z
      - .offset:         52
        .size:           2
        .value_kind:     hidden_group_size_x
      - .offset:         54
        .size:           2
        .value_kind:     hidden_group_size_y
      - .offset:         56
        .size:           2
        .value_kind:     hidden_group_size_z
      - .offset:         58
        .size:           2
        .value_kind:     hidden_remainder_x
      - .offset:         60
        .size:           2
        .value_kind:     hidden_remainder_y
      - .offset:         62
        .size:           2
        .value_kind:     hidden_remainder_z
      - .offset:         80
        .size:           8
        .value_kind:     hidden_global_offset_x
      - .offset:         88
        .size:           8
        .value_kind:     hidden_global_offset_y
      - .offset:         96
        .size:           8
        .value_kind:     hidden_global_offset_z
      - .offset:         104
        .size:           2
        .value_kind:     hidden_grid_dims
    .group_segment_fixed_size: 22528
    .kernarg_segment_align: 8
    .kernarg_segment_size: 296
    .language:       OpenCL C
    .language_version:
      - 2
      - 0
    .max_flat_workgroup_size: 256
    .name:           _ZN9rocsparseL26csrgemm_group_reduce_part2ILj256ELj11EfllEEvT3_PKT2_PS1_Pij
    .private_segment_fixed_size: 0
    .sgpr_count:     29
    .sgpr_spill_count: 0
    .symbol:         _ZN9rocsparseL26csrgemm_group_reduce_part2ILj256ELj11EfllEEvT3_PKT2_PS1_Pij.kd
    .uniform_work_group_size: 1
    .uses_dynamic_stack: false
    .vgpr_count:     43
    .vgpr_spill_count: 0
    .wavefront_size: 32
    .workgroup_processor_mode: 1
  - .args:
      - .address_space:  global
        .offset:         0
        .size:           8
        .value_kind:     global_buffer
    .group_segment_fixed_size: 22528
    .kernarg_segment_align: 8
    .kernarg_segment_size: 8
    .language:       OpenCL C
    .language_version:
      - 2
      - 0
    .max_flat_workgroup_size: 256
    .name:           _ZN9rocsparseL26csrgemm_group_reduce_part3ILj256ELj11ElEEvPT1_
    .private_segment_fixed_size: 0
    .sgpr_count:     8
    .sgpr_spill_count: 0
    .symbol:         _ZN9rocsparseL26csrgemm_group_reduce_part3ILj256ELj11ElEEvPT1_.kd
    .uniform_work_group_size: 1
    .uses_dynamic_stack: false
    .vgpr_count:     42
    .vgpr_spill_count: 0
    .wavefront_size: 32
    .workgroup_processor_mode: 1
  - .args:
      - .offset:         0
        .size:           8
        .value_kind:     by_value
      - .offset:         8
        .size:           8
        .value_kind:     by_value
      - .actual_access:  read_only
        .address_space:  global
        .offset:         16
        .size:           8
        .value_kind:     global_buffer
      - .actual_access:  read_only
        .address_space:  global
        .offset:         24
        .size:           8
        .value_kind:     global_buffer
      - .offset:         32
        .size:           8
        .value_kind:     by_value
      - .actual_access:  read_only
        .address_space:  global
        .offset:         40
        .size:           8
        .value_kind:     global_buffer
      - .actual_access:  read_only
        .address_space:  global
        .offset:         48
        .size:           8
        .value_kind:     global_buffer
      - .actual_access:  read_only
        .address_space:  global
        .offset:         56
        .size:           8
        .value_kind:     global_buffer
      - .actual_access:  read_only
        .address_space:  global
        .offset:         64
        .size:           8
        .value_kind:     global_buffer
      - .actual_access:  read_only
        .address_space:  global
        .offset:         72
        .size:           8
        .value_kind:     global_buffer
      - .actual_access:  read_only
        .address_space:  global
        .offset:         80
        .size:           8
        .value_kind:     global_buffer
      - .offset:         88
        .size:           8
        .value_kind:     by_value
      - .actual_access:  read_only
        .address_space:  global
        .offset:         96
        .size:           8
        .value_kind:     global_buffer
      - .actual_access:  read_only
        .address_space:  global
        .offset:         104
        .size:           8
        .value_kind:     global_buffer
      - .actual_access:  read_only
        .address_space:  global
        .offset:         112
        .size:           8
        .value_kind:     global_buffer
      - .actual_access:  read_only
        .address_space:  global
        .offset:         120
        .size:           8
        .value_kind:     global_buffer
      - .actual_access:  write_only
        .address_space:  global
        .offset:         128
        .size:           8
        .value_kind:     global_buffer
      - .actual_access:  write_only
        .address_space:  global
        .offset:         136
        .size:           8
        .value_kind:     global_buffer
      - .offset:         144
        .size:           4
        .value_kind:     by_value
      - .offset:         148
        .size:           4
        .value_kind:     by_value
      - .offset:         152
        .size:           4
        .value_kind:     by_value
      - .offset:         156
        .size:           4
        .value_kind:     by_value
      - .offset:         160
        .size:           1
        .value_kind:     by_value
      - .offset:         161
        .size:           1
        .value_kind:     by_value
      - .offset:         162
        .size:           1
        .value_kind:     by_value
    .group_segment_fixed_size: 6144
    .kernarg_segment_align: 8
    .kernarg_segment_size: 164
    .language:       OpenCL C
    .language_version:
      - 2
      - 0
    .max_flat_workgroup_size: 256
    .name:           _ZN9rocsparseL23csrgemm_fill_wf_per_rowILj256ELj8ELj16ELj137EllfEEvT4_S1_PKS1_S3_NS_24const_host_device_scalarIT5_EEPKT3_S3_PKS5_S9_S3_SB_S6_S9_S3_SB_S9_PS1_PS5_21rocsparse_index_base_SE_SE_SE_bbb
    .private_segment_fixed_size: 0
    .sgpr_count:     46
    .sgpr_spill_count: 0
    .symbol:         _ZN9rocsparseL23csrgemm_fill_wf_per_rowILj256ELj8ELj16ELj137EllfEEvT4_S1_PKS1_S3_NS_24const_host_device_scalarIT5_EEPKT3_S3_PKS5_S9_S3_SB_S6_S9_S3_SB_S9_PS1_PS5_21rocsparse_index_base_SE_SE_SE_bbb.kd
    .uniform_work_group_size: 1
    .uses_dynamic_stack: false
    .vgpr_count:     42
    .vgpr_spill_count: 0
    .wavefront_size: 32
    .workgroup_processor_mode: 1
  - .args:
      - .offset:         0
        .size:           8
        .value_kind:     by_value
      - .offset:         8
        .size:           8
        .value_kind:     by_value
      - .actual_access:  read_only
        .address_space:  global
        .offset:         16
        .size:           8
        .value_kind:     global_buffer
      - .actual_access:  read_only
        .address_space:  global
        .offset:         24
        .size:           8
        .value_kind:     global_buffer
      - .offset:         32
        .size:           8
        .value_kind:     by_value
      - .actual_access:  read_only
        .address_space:  global
        .offset:         40
        .size:           8
        .value_kind:     global_buffer
      - .actual_access:  read_only
        .address_space:  global
        .offset:         48
        .size:           8
        .value_kind:     global_buffer
      - .actual_access:  read_only
        .address_space:  global
        .offset:         56
        .size:           8
        .value_kind:     global_buffer
      - .actual_access:  read_only
        .address_space:  global
        .offset:         64
        .size:           8
        .value_kind:     global_buffer
      - .actual_access:  read_only
        .address_space:  global
        .offset:         72
        .size:           8
        .value_kind:     global_buffer
      - .actual_access:  read_only
        .address_space:  global
        .offset:         80
        .size:           8
        .value_kind:     global_buffer
      - .offset:         88
        .size:           8
        .value_kind:     by_value
      - .actual_access:  read_only
        .address_space:  global
        .offset:         96
        .size:           8
        .value_kind:     global_buffer
      - .actual_access:  read_only
        .address_space:  global
        .offset:         104
        .size:           8
        .value_kind:     global_buffer
      - .actual_access:  read_only
        .address_space:  global
        .offset:         112
        .size:           8
        .value_kind:     global_buffer
      - .actual_access:  read_only
        .address_space:  global
        .offset:         120
        .size:           8
        .value_kind:     global_buffer
      - .actual_access:  write_only
        .address_space:  global
        .offset:         128
        .size:           8
        .value_kind:     global_buffer
      - .actual_access:  write_only
        .address_space:  global
        .offset:         136
        .size:           8
        .value_kind:     global_buffer
      - .offset:         144
        .size:           4
        .value_kind:     by_value
      - .offset:         148
        .size:           4
        .value_kind:     by_value
      - .offset:         152
        .size:           4
        .value_kind:     by_value
      - .offset:         156
        .size:           4
        .value_kind:     by_value
      - .offset:         160
        .size:           1
        .value_kind:     by_value
      - .offset:         161
        .size:           1
        .value_kind:     by_value
      - .offset:         162
        .size:           1
        .value_kind:     by_value
    .group_segment_fixed_size: 6144
    .kernarg_segment_align: 8
    .kernarg_segment_size: 164
    .language:       OpenCL C
    .language_version:
      - 2
      - 0
    .max_flat_workgroup_size: 256
    .name:           _ZN9rocsparseL23csrgemm_fill_wf_per_rowILj256ELj16ELj32ELj137EllfEEvT4_S1_PKS1_S3_NS_24const_host_device_scalarIT5_EEPKT3_S3_PKS5_S9_S3_SB_S6_S9_S3_SB_S9_PS1_PS5_21rocsparse_index_base_SE_SE_SE_bbb
    .private_segment_fixed_size: 0
    .sgpr_count:     46
    .sgpr_spill_count: 0
    .symbol:         _ZN9rocsparseL23csrgemm_fill_wf_per_rowILj256ELj16ELj32ELj137EllfEEvT4_S1_PKS1_S3_NS_24const_host_device_scalarIT5_EEPKT3_S3_PKS5_S9_S3_SB_S6_S9_S3_SB_S9_PS1_PS5_21rocsparse_index_base_SE_SE_SE_bbb.kd
    .uniform_work_group_size: 1
    .uses_dynamic_stack: false
    .vgpr_count:     42
    .vgpr_spill_count: 0
    .wavefront_size: 32
    .workgroup_processor_mode: 1
  - .args:
      - .offset:         0
        .size:           8
        .value_kind:     by_value
      - .actual_access:  read_only
        .address_space:  global
        .offset:         8
        .size:           8
        .value_kind:     global_buffer
      - .actual_access:  read_only
        .address_space:  global
        .offset:         16
        .size:           8
        .value_kind:     global_buffer
      - .offset:         24
        .size:           8
        .value_kind:     by_value
      - .actual_access:  read_only
        .address_space:  global
        .offset:         32
        .size:           8
        .value_kind:     global_buffer
      - .actual_access:  read_only
        .address_space:  global
        .offset:         40
        .size:           8
        .value_kind:     global_buffer
      - .actual_access:  read_only
        .address_space:  global
        .offset:         48
        .size:           8
        .value_kind:     global_buffer
      - .actual_access:  read_only
        .address_space:  global
        .offset:         56
        .size:           8
        .value_kind:     global_buffer
      - .actual_access:  read_only
        .address_space:  global
        .offset:         64
        .size:           8
        .value_kind:     global_buffer
      - .actual_access:  read_only
        .address_space:  global
        .offset:         72
        .size:           8
        .value_kind:     global_buffer
      - .offset:         80
        .size:           8
        .value_kind:     by_value
      - .actual_access:  read_only
        .address_space:  global
        .offset:         88
        .size:           8
        .value_kind:     global_buffer
      - .actual_access:  read_only
        .address_space:  global
        .offset:         96
        .size:           8
        .value_kind:     global_buffer
      - .actual_access:  read_only
        .address_space:  global
        .offset:         104
        .size:           8
        .value_kind:     global_buffer
      - .actual_access:  read_only
        .address_space:  global
        .offset:         112
        .size:           8
        .value_kind:     global_buffer
      - .actual_access:  write_only
        .address_space:  global
        .offset:         120
        .size:           8
        .value_kind:     global_buffer
      - .actual_access:  write_only
        .address_space:  global
        .offset:         128
        .size:           8
        .value_kind:     global_buffer
      - .offset:         136
        .size:           4
        .value_kind:     by_value
      - .offset:         140
        .size:           4
        .value_kind:     by_value
      - .offset:         144
        .size:           4
        .value_kind:     by_value
      - .offset:         148
        .size:           4
        .value_kind:     by_value
      - .offset:         152
        .size:           1
        .value_kind:     by_value
      - .offset:         153
        .size:           1
        .value_kind:     by_value
      - .offset:         154
        .size:           1
        .value_kind:     by_value
    .group_segment_fixed_size: 0
    .kernarg_segment_align: 8
    .kernarg_segment_size: 156
    .language:       OpenCL C
    .language_version:
      - 2
      - 0
    .max_flat_workgroup_size: 128
    .name:           _ZN9rocsparseL26csrgemm_fill_block_per_rowILj128ELj16ELj256ELj137ELj32EllfEEvT5_PKS1_S3_NS_24const_host_device_scalarIT6_EEPKT4_S3_PKS5_S9_S3_SB_S6_S9_S3_SB_S9_PS1_PS5_21rocsparse_index_base_SE_SE_SE_bbb
    .private_segment_fixed_size: 0
    .sgpr_count:     47
    .sgpr_spill_count: 0
    .symbol:         _ZN9rocsparseL26csrgemm_fill_block_per_rowILj128ELj16ELj256ELj137ELj32EllfEEvT5_PKS1_S3_NS_24const_host_device_scalarIT6_EEPKT4_S3_PKS5_S9_S3_SB_S6_S9_S3_SB_S9_PS1_PS5_21rocsparse_index_base_SE_SE_SE_bbb.kd
    .uniform_work_group_size: 1
    .uses_dynamic_stack: false
    .vgpr_count:     23
    .vgpr_spill_count: 0
    .wavefront_size: 32
    .workgroup_processor_mode: 1
  - .args:
      - .offset:         0
        .size:           8
        .value_kind:     by_value
      - .actual_access:  read_only
        .address_space:  global
        .offset:         8
        .size:           8
        .value_kind:     global_buffer
      - .actual_access:  read_only
        .address_space:  global
        .offset:         16
        .size:           8
        .value_kind:     global_buffer
      - .offset:         24
        .size:           8
        .value_kind:     by_value
      - .actual_access:  read_only
        .address_space:  global
        .offset:         32
        .size:           8
        .value_kind:     global_buffer
      - .actual_access:  read_only
        .address_space:  global
        .offset:         40
        .size:           8
        .value_kind:     global_buffer
      - .actual_access:  read_only
        .address_space:  global
        .offset:         48
        .size:           8
        .value_kind:     global_buffer
      - .actual_access:  read_only
        .address_space:  global
        .offset:         56
        .size:           8
        .value_kind:     global_buffer
      - .actual_access:  read_only
        .address_space:  global
        .offset:         64
        .size:           8
        .value_kind:     global_buffer
      - .actual_access:  read_only
        .address_space:  global
        .offset:         72
        .size:           8
        .value_kind:     global_buffer
      - .offset:         80
        .size:           8
        .value_kind:     by_value
      - .actual_access:  read_only
        .address_space:  global
        .offset:         88
        .size:           8
        .value_kind:     global_buffer
      - .actual_access:  read_only
        .address_space:  global
        .offset:         96
        .size:           8
        .value_kind:     global_buffer
      - .actual_access:  read_only
        .address_space:  global
        .offset:         104
        .size:           8
        .value_kind:     global_buffer
      - .actual_access:  read_only
        .address_space:  global
        .offset:         112
        .size:           8
        .value_kind:     global_buffer
      - .actual_access:  write_only
        .address_space:  global
        .offset:         120
        .size:           8
        .value_kind:     global_buffer
      - .actual_access:  write_only
        .address_space:  global
        .offset:         128
        .size:           8
        .value_kind:     global_buffer
      - .offset:         136
        .size:           4
        .value_kind:     by_value
      - .offset:         140
        .size:           4
        .value_kind:     by_value
      - .offset:         144
        .size:           4
        .value_kind:     by_value
      - .offset:         148
        .size:           4
        .value_kind:     by_value
      - .offset:         152
        .size:           1
        .value_kind:     by_value
      - .offset:         153
        .size:           1
        .value_kind:     by_value
      - .offset:         154
        .size:           1
        .value_kind:     by_value
    .group_segment_fixed_size: 0
    .kernarg_segment_align: 8
    .kernarg_segment_size: 156
    .language:       OpenCL C
    .language_version:
      - 2
      - 0
    .max_flat_workgroup_size: 128
    .name:           _ZN9rocsparseL26csrgemm_fill_block_per_rowILj128ELj16ELj256ELj137ELj64EllfEEvT5_PKS1_S3_NS_24const_host_device_scalarIT6_EEPKT4_S3_PKS5_S9_S3_SB_S6_S9_S3_SB_S9_PS1_PS5_21rocsparse_index_base_SE_SE_SE_bbb
    .private_segment_fixed_size: 0
    .sgpr_count:     47
    .sgpr_spill_count: 0
    .symbol:         _ZN9rocsparseL26csrgemm_fill_block_per_rowILj128ELj16ELj256ELj137ELj64EllfEEvT5_PKS1_S3_NS_24const_host_device_scalarIT6_EEPKT4_S3_PKS5_S9_S3_SB_S6_S9_S3_SB_S9_PS1_PS5_21rocsparse_index_base_SE_SE_SE_bbb.kd
    .uniform_work_group_size: 1
    .uses_dynamic_stack: false
    .vgpr_count:     23
    .vgpr_spill_count: 0
    .wavefront_size: 32
    .workgroup_processor_mode: 1
  - .args:
      - .offset:         0
        .size:           8
        .value_kind:     by_value
      - .actual_access:  read_only
        .address_space:  global
        .offset:         8
        .size:           8
        .value_kind:     global_buffer
      - .actual_access:  read_only
        .address_space:  global
        .offset:         16
        .size:           8
        .value_kind:     global_buffer
      - .offset:         24
        .size:           8
        .value_kind:     by_value
      - .actual_access:  read_only
        .address_space:  global
        .offset:         32
        .size:           8
        .value_kind:     global_buffer
      - .actual_access:  read_only
        .address_space:  global
        .offset:         40
        .size:           8
        .value_kind:     global_buffer
      - .actual_access:  read_only
        .address_space:  global
        .offset:         48
        .size:           8
        .value_kind:     global_buffer
      - .actual_access:  read_only
        .address_space:  global
        .offset:         56
        .size:           8
        .value_kind:     global_buffer
      - .actual_access:  read_only
        .address_space:  global
        .offset:         64
        .size:           8
        .value_kind:     global_buffer
      - .actual_access:  read_only
        .address_space:  global
        .offset:         72
        .size:           8
        .value_kind:     global_buffer
      - .offset:         80
        .size:           8
        .value_kind:     by_value
      - .actual_access:  read_only
        .address_space:  global
        .offset:         88
        .size:           8
        .value_kind:     global_buffer
      - .actual_access:  read_only
        .address_space:  global
        .offset:         96
        .size:           8
        .value_kind:     global_buffer
      - .actual_access:  read_only
        .address_space:  global
        .offset:         104
        .size:           8
        .value_kind:     global_buffer
      - .actual_access:  read_only
        .address_space:  global
        .offset:         112
        .size:           8
        .value_kind:     global_buffer
      - .actual_access:  write_only
        .address_space:  global
        .offset:         120
        .size:           8
        .value_kind:     global_buffer
      - .actual_access:  write_only
        .address_space:  global
        .offset:         128
        .size:           8
        .value_kind:     global_buffer
      - .offset:         136
        .size:           4
        .value_kind:     by_value
      - .offset:         140
        .size:           4
        .value_kind:     by_value
      - .offset:         144
        .size:           4
        .value_kind:     by_value
      - .offset:         148
        .size:           4
        .value_kind:     by_value
      - .offset:         152
        .size:           1
        .value_kind:     by_value
      - .offset:         153
        .size:           1
        .value_kind:     by_value
      - .offset:         154
        .size:           1
        .value_kind:     by_value
    .group_segment_fixed_size: 0
    .kernarg_segment_align: 8
    .kernarg_segment_size: 156
    .language:       OpenCL C
    .language_version:
      - 2
      - 0
    .max_flat_workgroup_size: 256
    .name:           _ZN9rocsparseL26csrgemm_fill_block_per_rowILj256ELj32ELj512ELj137ELj32EllfEEvT5_PKS1_S3_NS_24const_host_device_scalarIT6_EEPKT4_S3_PKS5_S9_S3_SB_S6_S9_S3_SB_S9_PS1_PS5_21rocsparse_index_base_SE_SE_SE_bbb
    .private_segment_fixed_size: 0
    .sgpr_count:     47
    .sgpr_spill_count: 0
    .symbol:         _ZN9rocsparseL26csrgemm_fill_block_per_rowILj256ELj32ELj512ELj137ELj32EllfEEvT5_PKS1_S3_NS_24const_host_device_scalarIT6_EEPKT4_S3_PKS5_S9_S3_SB_S6_S9_S3_SB_S9_PS1_PS5_21rocsparse_index_base_SE_SE_SE_bbb.kd
    .uniform_work_group_size: 1
    .uses_dynamic_stack: false
    .vgpr_count:     23
    .vgpr_spill_count: 0
    .wavefront_size: 32
    .workgroup_processor_mode: 1
  - .args:
      - .offset:         0
        .size:           8
        .value_kind:     by_value
      - .actual_access:  read_only
        .address_space:  global
        .offset:         8
        .size:           8
        .value_kind:     global_buffer
      - .actual_access:  read_only
        .address_space:  global
        .offset:         16
        .size:           8
        .value_kind:     global_buffer
      - .offset:         24
        .size:           8
        .value_kind:     by_value
      - .actual_access:  read_only
        .address_space:  global
        .offset:         32
        .size:           8
        .value_kind:     global_buffer
      - .actual_access:  read_only
        .address_space:  global
        .offset:         40
        .size:           8
        .value_kind:     global_buffer
      - .actual_access:  read_only
        .address_space:  global
        .offset:         48
        .size:           8
        .value_kind:     global_buffer
      - .actual_access:  read_only
        .address_space:  global
        .offset:         56
        .size:           8
        .value_kind:     global_buffer
      - .actual_access:  read_only
        .address_space:  global
        .offset:         64
        .size:           8
        .value_kind:     global_buffer
      - .actual_access:  read_only
        .address_space:  global
        .offset:         72
        .size:           8
        .value_kind:     global_buffer
      - .offset:         80
        .size:           8
        .value_kind:     by_value
      - .actual_access:  read_only
        .address_space:  global
        .offset:         88
        .size:           8
        .value_kind:     global_buffer
      - .actual_access:  read_only
        .address_space:  global
        .offset:         96
        .size:           8
        .value_kind:     global_buffer
      - .actual_access:  read_only
        .address_space:  global
        .offset:         104
        .size:           8
        .value_kind:     global_buffer
      - .actual_access:  read_only
        .address_space:  global
        .offset:         112
        .size:           8
        .value_kind:     global_buffer
      - .actual_access:  write_only
        .address_space:  global
        .offset:         120
        .size:           8
        .value_kind:     global_buffer
      - .actual_access:  write_only
        .address_space:  global
        .offset:         128
        .size:           8
        .value_kind:     global_buffer
      - .offset:         136
        .size:           4
        .value_kind:     by_value
      - .offset:         140
        .size:           4
        .value_kind:     by_value
      - .offset:         144
        .size:           4
        .value_kind:     by_value
      - .offset:         148
        .size:           4
        .value_kind:     by_value
      - .offset:         152
        .size:           1
        .value_kind:     by_value
      - .offset:         153
        .size:           1
        .value_kind:     by_value
      - .offset:         154
        .size:           1
        .value_kind:     by_value
    .group_segment_fixed_size: 0
    .kernarg_segment_align: 8
    .kernarg_segment_size: 156
    .language:       OpenCL C
    .language_version:
      - 2
      - 0
    .max_flat_workgroup_size: 256
    .name:           _ZN9rocsparseL26csrgemm_fill_block_per_rowILj256ELj32ELj512ELj137ELj64EllfEEvT5_PKS1_S3_NS_24const_host_device_scalarIT6_EEPKT4_S3_PKS5_S9_S3_SB_S6_S9_S3_SB_S9_PS1_PS5_21rocsparse_index_base_SE_SE_SE_bbb
    .private_segment_fixed_size: 0
    .sgpr_count:     47
    .sgpr_spill_count: 0
    .symbol:         _ZN9rocsparseL26csrgemm_fill_block_per_rowILj256ELj32ELj512ELj137ELj64EllfEEvT5_PKS1_S3_NS_24const_host_device_scalarIT6_EEPKT4_S3_PKS5_S9_S3_SB_S6_S9_S3_SB_S9_PS1_PS5_21rocsparse_index_base_SE_SE_SE_bbb.kd
    .uniform_work_group_size: 1
    .uses_dynamic_stack: false
    .vgpr_count:     23
    .vgpr_spill_count: 0
    .wavefront_size: 32
    .workgroup_processor_mode: 1
  - .args:
      - .offset:         0
        .size:           8
        .value_kind:     by_value
      - .actual_access:  read_only
        .address_space:  global
        .offset:         8
        .size:           8
        .value_kind:     global_buffer
      - .actual_access:  read_only
        .address_space:  global
        .offset:         16
        .size:           8
        .value_kind:     global_buffer
      - .offset:         24
        .size:           8
        .value_kind:     by_value
      - .actual_access:  read_only
        .address_space:  global
        .offset:         32
        .size:           8
        .value_kind:     global_buffer
      - .actual_access:  read_only
        .address_space:  global
        .offset:         40
        .size:           8
        .value_kind:     global_buffer
      - .actual_access:  read_only
        .address_space:  global
        .offset:         48
        .size:           8
        .value_kind:     global_buffer
      - .actual_access:  read_only
        .address_space:  global
        .offset:         56
        .size:           8
        .value_kind:     global_buffer
      - .actual_access:  read_only
        .address_space:  global
        .offset:         64
        .size:           8
        .value_kind:     global_buffer
      - .actual_access:  read_only
        .address_space:  global
        .offset:         72
        .size:           8
        .value_kind:     global_buffer
      - .offset:         80
        .size:           8
        .value_kind:     by_value
      - .actual_access:  read_only
        .address_space:  global
        .offset:         88
        .size:           8
        .value_kind:     global_buffer
      - .actual_access:  read_only
        .address_space:  global
        .offset:         96
        .size:           8
        .value_kind:     global_buffer
      - .actual_access:  read_only
        .address_space:  global
        .offset:         104
        .size:           8
        .value_kind:     global_buffer
      - .actual_access:  read_only
        .address_space:  global
        .offset:         112
        .size:           8
        .value_kind:     global_buffer
      - .actual_access:  write_only
        .address_space:  global
        .offset:         120
        .size:           8
        .value_kind:     global_buffer
      - .actual_access:  write_only
        .address_space:  global
        .offset:         128
        .size:           8
        .value_kind:     global_buffer
      - .offset:         136
        .size:           4
        .value_kind:     by_value
      - .offset:         140
        .size:           4
        .value_kind:     by_value
      - .offset:         144
        .size:           4
        .value_kind:     by_value
      - .offset:         148
        .size:           4
        .value_kind:     by_value
      - .offset:         152
        .size:           1
        .value_kind:     by_value
      - .offset:         153
        .size:           1
        .value_kind:     by_value
      - .offset:         154
        .size:           1
        .value_kind:     by_value
    .group_segment_fixed_size: 0
    .kernarg_segment_align: 8
    .kernarg_segment_size: 156
    .language:       OpenCL C
    .language_version:
      - 2
      - 0
    .max_flat_workgroup_size: 512
    .name:           _ZN9rocsparseL26csrgemm_fill_block_per_rowILj512ELj32ELj1024ELj137ELj32EllfEEvT5_PKS1_S3_NS_24const_host_device_scalarIT6_EEPKT4_S3_PKS5_S9_S3_SB_S6_S9_S3_SB_S9_PS1_PS5_21rocsparse_index_base_SE_SE_SE_bbb
    .private_segment_fixed_size: 0
    .sgpr_count:     46
    .sgpr_spill_count: 0
    .symbol:         _ZN9rocsparseL26csrgemm_fill_block_per_rowILj512ELj32ELj1024ELj137ELj32EllfEEvT5_PKS1_S3_NS_24const_host_device_scalarIT6_EEPKT4_S3_PKS5_S9_S3_SB_S6_S9_S3_SB_S9_PS1_PS5_21rocsparse_index_base_SE_SE_SE_bbb.kd
    .uniform_work_group_size: 1
    .uses_dynamic_stack: false
    .vgpr_count:     23
    .vgpr_spill_count: 0
    .wavefront_size: 32
    .workgroup_processor_mode: 1
  - .args:
      - .offset:         0
        .size:           8
        .value_kind:     by_value
      - .actual_access:  read_only
        .address_space:  global
        .offset:         8
        .size:           8
        .value_kind:     global_buffer
      - .actual_access:  read_only
        .address_space:  global
        .offset:         16
        .size:           8
        .value_kind:     global_buffer
      - .offset:         24
        .size:           8
        .value_kind:     by_value
      - .actual_access:  read_only
        .address_space:  global
        .offset:         32
        .size:           8
        .value_kind:     global_buffer
      - .actual_access:  read_only
        .address_space:  global
        .offset:         40
        .size:           8
        .value_kind:     global_buffer
      - .actual_access:  read_only
        .address_space:  global
        .offset:         48
        .size:           8
        .value_kind:     global_buffer
      - .actual_access:  read_only
        .address_space:  global
        .offset:         56
        .size:           8
        .value_kind:     global_buffer
      - .actual_access:  read_only
        .address_space:  global
        .offset:         64
        .size:           8
        .value_kind:     global_buffer
      - .actual_access:  read_only
        .address_space:  global
        .offset:         72
        .size:           8
        .value_kind:     global_buffer
      - .offset:         80
        .size:           8
        .value_kind:     by_value
      - .actual_access:  read_only
        .address_space:  global
        .offset:         88
        .size:           8
        .value_kind:     global_buffer
      - .actual_access:  read_only
        .address_space:  global
        .offset:         96
        .size:           8
        .value_kind:     global_buffer
      - .actual_access:  read_only
        .address_space:  global
        .offset:         104
        .size:           8
        .value_kind:     global_buffer
      - .actual_access:  read_only
        .address_space:  global
        .offset:         112
        .size:           8
        .value_kind:     global_buffer
      - .actual_access:  write_only
        .address_space:  global
        .offset:         120
        .size:           8
        .value_kind:     global_buffer
      - .actual_access:  write_only
        .address_space:  global
        .offset:         128
        .size:           8
        .value_kind:     global_buffer
      - .offset:         136
        .size:           4
        .value_kind:     by_value
      - .offset:         140
        .size:           4
        .value_kind:     by_value
      - .offset:         144
        .size:           4
        .value_kind:     by_value
      - .offset:         148
        .size:           4
        .value_kind:     by_value
      - .offset:         152
        .size:           1
        .value_kind:     by_value
      - .offset:         153
        .size:           1
        .value_kind:     by_value
      - .offset:         154
        .size:           1
        .value_kind:     by_value
    .group_segment_fixed_size: 0
    .kernarg_segment_align: 8
    .kernarg_segment_size: 156
    .language:       OpenCL C
    .language_version:
      - 2
      - 0
    .max_flat_workgroup_size: 512
    .name:           _ZN9rocsparseL26csrgemm_fill_block_per_rowILj512ELj32ELj1024ELj137ELj64EllfEEvT5_PKS1_S3_NS_24const_host_device_scalarIT6_EEPKT4_S3_PKS5_S9_S3_SB_S6_S9_S3_SB_S9_PS1_PS5_21rocsparse_index_base_SE_SE_SE_bbb
    .private_segment_fixed_size: 0
    .sgpr_count:     46
    .sgpr_spill_count: 0
    .symbol:         _ZN9rocsparseL26csrgemm_fill_block_per_rowILj512ELj32ELj1024ELj137ELj64EllfEEvT5_PKS1_S3_NS_24const_host_device_scalarIT6_EEPKT4_S3_PKS5_S9_S3_SB_S6_S9_S3_SB_S9_PS1_PS5_21rocsparse_index_base_SE_SE_SE_bbb.kd
    .uniform_work_group_size: 1
    .uses_dynamic_stack: false
    .vgpr_count:     23
    .vgpr_spill_count: 0
    .wavefront_size: 32
    .workgroup_processor_mode: 1
  - .args:
      - .offset:         0
        .size:           8
        .value_kind:     by_value
      - .actual_access:  read_only
        .address_space:  global
        .offset:         8
        .size:           8
        .value_kind:     global_buffer
      - .actual_access:  read_only
        .address_space:  global
        .offset:         16
        .size:           8
        .value_kind:     global_buffer
      - .offset:         24
        .size:           8
        .value_kind:     by_value
      - .actual_access:  read_only
        .address_space:  global
        .offset:         32
        .size:           8
        .value_kind:     global_buffer
      - .actual_access:  read_only
        .address_space:  global
        .offset:         40
        .size:           8
        .value_kind:     global_buffer
      - .actual_access:  read_only
        .address_space:  global
        .offset:         48
        .size:           8
        .value_kind:     global_buffer
      - .actual_access:  read_only
        .address_space:  global
        .offset:         56
        .size:           8
        .value_kind:     global_buffer
      - .actual_access:  read_only
        .address_space:  global
        .offset:         64
        .size:           8
        .value_kind:     global_buffer
      - .actual_access:  read_only
        .address_space:  global
        .offset:         72
        .size:           8
        .value_kind:     global_buffer
      - .offset:         80
        .size:           8
        .value_kind:     by_value
      - .actual_access:  read_only
        .address_space:  global
        .offset:         88
        .size:           8
        .value_kind:     global_buffer
      - .actual_access:  read_only
        .address_space:  global
        .offset:         96
        .size:           8
        .value_kind:     global_buffer
      - .actual_access:  read_only
        .address_space:  global
        .offset:         104
        .size:           8
        .value_kind:     global_buffer
      - .actual_access:  read_only
        .address_space:  global
        .offset:         112
        .size:           8
        .value_kind:     global_buffer
      - .actual_access:  write_only
        .address_space:  global
        .offset:         120
        .size:           8
        .value_kind:     global_buffer
      - .actual_access:  write_only
        .address_space:  global
        .offset:         128
        .size:           8
        .value_kind:     global_buffer
      - .offset:         136
        .size:           4
        .value_kind:     by_value
      - .offset:         140
        .size:           4
        .value_kind:     by_value
      - .offset:         144
        .size:           4
        .value_kind:     by_value
      - .offset:         148
        .size:           4
        .value_kind:     by_value
      - .offset:         152
        .size:           1
        .value_kind:     by_value
      - .offset:         153
        .size:           1
        .value_kind:     by_value
      - .offset:         154
        .size:           1
        .value_kind:     by_value
    .group_segment_fixed_size: 0
    .kernarg_segment_align: 8
    .kernarg_segment_size: 156
    .language:       OpenCL C
    .language_version:
      - 2
      - 0
    .max_flat_workgroup_size: 1024
    .name:           _ZN9rocsparseL26csrgemm_fill_block_per_rowILj1024ELj32ELj2048ELj137ELj32EllfEEvT5_PKS1_S3_NS_24const_host_device_scalarIT6_EEPKT4_S3_PKS5_S9_S3_SB_S6_S9_S3_SB_S9_PS1_PS5_21rocsparse_index_base_SE_SE_SE_bbb
    .private_segment_fixed_size: 0
    .sgpr_count:     56
    .sgpr_spill_count: 0
    .symbol:         _ZN9rocsparseL26csrgemm_fill_block_per_rowILj1024ELj32ELj2048ELj137ELj32EllfEEvT5_PKS1_S3_NS_24const_host_device_scalarIT6_EEPKT4_S3_PKS5_S9_S3_SB_S6_S9_S3_SB_S9_PS1_PS5_21rocsparse_index_base_SE_SE_SE_bbb.kd
    .uniform_work_group_size: 1
    .uses_dynamic_stack: false
    .vgpr_count:     23
    .vgpr_spill_count: 0
    .wavefront_size: 32
    .workgroup_processor_mode: 1
  - .args:
      - .offset:         0
        .size:           8
        .value_kind:     by_value
      - .actual_access:  read_only
        .address_space:  global
        .offset:         8
        .size:           8
        .value_kind:     global_buffer
      - .actual_access:  read_only
        .address_space:  global
        .offset:         16
        .size:           8
        .value_kind:     global_buffer
      - .offset:         24
        .size:           8
        .value_kind:     by_value
      - .actual_access:  read_only
        .address_space:  global
        .offset:         32
        .size:           8
        .value_kind:     global_buffer
      - .actual_access:  read_only
        .address_space:  global
        .offset:         40
        .size:           8
        .value_kind:     global_buffer
      - .actual_access:  read_only
        .address_space:  global
        .offset:         48
        .size:           8
        .value_kind:     global_buffer
      - .actual_access:  read_only
        .address_space:  global
        .offset:         56
        .size:           8
        .value_kind:     global_buffer
      - .actual_access:  read_only
        .address_space:  global
        .offset:         64
        .size:           8
        .value_kind:     global_buffer
      - .actual_access:  read_only
        .address_space:  global
        .offset:         72
        .size:           8
        .value_kind:     global_buffer
      - .offset:         80
        .size:           8
        .value_kind:     by_value
      - .actual_access:  read_only
        .address_space:  global
        .offset:         88
        .size:           8
        .value_kind:     global_buffer
      - .actual_access:  read_only
        .address_space:  global
        .offset:         96
        .size:           8
        .value_kind:     global_buffer
      - .actual_access:  read_only
        .address_space:  global
        .offset:         104
        .size:           8
        .value_kind:     global_buffer
      - .actual_access:  read_only
        .address_space:  global
        .offset:         112
        .size:           8
        .value_kind:     global_buffer
      - .actual_access:  write_only
        .address_space:  global
        .offset:         120
        .size:           8
        .value_kind:     global_buffer
      - .actual_access:  write_only
        .address_space:  global
        .offset:         128
        .size:           8
        .value_kind:     global_buffer
      - .offset:         136
        .size:           4
        .value_kind:     by_value
      - .offset:         140
        .size:           4
        .value_kind:     by_value
      - .offset:         144
        .size:           4
        .value_kind:     by_value
      - .offset:         148
        .size:           4
        .value_kind:     by_value
      - .offset:         152
        .size:           1
        .value_kind:     by_value
      - .offset:         153
        .size:           1
        .value_kind:     by_value
      - .offset:         154
        .size:           1
        .value_kind:     by_value
    .group_segment_fixed_size: 0
    .kernarg_segment_align: 8
    .kernarg_segment_size: 156
    .language:       OpenCL C
    .language_version:
      - 2
      - 0
    .max_flat_workgroup_size: 1024
    .name:           _ZN9rocsparseL26csrgemm_fill_block_per_rowILj1024ELj32ELj2048ELj137ELj64EllfEEvT5_PKS1_S3_NS_24const_host_device_scalarIT6_EEPKT4_S3_PKS5_S9_S3_SB_S6_S9_S3_SB_S9_PS1_PS5_21rocsparse_index_base_SE_SE_SE_bbb
    .private_segment_fixed_size: 0
    .sgpr_count:     46
    .sgpr_spill_count: 0
    .symbol:         _ZN9rocsparseL26csrgemm_fill_block_per_rowILj1024ELj32ELj2048ELj137ELj64EllfEEvT5_PKS1_S3_NS_24const_host_device_scalarIT6_EEPKT4_S3_PKS5_S9_S3_SB_S6_S9_S3_SB_S9_PS1_PS5_21rocsparse_index_base_SE_SE_SE_bbb.kd
    .uniform_work_group_size: 1
    .uses_dynamic_stack: false
    .vgpr_count:     23
    .vgpr_spill_count: 0
    .wavefront_size: 32
    .workgroup_processor_mode: 1
  - .args:
      - .offset:         0
        .size:           8
        .value_kind:     by_value
      - .actual_access:  read_only
        .address_space:  global
        .offset:         8
        .size:           8
        .value_kind:     global_buffer
      - .actual_access:  read_only
        .address_space:  global
        .offset:         16
        .size:           8
        .value_kind:     global_buffer
      - .offset:         24
        .size:           8
        .value_kind:     by_value
      - .actual_access:  read_only
        .address_space:  global
        .offset:         32
        .size:           8
        .value_kind:     global_buffer
      - .actual_access:  read_only
        .address_space:  global
        .offset:         40
        .size:           8
        .value_kind:     global_buffer
      - .actual_access:  read_only
        .address_space:  global
        .offset:         48
        .size:           8
        .value_kind:     global_buffer
      - .actual_access:  read_only
        .address_space:  global
        .offset:         56
        .size:           8
        .value_kind:     global_buffer
      - .actual_access:  read_only
        .address_space:  global
        .offset:         64
        .size:           8
        .value_kind:     global_buffer
      - .actual_access:  read_only
        .address_space:  global
        .offset:         72
        .size:           8
        .value_kind:     global_buffer
      - .offset:         80
        .size:           8
        .value_kind:     by_value
      - .actual_access:  read_only
        .address_space:  global
        .offset:         88
        .size:           8
        .value_kind:     global_buffer
      - .actual_access:  read_only
        .address_space:  global
        .offset:         96
        .size:           8
        .value_kind:     global_buffer
      - .actual_access:  read_only
        .address_space:  global
        .offset:         104
        .size:           8
        .value_kind:     global_buffer
      - .actual_access:  read_only
        .address_space:  global
        .offset:         112
        .size:           8
        .value_kind:     global_buffer
      - .actual_access:  write_only
        .address_space:  global
        .offset:         120
        .size:           8
        .value_kind:     global_buffer
      - .actual_access:  write_only
        .address_space:  global
        .offset:         128
        .size:           8
        .value_kind:     global_buffer
      - .offset:         136
        .size:           4
        .value_kind:     by_value
      - .offset:         140
        .size:           4
        .value_kind:     by_value
      - .offset:         144
        .size:           4
        .value_kind:     by_value
      - .offset:         148
        .size:           4
        .value_kind:     by_value
      - .offset:         152
        .size:           1
        .value_kind:     by_value
      - .offset:         153
        .size:           1
        .value_kind:     by_value
      - .offset:         154
        .size:           1
        .value_kind:     by_value
    .group_segment_fixed_size: 0
    .kernarg_segment_align: 8
    .kernarg_segment_size: 156
    .language:       OpenCL C
    .language_version:
      - 2
      - 0
    .max_flat_workgroup_size: 1024
    .name:           _ZN9rocsparseL26csrgemm_fill_block_per_rowILj1024ELj64ELj4096ELj137ELj32EllfEEvT5_PKS1_S3_NS_24const_host_device_scalarIT6_EEPKT4_S3_PKS5_S9_S3_SB_S6_S9_S3_SB_S9_PS1_PS5_21rocsparse_index_base_SE_SE_SE_bbb
    .private_segment_fixed_size: 0
    .sgpr_count:     56
    .sgpr_spill_count: 0
    .symbol:         _ZN9rocsparseL26csrgemm_fill_block_per_rowILj1024ELj64ELj4096ELj137ELj32EllfEEvT5_PKS1_S3_NS_24const_host_device_scalarIT6_EEPKT4_S3_PKS5_S9_S3_SB_S6_S9_S3_SB_S9_PS1_PS5_21rocsparse_index_base_SE_SE_SE_bbb.kd
    .uniform_work_group_size: 1
    .uses_dynamic_stack: false
    .vgpr_count:     23
    .vgpr_spill_count: 0
    .wavefront_size: 32
    .workgroup_processor_mode: 1
  - .args:
      - .offset:         0
        .size:           8
        .value_kind:     by_value
      - .actual_access:  read_only
        .address_space:  global
        .offset:         8
        .size:           8
        .value_kind:     global_buffer
      - .actual_access:  read_only
        .address_space:  global
        .offset:         16
        .size:           8
        .value_kind:     global_buffer
      - .offset:         24
        .size:           8
        .value_kind:     by_value
      - .actual_access:  read_only
        .address_space:  global
        .offset:         32
        .size:           8
        .value_kind:     global_buffer
      - .actual_access:  read_only
        .address_space:  global
        .offset:         40
        .size:           8
        .value_kind:     global_buffer
      - .actual_access:  read_only
        .address_space:  global
        .offset:         48
        .size:           8
        .value_kind:     global_buffer
      - .actual_access:  read_only
        .address_space:  global
        .offset:         56
        .size:           8
        .value_kind:     global_buffer
      - .actual_access:  read_only
        .address_space:  global
        .offset:         64
        .size:           8
        .value_kind:     global_buffer
      - .actual_access:  read_only
        .address_space:  global
        .offset:         72
        .size:           8
        .value_kind:     global_buffer
      - .offset:         80
        .size:           8
        .value_kind:     by_value
      - .actual_access:  read_only
        .address_space:  global
        .offset:         88
        .size:           8
        .value_kind:     global_buffer
      - .actual_access:  read_only
        .address_space:  global
        .offset:         96
        .size:           8
        .value_kind:     global_buffer
      - .actual_access:  read_only
        .address_space:  global
        .offset:         104
        .size:           8
        .value_kind:     global_buffer
      - .actual_access:  read_only
        .address_space:  global
        .offset:         112
        .size:           8
        .value_kind:     global_buffer
      - .actual_access:  write_only
        .address_space:  global
        .offset:         120
        .size:           8
        .value_kind:     global_buffer
      - .actual_access:  write_only
        .address_space:  global
        .offset:         128
        .size:           8
        .value_kind:     global_buffer
      - .offset:         136
        .size:           4
        .value_kind:     by_value
      - .offset:         140
        .size:           4
        .value_kind:     by_value
      - .offset:         144
        .size:           4
        .value_kind:     by_value
      - .offset:         148
        .size:           4
        .value_kind:     by_value
      - .offset:         152
        .size:           1
        .value_kind:     by_value
      - .offset:         153
        .size:           1
        .value_kind:     by_value
      - .offset:         154
        .size:           1
        .value_kind:     by_value
    .group_segment_fixed_size: 0
    .kernarg_segment_align: 8
    .kernarg_segment_size: 156
    .language:       OpenCL C
    .language_version:
      - 2
      - 0
    .max_flat_workgroup_size: 1024
    .name:           _ZN9rocsparseL26csrgemm_fill_block_per_rowILj1024ELj64ELj4096ELj137ELj64EllfEEvT5_PKS1_S3_NS_24const_host_device_scalarIT6_EEPKT4_S3_PKS5_S9_S3_SB_S6_S9_S3_SB_S9_PS1_PS5_21rocsparse_index_base_SE_SE_SE_bbb
    .private_segment_fixed_size: 0
    .sgpr_count:     46
    .sgpr_spill_count: 0
    .symbol:         _ZN9rocsparseL26csrgemm_fill_block_per_rowILj1024ELj64ELj4096ELj137ELj64EllfEEvT5_PKS1_S3_NS_24const_host_device_scalarIT6_EEPKT4_S3_PKS5_S9_S3_SB_S6_S9_S3_SB_S9_PS1_PS5_21rocsparse_index_base_SE_SE_SE_bbb.kd
    .uniform_work_group_size: 1
    .uses_dynamic_stack: false
    .vgpr_count:     23
    .vgpr_spill_count: 0
    .wavefront_size: 32
    .workgroup_processor_mode: 1
  - .args:
      - .offset:         0
        .size:           8
        .value_kind:     by_value
      - .actual_access:  read_only
        .address_space:  global
        .offset:         8
        .size:           8
        .value_kind:     global_buffer
      - .actual_access:  read_only
        .address_space:  global
        .offset:         16
        .size:           8
        .value_kind:     global_buffer
      - .offset:         24
        .size:           8
        .value_kind:     by_value
      - .actual_access:  read_only
        .address_space:  global
        .offset:         32
        .size:           8
        .value_kind:     global_buffer
      - .actual_access:  read_only
        .address_space:  global
        .offset:         40
        .size:           8
        .value_kind:     global_buffer
      - .actual_access:  read_only
        .address_space:  global
        .offset:         48
        .size:           8
        .value_kind:     global_buffer
      - .actual_access:  read_only
        .address_space:  global
        .offset:         56
        .size:           8
        .value_kind:     global_buffer
      - .actual_access:  read_only
        .address_space:  global
        .offset:         64
        .size:           8
        .value_kind:     global_buffer
      - .actual_access:  read_only
        .address_space:  global
        .offset:         72
        .size:           8
        .value_kind:     global_buffer
      - .offset:         80
        .size:           8
        .value_kind:     by_value
      - .actual_access:  read_only
        .address_space:  global
        .offset:         88
        .size:           8
        .value_kind:     global_buffer
      - .actual_access:  read_only
        .address_space:  global
        .offset:         96
        .size:           8
        .value_kind:     global_buffer
      - .actual_access:  read_only
        .address_space:  global
        .offset:         104
        .size:           8
        .value_kind:     global_buffer
      - .actual_access:  read_only
        .address_space:  global
        .offset:         112
        .size:           8
        .value_kind:     global_buffer
      - .actual_access:  write_only
        .address_space:  global
        .offset:         120
        .size:           8
        .value_kind:     global_buffer
      - .actual_access:  write_only
        .address_space:  global
        .offset:         128
        .size:           8
        .value_kind:     global_buffer
      - .offset:         136
        .size:           4
        .value_kind:     by_value
      - .offset:         140
        .size:           4
        .value_kind:     by_value
      - .offset:         144
        .size:           4
        .value_kind:     by_value
      - .offset:         148
        .size:           4
        .value_kind:     by_value
      - .offset:         152
        .size:           1
        .value_kind:     by_value
      - .offset:         153
        .size:           1
        .value_kind:     by_value
      - .offset:         154
        .size:           1
        .value_kind:     by_value
    .group_segment_fixed_size: 0
    .kernarg_segment_align: 8
    .kernarg_segment_size: 156
    .language:       OpenCL C
    .language_version:
      - 2
      - 0
    .max_flat_workgroup_size: 1024
    .name:           _ZN9rocsparseL26csrgemm_fill_block_per_rowILj1024ELj64ELj8192ELj137ELj32EllfEEvT5_PKS1_S3_NS_24const_host_device_scalarIT6_EEPKT4_S3_PKS5_S9_S3_SB_S6_S9_S3_SB_S9_PS1_PS5_21rocsparse_index_base_SE_SE_SE_bbb
    .private_segment_fixed_size: 0
    .sgpr_count:     80
    .sgpr_spill_count: 0
    .symbol:         _ZN9rocsparseL26csrgemm_fill_block_per_rowILj1024ELj64ELj8192ELj137ELj32EllfEEvT5_PKS1_S3_NS_24const_host_device_scalarIT6_EEPKT4_S3_PKS5_S9_S3_SB_S6_S9_S3_SB_S9_PS1_PS5_21rocsparse_index_base_SE_SE_SE_bbb.kd
    .uniform_work_group_size: 1
    .uses_dynamic_stack: false
    .vgpr_count:     23
    .vgpr_spill_count: 0
    .wavefront_size: 32
    .workgroup_processor_mode: 1
  - .args:
      - .offset:         0
        .size:           8
        .value_kind:     by_value
      - .actual_access:  read_only
        .address_space:  global
        .offset:         8
        .size:           8
        .value_kind:     global_buffer
      - .actual_access:  read_only
        .address_space:  global
        .offset:         16
        .size:           8
        .value_kind:     global_buffer
      - .offset:         24
        .size:           8
        .value_kind:     by_value
      - .actual_access:  read_only
        .address_space:  global
        .offset:         32
        .size:           8
        .value_kind:     global_buffer
      - .actual_access:  read_only
        .address_space:  global
        .offset:         40
        .size:           8
        .value_kind:     global_buffer
      - .actual_access:  read_only
        .address_space:  global
        .offset:         48
        .size:           8
        .value_kind:     global_buffer
      - .actual_access:  read_only
        .address_space:  global
        .offset:         56
        .size:           8
        .value_kind:     global_buffer
      - .actual_access:  read_only
        .address_space:  global
        .offset:         64
        .size:           8
        .value_kind:     global_buffer
      - .actual_access:  read_only
        .address_space:  global
        .offset:         72
        .size:           8
        .value_kind:     global_buffer
      - .offset:         80
        .size:           8
        .value_kind:     by_value
      - .actual_access:  read_only
        .address_space:  global
        .offset:         88
        .size:           8
        .value_kind:     global_buffer
      - .actual_access:  read_only
        .address_space:  global
        .offset:         96
        .size:           8
        .value_kind:     global_buffer
      - .actual_access:  read_only
        .address_space:  global
        .offset:         104
        .size:           8
        .value_kind:     global_buffer
      - .actual_access:  read_only
        .address_space:  global
        .offset:         112
        .size:           8
        .value_kind:     global_buffer
      - .actual_access:  write_only
        .address_space:  global
        .offset:         120
        .size:           8
        .value_kind:     global_buffer
      - .actual_access:  write_only
        .address_space:  global
        .offset:         128
        .size:           8
        .value_kind:     global_buffer
      - .offset:         136
        .size:           4
        .value_kind:     by_value
      - .offset:         140
        .size:           4
        .value_kind:     by_value
      - .offset:         144
        .size:           4
        .value_kind:     by_value
      - .offset:         148
        .size:           4
        .value_kind:     by_value
      - .offset:         152
        .size:           1
        .value_kind:     by_value
      - .offset:         153
        .size:           1
        .value_kind:     by_value
      - .offset:         154
        .size:           1
        .value_kind:     by_value
    .group_segment_fixed_size: 0
    .kernarg_segment_align: 8
    .kernarg_segment_size: 156
    .language:       OpenCL C
    .language_version:
      - 2
      - 0
    .max_flat_workgroup_size: 1024
    .name:           _ZN9rocsparseL26csrgemm_fill_block_per_rowILj1024ELj64ELj8192ELj137ELj64EllfEEvT5_PKS1_S3_NS_24const_host_device_scalarIT6_EEPKT4_S3_PKS5_S9_S3_SB_S6_S9_S3_SB_S9_PS1_PS5_21rocsparse_index_base_SE_SE_SE_bbb
    .private_segment_fixed_size: 0
    .sgpr_count:     48
    .sgpr_spill_count: 0
    .symbol:         _ZN9rocsparseL26csrgemm_fill_block_per_rowILj1024ELj64ELj8192ELj137ELj64EllfEEvT5_PKS1_S3_NS_24const_host_device_scalarIT6_EEPKT4_S3_PKS5_S9_S3_SB_S6_S9_S3_SB_S9_PS1_PS5_21rocsparse_index_base_SE_SE_SE_bbb.kd
    .uniform_work_group_size: 1
    .uses_dynamic_stack: false
    .vgpr_count:     23
    .vgpr_spill_count: 0
    .wavefront_size: 32
    .workgroup_processor_mode: 1
  - .args:
      - .offset:         0
        .size:           8
        .value_kind:     by_value
      - .actual_access:  read_only
        .address_space:  global
        .offset:         8
        .size:           8
        .value_kind:     global_buffer
      - .actual_access:  read_only
        .address_space:  global
        .offset:         16
        .size:           8
        .value_kind:     global_buffer
      - .offset:         24
        .size:           8
        .value_kind:     by_value
      - .actual_access:  read_only
        .address_space:  global
        .offset:         32
        .size:           8
        .value_kind:     global_buffer
      - .actual_access:  read_only
        .address_space:  global
        .offset:         40
        .size:           8
        .value_kind:     global_buffer
      - .actual_access:  read_only
        .address_space:  global
        .offset:         48
        .size:           8
        .value_kind:     global_buffer
      - .actual_access:  read_only
        .address_space:  global
        .offset:         56
        .size:           8
        .value_kind:     global_buffer
      - .actual_access:  read_only
        .address_space:  global
        .offset:         64
        .size:           8
        .value_kind:     global_buffer
      - .actual_access:  read_only
        .address_space:  global
        .offset:         72
        .size:           8
        .value_kind:     global_buffer
      - .offset:         80
        .size:           8
        .value_kind:     by_value
      - .actual_access:  read_only
        .address_space:  global
        .offset:         88
        .size:           8
        .value_kind:     global_buffer
      - .actual_access:  read_only
        .address_space:  global
        .offset:         96
        .size:           8
        .value_kind:     global_buffer
      - .actual_access:  read_only
        .address_space:  global
        .offset:         104
        .size:           8
        .value_kind:     global_buffer
      - .actual_access:  read_only
        .address_space:  global
        .offset:         112
        .size:           8
        .value_kind:     global_buffer
      - .actual_access:  write_only
        .address_space:  global
        .offset:         120
        .size:           8
        .value_kind:     global_buffer
      - .actual_access:  write_only
        .address_space:  global
        .offset:         128
        .size:           8
        .value_kind:     global_buffer
      - .offset:         136
        .size:           4
        .value_kind:     by_value
      - .offset:         140
        .size:           4
        .value_kind:     by_value
      - .offset:         144
        .size:           4
        .value_kind:     by_value
      - .offset:         148
        .size:           4
        .value_kind:     by_value
      - .offset:         152
        .size:           1
        .value_kind:     by_value
      - .offset:         153
        .size:           1
        .value_kind:     by_value
      - .offset:         154
        .size:           1
        .value_kind:     by_value
    .group_segment_fixed_size: 0
    .kernarg_segment_align: 8
    .kernarg_segment_size: 156
    .language:       OpenCL C
    .language_version:
      - 2
      - 0
    .max_flat_workgroup_size: 1024
    .name:           _ZN9rocsparseL26csrgemm_fill_block_per_rowILj1024ELj64ELj16384ELj137ELj32EllfEEvT5_PKS1_S3_NS_24const_host_device_scalarIT6_EEPKT4_S3_PKS5_S9_S3_SB_S6_S9_S3_SB_S9_PS1_PS5_21rocsparse_index_base_SE_SE_SE_bbb
    .private_segment_fixed_size: 0
    .sgpr_count:     80
    .sgpr_spill_count: 0
    .symbol:         _ZN9rocsparseL26csrgemm_fill_block_per_rowILj1024ELj64ELj16384ELj137ELj32EllfEEvT5_PKS1_S3_NS_24const_host_device_scalarIT6_EEPKT4_S3_PKS5_S9_S3_SB_S6_S9_S3_SB_S9_PS1_PS5_21rocsparse_index_base_SE_SE_SE_bbb.kd
    .uniform_work_group_size: 1
    .uses_dynamic_stack: false
    .vgpr_count:     23
    .vgpr_spill_count: 0
    .wavefront_size: 32
    .workgroup_processor_mode: 1
  - .args:
      - .offset:         0
        .size:           8
        .value_kind:     by_value
      - .actual_access:  read_only
        .address_space:  global
        .offset:         8
        .size:           8
        .value_kind:     global_buffer
      - .actual_access:  read_only
        .address_space:  global
        .offset:         16
        .size:           8
        .value_kind:     global_buffer
      - .offset:         24
        .size:           8
        .value_kind:     by_value
      - .actual_access:  read_only
        .address_space:  global
        .offset:         32
        .size:           8
        .value_kind:     global_buffer
      - .actual_access:  read_only
        .address_space:  global
        .offset:         40
        .size:           8
        .value_kind:     global_buffer
      - .actual_access:  read_only
        .address_space:  global
        .offset:         48
        .size:           8
        .value_kind:     global_buffer
      - .actual_access:  read_only
        .address_space:  global
        .offset:         56
        .size:           8
        .value_kind:     global_buffer
      - .actual_access:  read_only
        .address_space:  global
        .offset:         64
        .size:           8
        .value_kind:     global_buffer
      - .actual_access:  read_only
        .address_space:  global
        .offset:         72
        .size:           8
        .value_kind:     global_buffer
      - .offset:         80
        .size:           8
        .value_kind:     by_value
      - .actual_access:  read_only
        .address_space:  global
        .offset:         88
        .size:           8
        .value_kind:     global_buffer
      - .actual_access:  read_only
        .address_space:  global
        .offset:         96
        .size:           8
        .value_kind:     global_buffer
      - .actual_access:  read_only
        .address_space:  global
        .offset:         104
        .size:           8
        .value_kind:     global_buffer
      - .actual_access:  read_only
        .address_space:  global
        .offset:         112
        .size:           8
        .value_kind:     global_buffer
      - .actual_access:  write_only
        .address_space:  global
        .offset:         120
        .size:           8
        .value_kind:     global_buffer
      - .actual_access:  write_only
        .address_space:  global
        .offset:         128
        .size:           8
        .value_kind:     global_buffer
      - .offset:         136
        .size:           4
        .value_kind:     by_value
      - .offset:         140
        .size:           4
        .value_kind:     by_value
      - .offset:         144
        .size:           4
        .value_kind:     by_value
      - .offset:         148
        .size:           4
        .value_kind:     by_value
      - .offset:         152
        .size:           1
        .value_kind:     by_value
      - .offset:         153
        .size:           1
        .value_kind:     by_value
      - .offset:         154
        .size:           1
        .value_kind:     by_value
    .group_segment_fixed_size: 0
    .kernarg_segment_align: 8
    .kernarg_segment_size: 156
    .language:       OpenCL C
    .language_version:
      - 2
      - 0
    .max_flat_workgroup_size: 1024
    .name:           _ZN9rocsparseL26csrgemm_fill_block_per_rowILj1024ELj64ELj16384ELj137ELj64EllfEEvT5_PKS1_S3_NS_24const_host_device_scalarIT6_EEPKT4_S3_PKS5_S9_S3_SB_S6_S9_S3_SB_S9_PS1_PS5_21rocsparse_index_base_SE_SE_SE_bbb
    .private_segment_fixed_size: 0
    .sgpr_count:     48
    .sgpr_spill_count: 0
    .symbol:         _ZN9rocsparseL26csrgemm_fill_block_per_rowILj1024ELj64ELj16384ELj137ELj64EllfEEvT5_PKS1_S3_NS_24const_host_device_scalarIT6_EEPKT4_S3_PKS5_S9_S3_SB_S6_S9_S3_SB_S9_PS1_PS5_21rocsparse_index_base_SE_SE_SE_bbb.kd
    .uniform_work_group_size: 1
    .uses_dynamic_stack: false
    .vgpr_count:     23
    .vgpr_spill_count: 0
    .wavefront_size: 32
    .workgroup_processor_mode: 1
  - .args:
      - .offset:         0
        .size:           8
        .value_kind:     by_value
      - .actual_access:  read_only
        .address_space:  global
        .offset:         8
        .size:           8
        .value_kind:     global_buffer
      - .actual_access:  read_only
        .address_space:  global
        .offset:         16
        .size:           8
        .value_kind:     global_buffer
      - .offset:         24
        .size:           8
        .value_kind:     by_value
      - .actual_access:  read_only
        .address_space:  global
        .offset:         32
        .size:           8
        .value_kind:     global_buffer
      - .actual_access:  read_only
        .address_space:  global
        .offset:         40
        .size:           8
        .value_kind:     global_buffer
      - .actual_access:  read_only
        .address_space:  global
        .offset:         48
        .size:           8
        .value_kind:     global_buffer
      - .actual_access:  read_only
        .address_space:  global
        .offset:         56
        .size:           8
        .value_kind:     global_buffer
      - .actual_access:  read_only
        .address_space:  global
        .offset:         64
        .size:           8
        .value_kind:     global_buffer
      - .actual_access:  read_only
        .address_space:  global
        .offset:         72
        .size:           8
        .value_kind:     global_buffer
      - .offset:         80
        .size:           8
        .value_kind:     by_value
      - .actual_access:  read_only
        .address_space:  global
        .offset:         88
        .size:           8
        .value_kind:     global_buffer
      - .actual_access:  read_only
        .address_space:  global
        .offset:         96
        .size:           8
        .value_kind:     global_buffer
      - .actual_access:  read_only
        .address_space:  global
        .offset:         104
        .size:           8
        .value_kind:     global_buffer
      - .actual_access:  read_only
        .address_space:  global
        .offset:         112
        .size:           8
        .value_kind:     global_buffer
      - .actual_access:  write_only
        .address_space:  global
        .offset:         120
        .size:           8
        .value_kind:     global_buffer
      - .actual_access:  write_only
        .address_space:  global
        .offset:         128
        .size:           8
        .value_kind:     global_buffer
      - .offset:         136
        .size:           4
        .value_kind:     by_value
      - .offset:         140
        .size:           4
        .value_kind:     by_value
      - .offset:         144
        .size:           4
        .value_kind:     by_value
      - .offset:         148
        .size:           4
        .value_kind:     by_value
      - .offset:         152
        .size:           1
        .value_kind:     by_value
      - .offset:         153
        .size:           1
        .value_kind:     by_value
      - .offset:         154
        .size:           1
        .value_kind:     by_value
    .group_segment_fixed_size: 0
    .kernarg_segment_align: 8
    .kernarg_segment_size: 156
    .language:       OpenCL C
    .language_version:
      - 2
      - 0
    .max_flat_workgroup_size: 1024
    .name:           _ZN9rocsparseL26csrgemm_fill_block_per_rowILj1024ELj64ELj32768ELj137ELj32EllfEEvT5_PKS1_S3_NS_24const_host_device_scalarIT6_EEPKT4_S3_PKS5_S9_S3_SB_S6_S9_S3_SB_S9_PS1_PS5_21rocsparse_index_base_SE_SE_SE_bbb
    .private_segment_fixed_size: 0
    .sgpr_count:     80
    .sgpr_spill_count: 0
    .symbol:         _ZN9rocsparseL26csrgemm_fill_block_per_rowILj1024ELj64ELj32768ELj137ELj32EllfEEvT5_PKS1_S3_NS_24const_host_device_scalarIT6_EEPKT4_S3_PKS5_S9_S3_SB_S6_S9_S3_SB_S9_PS1_PS5_21rocsparse_index_base_SE_SE_SE_bbb.kd
    .uniform_work_group_size: 1
    .uses_dynamic_stack: false
    .vgpr_count:     23
    .vgpr_spill_count: 0
    .wavefront_size: 32
    .workgroup_processor_mode: 1
  - .args:
      - .offset:         0
        .size:           8
        .value_kind:     by_value
      - .actual_access:  read_only
        .address_space:  global
        .offset:         8
        .size:           8
        .value_kind:     global_buffer
      - .actual_access:  read_only
        .address_space:  global
        .offset:         16
        .size:           8
        .value_kind:     global_buffer
      - .offset:         24
        .size:           8
        .value_kind:     by_value
      - .actual_access:  read_only
        .address_space:  global
        .offset:         32
        .size:           8
        .value_kind:     global_buffer
      - .actual_access:  read_only
        .address_space:  global
        .offset:         40
        .size:           8
        .value_kind:     global_buffer
      - .actual_access:  read_only
        .address_space:  global
        .offset:         48
        .size:           8
        .value_kind:     global_buffer
      - .actual_access:  read_only
        .address_space:  global
        .offset:         56
        .size:           8
        .value_kind:     global_buffer
      - .actual_access:  read_only
        .address_space:  global
        .offset:         64
        .size:           8
        .value_kind:     global_buffer
      - .actual_access:  read_only
        .address_space:  global
        .offset:         72
        .size:           8
        .value_kind:     global_buffer
      - .offset:         80
        .size:           8
        .value_kind:     by_value
      - .actual_access:  read_only
        .address_space:  global
        .offset:         88
        .size:           8
        .value_kind:     global_buffer
      - .actual_access:  read_only
        .address_space:  global
        .offset:         96
        .size:           8
        .value_kind:     global_buffer
      - .actual_access:  read_only
        .address_space:  global
        .offset:         104
        .size:           8
        .value_kind:     global_buffer
      - .actual_access:  read_only
        .address_space:  global
        .offset:         112
        .size:           8
        .value_kind:     global_buffer
      - .actual_access:  write_only
        .address_space:  global
        .offset:         120
        .size:           8
        .value_kind:     global_buffer
      - .actual_access:  write_only
        .address_space:  global
        .offset:         128
        .size:           8
        .value_kind:     global_buffer
      - .offset:         136
        .size:           4
        .value_kind:     by_value
      - .offset:         140
        .size:           4
        .value_kind:     by_value
      - .offset:         144
        .size:           4
        .value_kind:     by_value
      - .offset:         148
        .size:           4
        .value_kind:     by_value
      - .offset:         152
        .size:           1
        .value_kind:     by_value
      - .offset:         153
        .size:           1
        .value_kind:     by_value
      - .offset:         154
        .size:           1
        .value_kind:     by_value
    .group_segment_fixed_size: 0
    .kernarg_segment_align: 8
    .kernarg_segment_size: 156
    .language:       OpenCL C
    .language_version:
      - 2
      - 0
    .max_flat_workgroup_size: 1024
    .name:           _ZN9rocsparseL26csrgemm_fill_block_per_rowILj1024ELj64ELj32768ELj137ELj64EllfEEvT5_PKS1_S3_NS_24const_host_device_scalarIT6_EEPKT4_S3_PKS5_S9_S3_SB_S6_S9_S3_SB_S9_PS1_PS5_21rocsparse_index_base_SE_SE_SE_bbb
    .private_segment_fixed_size: 0
    .sgpr_count:     48
    .sgpr_spill_count: 0
    .symbol:         _ZN9rocsparseL26csrgemm_fill_block_per_rowILj1024ELj64ELj32768ELj137ELj64EllfEEvT5_PKS1_S3_NS_24const_host_device_scalarIT6_EEPKT4_S3_PKS5_S9_S3_SB_S6_S9_S3_SB_S9_PS1_PS5_21rocsparse_index_base_SE_SE_SE_bbb.kd
    .uniform_work_group_size: 1
    .uses_dynamic_stack: false
    .vgpr_count:     23
    .vgpr_spill_count: 0
    .wavefront_size: 32
    .workgroup_processor_mode: 1
  - .args:
      - .offset:         0
        .size:           8
        .value_kind:     by_value
      - .actual_access:  read_only
        .address_space:  global
        .offset:         8
        .size:           8
        .value_kind:     global_buffer
      - .actual_access:  read_only
        .address_space:  global
        .offset:         16
        .size:           8
        .value_kind:     global_buffer
      - .offset:         24
        .size:           8
        .value_kind:     by_value
      - .actual_access:  read_only
        .address_space:  global
        .offset:         32
        .size:           8
        .value_kind:     global_buffer
      - .actual_access:  read_only
        .address_space:  global
        .offset:         40
        .size:           8
        .value_kind:     global_buffer
      - .actual_access:  read_only
        .address_space:  global
        .offset:         48
        .size:           8
        .value_kind:     global_buffer
      - .actual_access:  read_only
        .address_space:  global
        .offset:         56
        .size:           8
        .value_kind:     global_buffer
      - .actual_access:  read_only
        .address_space:  global
        .offset:         64
        .size:           8
        .value_kind:     global_buffer
      - .actual_access:  read_only
        .address_space:  global
        .offset:         72
        .size:           8
        .value_kind:     global_buffer
      - .offset:         80
        .size:           8
        .value_kind:     by_value
      - .actual_access:  read_only
        .address_space:  global
        .offset:         88
        .size:           8
        .value_kind:     global_buffer
      - .actual_access:  read_only
        .address_space:  global
        .offset:         96
        .size:           8
        .value_kind:     global_buffer
      - .actual_access:  read_only
        .address_space:  global
        .offset:         104
        .size:           8
        .value_kind:     global_buffer
      - .actual_access:  read_only
        .address_space:  global
        .offset:         112
        .size:           8
        .value_kind:     global_buffer
      - .actual_access:  write_only
        .address_space:  global
        .offset:         120
        .size:           8
        .value_kind:     global_buffer
      - .actual_access:  write_only
        .address_space:  global
        .offset:         128
        .size:           8
        .value_kind:     global_buffer
      - .address_space:  global
        .offset:         136
        .size:           8
        .value_kind:     global_buffer
      - .offset:         144
        .size:           4
        .value_kind:     by_value
      - .offset:         148
        .size:           4
        .value_kind:     by_value
      - .offset:         152
        .size:           4
        .value_kind:     by_value
      - .offset:         156
        .size:           4
        .value_kind:     by_value
      - .offset:         160
        .size:           1
        .value_kind:     by_value
      - .offset:         161
        .size:           1
        .value_kind:     by_value
      - .offset:         162
        .size:           1
        .value_kind:     by_value
    .group_segment_fixed_size: 10248
    .kernarg_segment_align: 8
    .kernarg_segment_size: 164
    .language:       OpenCL C
    .language_version:
      - 2
      - 0
    .max_flat_workgroup_size: 512
    .name:           _ZN9rocsparseL36csrgemm_fill_block_per_row_multipassILj512ELj16ELj2048ELj32EllfEEvT4_PKS1_S3_NS_24const_host_device_scalarIT5_EEPKT3_S3_PKS5_S9_S3_SB_S6_S9_S3_SB_S9_PS1_PS5_PS7_21rocsparse_index_base_SF_SF_SF_bbb
    .private_segment_fixed_size: 0
    .sgpr_count:     66
    .sgpr_spill_count: 0
    .symbol:         _ZN9rocsparseL36csrgemm_fill_block_per_row_multipassILj512ELj16ELj2048ELj32EllfEEvT4_PKS1_S3_NS_24const_host_device_scalarIT5_EEPKT3_S3_PKS5_S9_S3_SB_S6_S9_S3_SB_S9_PS1_PS5_PS7_21rocsparse_index_base_SF_SF_SF_bbb.kd
    .uniform_work_group_size: 1
    .uses_dynamic_stack: false
    .vgpr_count:     48
    .vgpr_spill_count: 0
    .wavefront_size: 32
    .workgroup_processor_mode: 1
  - .args:
      - .offset:         0
        .size:           8
        .value_kind:     by_value
      - .actual_access:  read_only
        .address_space:  global
        .offset:         8
        .size:           8
        .value_kind:     global_buffer
      - .actual_access:  read_only
        .address_space:  global
        .offset:         16
        .size:           8
        .value_kind:     global_buffer
      - .offset:         24
        .size:           8
        .value_kind:     by_value
      - .actual_access:  read_only
        .address_space:  global
        .offset:         32
        .size:           8
        .value_kind:     global_buffer
      - .actual_access:  read_only
        .address_space:  global
        .offset:         40
        .size:           8
        .value_kind:     global_buffer
      - .actual_access:  read_only
        .address_space:  global
        .offset:         48
        .size:           8
        .value_kind:     global_buffer
      - .actual_access:  read_only
        .address_space:  global
        .offset:         56
        .size:           8
        .value_kind:     global_buffer
      - .actual_access:  read_only
        .address_space:  global
        .offset:         64
        .size:           8
        .value_kind:     global_buffer
      - .actual_access:  read_only
        .address_space:  global
        .offset:         72
        .size:           8
        .value_kind:     global_buffer
      - .offset:         80
        .size:           8
        .value_kind:     by_value
      - .actual_access:  read_only
        .address_space:  global
        .offset:         88
        .size:           8
        .value_kind:     global_buffer
      - .actual_access:  read_only
        .address_space:  global
        .offset:         96
        .size:           8
        .value_kind:     global_buffer
      - .actual_access:  read_only
        .address_space:  global
        .offset:         104
        .size:           8
        .value_kind:     global_buffer
      - .actual_access:  read_only
        .address_space:  global
        .offset:         112
        .size:           8
        .value_kind:     global_buffer
      - .actual_access:  write_only
        .address_space:  global
        .offset:         120
        .size:           8
        .value_kind:     global_buffer
      - .actual_access:  write_only
        .address_space:  global
        .offset:         128
        .size:           8
        .value_kind:     global_buffer
      - .address_space:  global
        .offset:         136
        .size:           8
        .value_kind:     global_buffer
      - .offset:         144
        .size:           4
        .value_kind:     by_value
      - .offset:         148
        .size:           4
        .value_kind:     by_value
      - .offset:         152
        .size:           4
        .value_kind:     by_value
      - .offset:         156
        .size:           4
        .value_kind:     by_value
      - .offset:         160
        .size:           1
        .value_kind:     by_value
      - .offset:         161
        .size:           1
        .value_kind:     by_value
      - .offset:         162
        .size:           1
        .value_kind:     by_value
    .group_segment_fixed_size: 10248
    .kernarg_segment_align: 8
    .kernarg_segment_size: 164
    .language:       OpenCL C
    .language_version:
      - 2
      - 0
    .max_flat_workgroup_size: 512
    .name:           _ZN9rocsparseL36csrgemm_fill_block_per_row_multipassILj512ELj16ELj2048ELj64EllfEEvT4_PKS1_S3_NS_24const_host_device_scalarIT5_EEPKT3_S3_PKS5_S9_S3_SB_S6_S9_S3_SB_S9_PS1_PS5_PS7_21rocsparse_index_base_SF_SF_SF_bbb
    .private_segment_fixed_size: 0
    .sgpr_count:     58
    .sgpr_spill_count: 0
    .symbol:         _ZN9rocsparseL36csrgemm_fill_block_per_row_multipassILj512ELj16ELj2048ELj64EllfEEvT4_PKS1_S3_NS_24const_host_device_scalarIT5_EEPKT3_S3_PKS5_S9_S3_SB_S6_S9_S3_SB_S9_PS1_PS5_PS7_21rocsparse_index_base_SF_SF_SF_bbb.kd
    .uniform_work_group_size: 1
    .uses_dynamic_stack: false
    .vgpr_count:     48
    .vgpr_spill_count: 0
    .wavefront_size: 32
    .workgroup_processor_mode: 1
  - .args:
      - .offset:         0
        .size:           8
        .value_kind:     by_value
      - .actual_access:  read_only
        .address_space:  global
        .offset:         8
        .size:           8
        .value_kind:     global_buffer
      - .actual_access:  write_only
        .address_space:  global
        .offset:         16
        .size:           8
        .value_kind:     global_buffer
      - .actual_access:  write_only
        .address_space:  global
        .offset:         24
        .size:           8
        .value_kind:     global_buffer
      - .offset:         32
        .size:           4
        .value_kind:     by_value
      - .offset:         40
        .size:           4
        .value_kind:     hidden_block_count_x
      - .offset:         44
        .size:           4
        .value_kind:     hidden_block_count_y
      - .offset:         48
        .size:           4
        .value_kind:     hidden_block_count_z
      - .offset:         52
        .size:           2
        .value_kind:     hidden_group_size_x
      - .offset:         54
        .size:           2
        .value_kind:     hidden_group_size_y
      - .offset:         56
        .size:           2
        .value_kind:     hidden_group_size_z
      - .offset:         58
        .size:           2
        .value_kind:     hidden_remainder_x
      - .offset:         60
        .size:           2
        .value_kind:     hidden_remainder_y
      - .offset:         62
        .size:           2
        .value_kind:     hidden_remainder_z
      - .offset:         80
        .size:           8
        .value_kind:     hidden_global_offset_x
      - .offset:         88
        .size:           8
        .value_kind:     hidden_global_offset_y
      - .offset:         96
        .size:           8
        .value_kind:     hidden_global_offset_z
      - .offset:         104
        .size:           2
        .value_kind:     hidden_grid_dims
    .group_segment_fixed_size: 22528
    .kernarg_segment_align: 8
    .kernarg_segment_size: 296
    .language:       OpenCL C
    .language_version:
      - 2
      - 0
    .max_flat_workgroup_size: 256
    .name:           _ZN9rocsparseL26csrgemm_group_reduce_part2ILj256ELj11EdllEEvT3_PKT2_PS1_Pij
    .private_segment_fixed_size: 0
    .sgpr_count:     29
    .sgpr_spill_count: 0
    .symbol:         _ZN9rocsparseL26csrgemm_group_reduce_part2ILj256ELj11EdllEEvT3_PKT2_PS1_Pij.kd
    .uniform_work_group_size: 1
    .uses_dynamic_stack: false
    .vgpr_count:     43
    .vgpr_spill_count: 0
    .wavefront_size: 32
    .workgroup_processor_mode: 1
  - .args:
      - .offset:         0
        .size:           8
        .value_kind:     by_value
      - .offset:         8
        .size:           8
        .value_kind:     by_value
      - .actual_access:  read_only
        .address_space:  global
        .offset:         16
        .size:           8
        .value_kind:     global_buffer
      - .actual_access:  read_only
        .address_space:  global
        .offset:         24
        .size:           8
        .value_kind:     global_buffer
      - .offset:         32
        .size:           8
        .value_kind:     by_value
      - .actual_access:  read_only
        .address_space:  global
        .offset:         40
        .size:           8
        .value_kind:     global_buffer
      - .actual_access:  read_only
        .address_space:  global
        .offset:         48
        .size:           8
        .value_kind:     global_buffer
      - .actual_access:  read_only
        .address_space:  global
        .offset:         56
        .size:           8
        .value_kind:     global_buffer
      - .actual_access:  read_only
        .address_space:  global
        .offset:         64
        .size:           8
        .value_kind:     global_buffer
      - .actual_access:  read_only
        .address_space:  global
        .offset:         72
        .size:           8
        .value_kind:     global_buffer
      - .actual_access:  read_only
        .address_space:  global
        .offset:         80
        .size:           8
        .value_kind:     global_buffer
      - .offset:         88
        .size:           8
        .value_kind:     by_value
      - .actual_access:  read_only
        .address_space:  global
        .offset:         96
        .size:           8
        .value_kind:     global_buffer
      - .actual_access:  read_only
        .address_space:  global
        .offset:         104
        .size:           8
        .value_kind:     global_buffer
      - .actual_access:  read_only
        .address_space:  global
        .offset:         112
        .size:           8
        .value_kind:     global_buffer
      - .actual_access:  read_only
        .address_space:  global
        .offset:         120
        .size:           8
        .value_kind:     global_buffer
      - .actual_access:  write_only
        .address_space:  global
        .offset:         128
        .size:           8
        .value_kind:     global_buffer
      - .actual_access:  write_only
        .address_space:  global
        .offset:         136
        .size:           8
        .value_kind:     global_buffer
      - .offset:         144
        .size:           4
        .value_kind:     by_value
      - .offset:         148
        .size:           4
        .value_kind:     by_value
      - .offset:         152
        .size:           4
        .value_kind:     by_value
      - .offset:         156
        .size:           4
        .value_kind:     by_value
      - .offset:         160
        .size:           1
        .value_kind:     by_value
      - .offset:         161
        .size:           1
        .value_kind:     by_value
      - .offset:         162
        .size:           1
        .value_kind:     by_value
    .group_segment_fixed_size: 8192
    .kernarg_segment_align: 8
    .kernarg_segment_size: 164
    .language:       OpenCL C
    .language_version:
      - 2
      - 0
    .max_flat_workgroup_size: 256
    .name:           _ZN9rocsparseL23csrgemm_fill_wf_per_rowILj256ELj8ELj16ELj137ElldEEvT4_S1_PKS1_S3_NS_24const_host_device_scalarIT5_EEPKT3_S3_PKS5_S9_S3_SB_S6_S9_S3_SB_S9_PS1_PS5_21rocsparse_index_base_SE_SE_SE_bbb
    .private_segment_fixed_size: 0
    .sgpr_count:     46
    .sgpr_spill_count: 0
    .symbol:         _ZN9rocsparseL23csrgemm_fill_wf_per_rowILj256ELj8ELj16ELj137ElldEEvT4_S1_PKS1_S3_NS_24const_host_device_scalarIT5_EEPKT3_S3_PKS5_S9_S3_SB_S6_S9_S3_SB_S9_PS1_PS5_21rocsparse_index_base_SE_SE_SE_bbb.kd
    .uniform_work_group_size: 1
    .uses_dynamic_stack: false
    .vgpr_count:     41
    .vgpr_spill_count: 0
    .wavefront_size: 32
    .workgroup_processor_mode: 1
  - .args:
      - .offset:         0
        .size:           8
        .value_kind:     by_value
      - .offset:         8
        .size:           8
        .value_kind:     by_value
      - .actual_access:  read_only
        .address_space:  global
        .offset:         16
        .size:           8
        .value_kind:     global_buffer
      - .actual_access:  read_only
        .address_space:  global
        .offset:         24
        .size:           8
        .value_kind:     global_buffer
      - .offset:         32
        .size:           8
        .value_kind:     by_value
      - .actual_access:  read_only
        .address_space:  global
        .offset:         40
        .size:           8
        .value_kind:     global_buffer
      - .actual_access:  read_only
        .address_space:  global
        .offset:         48
        .size:           8
        .value_kind:     global_buffer
      - .actual_access:  read_only
        .address_space:  global
        .offset:         56
        .size:           8
        .value_kind:     global_buffer
      - .actual_access:  read_only
        .address_space:  global
        .offset:         64
        .size:           8
        .value_kind:     global_buffer
      - .actual_access:  read_only
        .address_space:  global
        .offset:         72
        .size:           8
        .value_kind:     global_buffer
      - .actual_access:  read_only
        .address_space:  global
        .offset:         80
        .size:           8
        .value_kind:     global_buffer
      - .offset:         88
        .size:           8
        .value_kind:     by_value
      - .actual_access:  read_only
        .address_space:  global
        .offset:         96
        .size:           8
        .value_kind:     global_buffer
      - .actual_access:  read_only
        .address_space:  global
        .offset:         104
        .size:           8
        .value_kind:     global_buffer
      - .actual_access:  read_only
        .address_space:  global
        .offset:         112
        .size:           8
        .value_kind:     global_buffer
      - .actual_access:  read_only
        .address_space:  global
        .offset:         120
        .size:           8
        .value_kind:     global_buffer
      - .actual_access:  write_only
        .address_space:  global
        .offset:         128
        .size:           8
        .value_kind:     global_buffer
      - .actual_access:  write_only
        .address_space:  global
        .offset:         136
        .size:           8
        .value_kind:     global_buffer
      - .offset:         144
        .size:           4
        .value_kind:     by_value
      - .offset:         148
        .size:           4
        .value_kind:     by_value
      - .offset:         152
        .size:           4
        .value_kind:     by_value
      - .offset:         156
        .size:           4
        .value_kind:     by_value
      - .offset:         160
        .size:           1
        .value_kind:     by_value
      - .offset:         161
        .size:           1
        .value_kind:     by_value
      - .offset:         162
        .size:           1
        .value_kind:     by_value
    .group_segment_fixed_size: 8192
    .kernarg_segment_align: 8
    .kernarg_segment_size: 164
    .language:       OpenCL C
    .language_version:
      - 2
      - 0
    .max_flat_workgroup_size: 256
    .name:           _ZN9rocsparseL23csrgemm_fill_wf_per_rowILj256ELj16ELj32ELj137ElldEEvT4_S1_PKS1_S3_NS_24const_host_device_scalarIT5_EEPKT3_S3_PKS5_S9_S3_SB_S6_S9_S3_SB_S9_PS1_PS5_21rocsparse_index_base_SE_SE_SE_bbb
    .private_segment_fixed_size: 0
    .sgpr_count:     46
    .sgpr_spill_count: 0
    .symbol:         _ZN9rocsparseL23csrgemm_fill_wf_per_rowILj256ELj16ELj32ELj137ElldEEvT4_S1_PKS1_S3_NS_24const_host_device_scalarIT5_EEPKT3_S3_PKS5_S9_S3_SB_S6_S9_S3_SB_S9_PS1_PS5_21rocsparse_index_base_SE_SE_SE_bbb.kd
    .uniform_work_group_size: 1
    .uses_dynamic_stack: false
    .vgpr_count:     41
    .vgpr_spill_count: 0
    .wavefront_size: 32
    .workgroup_processor_mode: 1
  - .args:
      - .offset:         0
        .size:           8
        .value_kind:     by_value
      - .actual_access:  read_only
        .address_space:  global
        .offset:         8
        .size:           8
        .value_kind:     global_buffer
      - .actual_access:  read_only
        .address_space:  global
        .offset:         16
        .size:           8
        .value_kind:     global_buffer
      - .offset:         24
        .size:           8
        .value_kind:     by_value
      - .actual_access:  read_only
        .address_space:  global
        .offset:         32
        .size:           8
        .value_kind:     global_buffer
      - .actual_access:  read_only
        .address_space:  global
        .offset:         40
        .size:           8
        .value_kind:     global_buffer
      - .actual_access:  read_only
        .address_space:  global
        .offset:         48
        .size:           8
        .value_kind:     global_buffer
      - .actual_access:  read_only
        .address_space:  global
        .offset:         56
        .size:           8
        .value_kind:     global_buffer
      - .actual_access:  read_only
        .address_space:  global
        .offset:         64
        .size:           8
        .value_kind:     global_buffer
      - .actual_access:  read_only
        .address_space:  global
        .offset:         72
        .size:           8
        .value_kind:     global_buffer
      - .offset:         80
        .size:           8
        .value_kind:     by_value
      - .actual_access:  read_only
        .address_space:  global
        .offset:         88
        .size:           8
        .value_kind:     global_buffer
      - .actual_access:  read_only
        .address_space:  global
        .offset:         96
        .size:           8
        .value_kind:     global_buffer
      - .actual_access:  read_only
        .address_space:  global
        .offset:         104
        .size:           8
        .value_kind:     global_buffer
      - .actual_access:  read_only
        .address_space:  global
        .offset:         112
        .size:           8
        .value_kind:     global_buffer
      - .actual_access:  write_only
        .address_space:  global
        .offset:         120
        .size:           8
        .value_kind:     global_buffer
      - .actual_access:  write_only
        .address_space:  global
        .offset:         128
        .size:           8
        .value_kind:     global_buffer
      - .offset:         136
        .size:           4
        .value_kind:     by_value
      - .offset:         140
        .size:           4
        .value_kind:     by_value
      - .offset:         144
        .size:           4
        .value_kind:     by_value
      - .offset:         148
        .size:           4
        .value_kind:     by_value
      - .offset:         152
        .size:           1
        .value_kind:     by_value
      - .offset:         153
        .size:           1
        .value_kind:     by_value
      - .offset:         154
        .size:           1
        .value_kind:     by_value
    .group_segment_fixed_size: 0
    .kernarg_segment_align: 8
    .kernarg_segment_size: 156
    .language:       OpenCL C
    .language_version:
      - 2
      - 0
    .max_flat_workgroup_size: 128
    .name:           _ZN9rocsparseL26csrgemm_fill_block_per_rowILj128ELj16ELj256ELj137ELj32ElldEEvT5_PKS1_S3_NS_24const_host_device_scalarIT6_EEPKT4_S3_PKS5_S9_S3_SB_S6_S9_S3_SB_S9_PS1_PS5_21rocsparse_index_base_SE_SE_SE_bbb
    .private_segment_fixed_size: 0
    .sgpr_count:     47
    .sgpr_spill_count: 0
    .symbol:         _ZN9rocsparseL26csrgemm_fill_block_per_rowILj128ELj16ELj256ELj137ELj32ElldEEvT5_PKS1_S3_NS_24const_host_device_scalarIT6_EEPKT4_S3_PKS5_S9_S3_SB_S6_S9_S3_SB_S9_PS1_PS5_21rocsparse_index_base_SE_SE_SE_bbb.kd
    .uniform_work_group_size: 1
    .uses_dynamic_stack: false
    .vgpr_count:     27
    .vgpr_spill_count: 0
    .wavefront_size: 32
    .workgroup_processor_mode: 1
  - .args:
      - .offset:         0
        .size:           8
        .value_kind:     by_value
      - .actual_access:  read_only
        .address_space:  global
        .offset:         8
        .size:           8
        .value_kind:     global_buffer
      - .actual_access:  read_only
        .address_space:  global
        .offset:         16
        .size:           8
        .value_kind:     global_buffer
      - .offset:         24
        .size:           8
        .value_kind:     by_value
      - .actual_access:  read_only
        .address_space:  global
        .offset:         32
        .size:           8
        .value_kind:     global_buffer
      - .actual_access:  read_only
        .address_space:  global
        .offset:         40
        .size:           8
        .value_kind:     global_buffer
      - .actual_access:  read_only
        .address_space:  global
        .offset:         48
        .size:           8
        .value_kind:     global_buffer
      - .actual_access:  read_only
        .address_space:  global
        .offset:         56
        .size:           8
        .value_kind:     global_buffer
      - .actual_access:  read_only
        .address_space:  global
        .offset:         64
        .size:           8
        .value_kind:     global_buffer
      - .actual_access:  read_only
        .address_space:  global
        .offset:         72
        .size:           8
        .value_kind:     global_buffer
      - .offset:         80
        .size:           8
        .value_kind:     by_value
      - .actual_access:  read_only
        .address_space:  global
        .offset:         88
        .size:           8
        .value_kind:     global_buffer
      - .actual_access:  read_only
        .address_space:  global
        .offset:         96
        .size:           8
        .value_kind:     global_buffer
      - .actual_access:  read_only
        .address_space:  global
        .offset:         104
        .size:           8
        .value_kind:     global_buffer
      - .actual_access:  read_only
        .address_space:  global
        .offset:         112
        .size:           8
        .value_kind:     global_buffer
      - .actual_access:  write_only
        .address_space:  global
        .offset:         120
        .size:           8
        .value_kind:     global_buffer
      - .actual_access:  write_only
        .address_space:  global
        .offset:         128
        .size:           8
        .value_kind:     global_buffer
      - .offset:         136
        .size:           4
        .value_kind:     by_value
      - .offset:         140
        .size:           4
        .value_kind:     by_value
      - .offset:         144
        .size:           4
        .value_kind:     by_value
      - .offset:         148
        .size:           4
        .value_kind:     by_value
      - .offset:         152
        .size:           1
        .value_kind:     by_value
      - .offset:         153
        .size:           1
        .value_kind:     by_value
      - .offset:         154
        .size:           1
        .value_kind:     by_value
    .group_segment_fixed_size: 0
    .kernarg_segment_align: 8
    .kernarg_segment_size: 156
    .language:       OpenCL C
    .language_version:
      - 2
      - 0
    .max_flat_workgroup_size: 128
    .name:           _ZN9rocsparseL26csrgemm_fill_block_per_rowILj128ELj16ELj256ELj137ELj64ElldEEvT5_PKS1_S3_NS_24const_host_device_scalarIT6_EEPKT4_S3_PKS5_S9_S3_SB_S6_S9_S3_SB_S9_PS1_PS5_21rocsparse_index_base_SE_SE_SE_bbb
    .private_segment_fixed_size: 0
    .sgpr_count:     47
    .sgpr_spill_count: 0
    .symbol:         _ZN9rocsparseL26csrgemm_fill_block_per_rowILj128ELj16ELj256ELj137ELj64ElldEEvT5_PKS1_S3_NS_24const_host_device_scalarIT6_EEPKT4_S3_PKS5_S9_S3_SB_S6_S9_S3_SB_S9_PS1_PS5_21rocsparse_index_base_SE_SE_SE_bbb.kd
    .uniform_work_group_size: 1
    .uses_dynamic_stack: false
    .vgpr_count:     27
    .vgpr_spill_count: 0
    .wavefront_size: 32
    .workgroup_processor_mode: 1
  - .args:
      - .offset:         0
        .size:           8
        .value_kind:     by_value
      - .actual_access:  read_only
        .address_space:  global
        .offset:         8
        .size:           8
        .value_kind:     global_buffer
      - .actual_access:  read_only
        .address_space:  global
        .offset:         16
        .size:           8
        .value_kind:     global_buffer
      - .offset:         24
        .size:           8
        .value_kind:     by_value
      - .actual_access:  read_only
        .address_space:  global
        .offset:         32
        .size:           8
        .value_kind:     global_buffer
      - .actual_access:  read_only
        .address_space:  global
        .offset:         40
        .size:           8
        .value_kind:     global_buffer
      - .actual_access:  read_only
        .address_space:  global
        .offset:         48
        .size:           8
        .value_kind:     global_buffer
      - .actual_access:  read_only
        .address_space:  global
        .offset:         56
        .size:           8
        .value_kind:     global_buffer
      - .actual_access:  read_only
        .address_space:  global
        .offset:         64
        .size:           8
        .value_kind:     global_buffer
      - .actual_access:  read_only
        .address_space:  global
        .offset:         72
        .size:           8
        .value_kind:     global_buffer
      - .offset:         80
        .size:           8
        .value_kind:     by_value
      - .actual_access:  read_only
        .address_space:  global
        .offset:         88
        .size:           8
        .value_kind:     global_buffer
      - .actual_access:  read_only
        .address_space:  global
        .offset:         96
        .size:           8
        .value_kind:     global_buffer
      - .actual_access:  read_only
        .address_space:  global
        .offset:         104
        .size:           8
        .value_kind:     global_buffer
      - .actual_access:  read_only
        .address_space:  global
        .offset:         112
        .size:           8
        .value_kind:     global_buffer
      - .actual_access:  write_only
        .address_space:  global
        .offset:         120
        .size:           8
        .value_kind:     global_buffer
      - .actual_access:  write_only
        .address_space:  global
        .offset:         128
        .size:           8
        .value_kind:     global_buffer
      - .offset:         136
        .size:           4
        .value_kind:     by_value
      - .offset:         140
        .size:           4
        .value_kind:     by_value
      - .offset:         144
        .size:           4
        .value_kind:     by_value
      - .offset:         148
        .size:           4
        .value_kind:     by_value
      - .offset:         152
        .size:           1
        .value_kind:     by_value
      - .offset:         153
        .size:           1
        .value_kind:     by_value
      - .offset:         154
        .size:           1
        .value_kind:     by_value
    .group_segment_fixed_size: 0
    .kernarg_segment_align: 8
    .kernarg_segment_size: 156
    .language:       OpenCL C
    .language_version:
      - 2
      - 0
    .max_flat_workgroup_size: 256
    .name:           _ZN9rocsparseL26csrgemm_fill_block_per_rowILj256ELj32ELj512ELj137ELj32ElldEEvT5_PKS1_S3_NS_24const_host_device_scalarIT6_EEPKT4_S3_PKS5_S9_S3_SB_S6_S9_S3_SB_S9_PS1_PS5_21rocsparse_index_base_SE_SE_SE_bbb
    .private_segment_fixed_size: 0
    .sgpr_count:     47
    .sgpr_spill_count: 0
    .symbol:         _ZN9rocsparseL26csrgemm_fill_block_per_rowILj256ELj32ELj512ELj137ELj32ElldEEvT5_PKS1_S3_NS_24const_host_device_scalarIT6_EEPKT4_S3_PKS5_S9_S3_SB_S6_S9_S3_SB_S9_PS1_PS5_21rocsparse_index_base_SE_SE_SE_bbb.kd
    .uniform_work_group_size: 1
    .uses_dynamic_stack: false
    .vgpr_count:     28
    .vgpr_spill_count: 0
    .wavefront_size: 32
    .workgroup_processor_mode: 1
  - .args:
      - .offset:         0
        .size:           8
        .value_kind:     by_value
      - .actual_access:  read_only
        .address_space:  global
        .offset:         8
        .size:           8
        .value_kind:     global_buffer
      - .actual_access:  read_only
        .address_space:  global
        .offset:         16
        .size:           8
        .value_kind:     global_buffer
      - .offset:         24
        .size:           8
        .value_kind:     by_value
      - .actual_access:  read_only
        .address_space:  global
        .offset:         32
        .size:           8
        .value_kind:     global_buffer
      - .actual_access:  read_only
        .address_space:  global
        .offset:         40
        .size:           8
        .value_kind:     global_buffer
      - .actual_access:  read_only
        .address_space:  global
        .offset:         48
        .size:           8
        .value_kind:     global_buffer
      - .actual_access:  read_only
        .address_space:  global
        .offset:         56
        .size:           8
        .value_kind:     global_buffer
      - .actual_access:  read_only
        .address_space:  global
        .offset:         64
        .size:           8
        .value_kind:     global_buffer
      - .actual_access:  read_only
        .address_space:  global
        .offset:         72
        .size:           8
        .value_kind:     global_buffer
      - .offset:         80
        .size:           8
        .value_kind:     by_value
      - .actual_access:  read_only
        .address_space:  global
        .offset:         88
        .size:           8
        .value_kind:     global_buffer
      - .actual_access:  read_only
        .address_space:  global
        .offset:         96
        .size:           8
        .value_kind:     global_buffer
      - .actual_access:  read_only
        .address_space:  global
        .offset:         104
        .size:           8
        .value_kind:     global_buffer
      - .actual_access:  read_only
        .address_space:  global
        .offset:         112
        .size:           8
        .value_kind:     global_buffer
      - .actual_access:  write_only
        .address_space:  global
        .offset:         120
        .size:           8
        .value_kind:     global_buffer
      - .actual_access:  write_only
        .address_space:  global
        .offset:         128
        .size:           8
        .value_kind:     global_buffer
      - .offset:         136
        .size:           4
        .value_kind:     by_value
      - .offset:         140
        .size:           4
        .value_kind:     by_value
      - .offset:         144
        .size:           4
        .value_kind:     by_value
      - .offset:         148
        .size:           4
        .value_kind:     by_value
      - .offset:         152
        .size:           1
        .value_kind:     by_value
      - .offset:         153
        .size:           1
        .value_kind:     by_value
      - .offset:         154
        .size:           1
        .value_kind:     by_value
    .group_segment_fixed_size: 0
    .kernarg_segment_align: 8
    .kernarg_segment_size: 156
    .language:       OpenCL C
    .language_version:
      - 2
      - 0
    .max_flat_workgroup_size: 256
    .name:           _ZN9rocsparseL26csrgemm_fill_block_per_rowILj256ELj32ELj512ELj137ELj64ElldEEvT5_PKS1_S3_NS_24const_host_device_scalarIT6_EEPKT4_S3_PKS5_S9_S3_SB_S6_S9_S3_SB_S9_PS1_PS5_21rocsparse_index_base_SE_SE_SE_bbb
    .private_segment_fixed_size: 0
    .sgpr_count:     47
    .sgpr_spill_count: 0
    .symbol:         _ZN9rocsparseL26csrgemm_fill_block_per_rowILj256ELj32ELj512ELj137ELj64ElldEEvT5_PKS1_S3_NS_24const_host_device_scalarIT6_EEPKT4_S3_PKS5_S9_S3_SB_S6_S9_S3_SB_S9_PS1_PS5_21rocsparse_index_base_SE_SE_SE_bbb.kd
    .uniform_work_group_size: 1
    .uses_dynamic_stack: false
    .vgpr_count:     27
    .vgpr_spill_count: 0
    .wavefront_size: 32
    .workgroup_processor_mode: 1
  - .args:
      - .offset:         0
        .size:           8
        .value_kind:     by_value
      - .actual_access:  read_only
        .address_space:  global
        .offset:         8
        .size:           8
        .value_kind:     global_buffer
      - .actual_access:  read_only
        .address_space:  global
        .offset:         16
        .size:           8
        .value_kind:     global_buffer
      - .offset:         24
        .size:           8
        .value_kind:     by_value
      - .actual_access:  read_only
        .address_space:  global
        .offset:         32
        .size:           8
        .value_kind:     global_buffer
      - .actual_access:  read_only
        .address_space:  global
        .offset:         40
        .size:           8
        .value_kind:     global_buffer
      - .actual_access:  read_only
        .address_space:  global
        .offset:         48
        .size:           8
        .value_kind:     global_buffer
      - .actual_access:  read_only
        .address_space:  global
        .offset:         56
        .size:           8
        .value_kind:     global_buffer
      - .actual_access:  read_only
        .address_space:  global
        .offset:         64
        .size:           8
        .value_kind:     global_buffer
      - .actual_access:  read_only
        .address_space:  global
        .offset:         72
        .size:           8
        .value_kind:     global_buffer
      - .offset:         80
        .size:           8
        .value_kind:     by_value
      - .actual_access:  read_only
        .address_space:  global
        .offset:         88
        .size:           8
        .value_kind:     global_buffer
      - .actual_access:  read_only
        .address_space:  global
        .offset:         96
        .size:           8
        .value_kind:     global_buffer
      - .actual_access:  read_only
        .address_space:  global
        .offset:         104
        .size:           8
        .value_kind:     global_buffer
      - .actual_access:  read_only
        .address_space:  global
        .offset:         112
        .size:           8
        .value_kind:     global_buffer
      - .actual_access:  write_only
        .address_space:  global
        .offset:         120
        .size:           8
        .value_kind:     global_buffer
      - .actual_access:  write_only
        .address_space:  global
        .offset:         128
        .size:           8
        .value_kind:     global_buffer
      - .offset:         136
        .size:           4
        .value_kind:     by_value
      - .offset:         140
        .size:           4
        .value_kind:     by_value
      - .offset:         144
        .size:           4
        .value_kind:     by_value
      - .offset:         148
        .size:           4
        .value_kind:     by_value
      - .offset:         152
        .size:           1
        .value_kind:     by_value
      - .offset:         153
        .size:           1
        .value_kind:     by_value
      - .offset:         154
        .size:           1
        .value_kind:     by_value
    .group_segment_fixed_size: 0
    .kernarg_segment_align: 8
    .kernarg_segment_size: 156
    .language:       OpenCL C
    .language_version:
      - 2
      - 0
    .max_flat_workgroup_size: 512
    .name:           _ZN9rocsparseL26csrgemm_fill_block_per_rowILj512ELj32ELj1024ELj137ELj32ElldEEvT5_PKS1_S3_NS_24const_host_device_scalarIT6_EEPKT4_S3_PKS5_S9_S3_SB_S6_S9_S3_SB_S9_PS1_PS5_21rocsparse_index_base_SE_SE_SE_bbb
    .private_segment_fixed_size: 0
    .sgpr_count:     46
    .sgpr_spill_count: 0
    .symbol:         _ZN9rocsparseL26csrgemm_fill_block_per_rowILj512ELj32ELj1024ELj137ELj32ElldEEvT5_PKS1_S3_NS_24const_host_device_scalarIT6_EEPKT4_S3_PKS5_S9_S3_SB_S6_S9_S3_SB_S9_PS1_PS5_21rocsparse_index_base_SE_SE_SE_bbb.kd
    .uniform_work_group_size: 1
    .uses_dynamic_stack: false
    .vgpr_count:     28
    .vgpr_spill_count: 0
    .wavefront_size: 32
    .workgroup_processor_mode: 1
  - .args:
      - .offset:         0
        .size:           8
        .value_kind:     by_value
      - .actual_access:  read_only
        .address_space:  global
        .offset:         8
        .size:           8
        .value_kind:     global_buffer
      - .actual_access:  read_only
        .address_space:  global
        .offset:         16
        .size:           8
        .value_kind:     global_buffer
      - .offset:         24
        .size:           8
        .value_kind:     by_value
      - .actual_access:  read_only
        .address_space:  global
        .offset:         32
        .size:           8
        .value_kind:     global_buffer
      - .actual_access:  read_only
        .address_space:  global
        .offset:         40
        .size:           8
        .value_kind:     global_buffer
      - .actual_access:  read_only
        .address_space:  global
        .offset:         48
        .size:           8
        .value_kind:     global_buffer
      - .actual_access:  read_only
        .address_space:  global
        .offset:         56
        .size:           8
        .value_kind:     global_buffer
      - .actual_access:  read_only
        .address_space:  global
        .offset:         64
        .size:           8
        .value_kind:     global_buffer
      - .actual_access:  read_only
        .address_space:  global
        .offset:         72
        .size:           8
        .value_kind:     global_buffer
      - .offset:         80
        .size:           8
        .value_kind:     by_value
      - .actual_access:  read_only
        .address_space:  global
        .offset:         88
        .size:           8
        .value_kind:     global_buffer
      - .actual_access:  read_only
        .address_space:  global
        .offset:         96
        .size:           8
        .value_kind:     global_buffer
      - .actual_access:  read_only
        .address_space:  global
        .offset:         104
        .size:           8
        .value_kind:     global_buffer
      - .actual_access:  read_only
        .address_space:  global
        .offset:         112
        .size:           8
        .value_kind:     global_buffer
      - .actual_access:  write_only
        .address_space:  global
        .offset:         120
        .size:           8
        .value_kind:     global_buffer
      - .actual_access:  write_only
        .address_space:  global
        .offset:         128
        .size:           8
        .value_kind:     global_buffer
      - .offset:         136
        .size:           4
        .value_kind:     by_value
      - .offset:         140
        .size:           4
        .value_kind:     by_value
      - .offset:         144
        .size:           4
        .value_kind:     by_value
      - .offset:         148
        .size:           4
        .value_kind:     by_value
      - .offset:         152
        .size:           1
        .value_kind:     by_value
      - .offset:         153
        .size:           1
        .value_kind:     by_value
      - .offset:         154
        .size:           1
        .value_kind:     by_value
    .group_segment_fixed_size: 0
    .kernarg_segment_align: 8
    .kernarg_segment_size: 156
    .language:       OpenCL C
    .language_version:
      - 2
      - 0
    .max_flat_workgroup_size: 512
    .name:           _ZN9rocsparseL26csrgemm_fill_block_per_rowILj512ELj32ELj1024ELj137ELj64ElldEEvT5_PKS1_S3_NS_24const_host_device_scalarIT6_EEPKT4_S3_PKS5_S9_S3_SB_S6_S9_S3_SB_S9_PS1_PS5_21rocsparse_index_base_SE_SE_SE_bbb
    .private_segment_fixed_size: 0
    .sgpr_count:     46
    .sgpr_spill_count: 0
    .symbol:         _ZN9rocsparseL26csrgemm_fill_block_per_rowILj512ELj32ELj1024ELj137ELj64ElldEEvT5_PKS1_S3_NS_24const_host_device_scalarIT6_EEPKT4_S3_PKS5_S9_S3_SB_S6_S9_S3_SB_S9_PS1_PS5_21rocsparse_index_base_SE_SE_SE_bbb.kd
    .uniform_work_group_size: 1
    .uses_dynamic_stack: false
    .vgpr_count:     27
    .vgpr_spill_count: 0
    .wavefront_size: 32
    .workgroup_processor_mode: 1
  - .args:
      - .offset:         0
        .size:           8
        .value_kind:     by_value
      - .actual_access:  read_only
        .address_space:  global
        .offset:         8
        .size:           8
        .value_kind:     global_buffer
      - .actual_access:  read_only
        .address_space:  global
        .offset:         16
        .size:           8
        .value_kind:     global_buffer
      - .offset:         24
        .size:           8
        .value_kind:     by_value
      - .actual_access:  read_only
        .address_space:  global
        .offset:         32
        .size:           8
        .value_kind:     global_buffer
      - .actual_access:  read_only
        .address_space:  global
        .offset:         40
        .size:           8
        .value_kind:     global_buffer
      - .actual_access:  read_only
        .address_space:  global
        .offset:         48
        .size:           8
        .value_kind:     global_buffer
      - .actual_access:  read_only
        .address_space:  global
        .offset:         56
        .size:           8
        .value_kind:     global_buffer
      - .actual_access:  read_only
        .address_space:  global
        .offset:         64
        .size:           8
        .value_kind:     global_buffer
      - .actual_access:  read_only
        .address_space:  global
        .offset:         72
        .size:           8
        .value_kind:     global_buffer
      - .offset:         80
        .size:           8
        .value_kind:     by_value
      - .actual_access:  read_only
        .address_space:  global
        .offset:         88
        .size:           8
        .value_kind:     global_buffer
      - .actual_access:  read_only
        .address_space:  global
        .offset:         96
        .size:           8
        .value_kind:     global_buffer
      - .actual_access:  read_only
        .address_space:  global
        .offset:         104
        .size:           8
        .value_kind:     global_buffer
      - .actual_access:  read_only
        .address_space:  global
        .offset:         112
        .size:           8
        .value_kind:     global_buffer
      - .actual_access:  write_only
        .address_space:  global
        .offset:         120
        .size:           8
        .value_kind:     global_buffer
      - .actual_access:  write_only
        .address_space:  global
        .offset:         128
        .size:           8
        .value_kind:     global_buffer
      - .offset:         136
        .size:           4
        .value_kind:     by_value
      - .offset:         140
        .size:           4
        .value_kind:     by_value
      - .offset:         144
        .size:           4
        .value_kind:     by_value
      - .offset:         148
        .size:           4
        .value_kind:     by_value
      - .offset:         152
        .size:           1
        .value_kind:     by_value
      - .offset:         153
        .size:           1
        .value_kind:     by_value
      - .offset:         154
        .size:           1
        .value_kind:     by_value
    .group_segment_fixed_size: 0
    .kernarg_segment_align: 8
    .kernarg_segment_size: 156
    .language:       OpenCL C
    .language_version:
      - 2
      - 0
    .max_flat_workgroup_size: 1024
    .name:           _ZN9rocsparseL26csrgemm_fill_block_per_rowILj1024ELj32ELj2048ELj137ELj32ElldEEvT5_PKS1_S3_NS_24const_host_device_scalarIT6_EEPKT4_S3_PKS5_S9_S3_SB_S6_S9_S3_SB_S9_PS1_PS5_21rocsparse_index_base_SE_SE_SE_bbb
    .private_segment_fixed_size: 0
    .sgpr_count:     56
    .sgpr_spill_count: 0
    .symbol:         _ZN9rocsparseL26csrgemm_fill_block_per_rowILj1024ELj32ELj2048ELj137ELj32ElldEEvT5_PKS1_S3_NS_24const_host_device_scalarIT6_EEPKT4_S3_PKS5_S9_S3_SB_S6_S9_S3_SB_S9_PS1_PS5_21rocsparse_index_base_SE_SE_SE_bbb.kd
    .uniform_work_group_size: 1
    .uses_dynamic_stack: false
    .vgpr_count:     28
    .vgpr_spill_count: 0
    .wavefront_size: 32
    .workgroup_processor_mode: 1
  - .args:
      - .offset:         0
        .size:           8
        .value_kind:     by_value
      - .actual_access:  read_only
        .address_space:  global
        .offset:         8
        .size:           8
        .value_kind:     global_buffer
      - .actual_access:  read_only
        .address_space:  global
        .offset:         16
        .size:           8
        .value_kind:     global_buffer
      - .offset:         24
        .size:           8
        .value_kind:     by_value
      - .actual_access:  read_only
        .address_space:  global
        .offset:         32
        .size:           8
        .value_kind:     global_buffer
      - .actual_access:  read_only
        .address_space:  global
        .offset:         40
        .size:           8
        .value_kind:     global_buffer
      - .actual_access:  read_only
        .address_space:  global
        .offset:         48
        .size:           8
        .value_kind:     global_buffer
      - .actual_access:  read_only
        .address_space:  global
        .offset:         56
        .size:           8
        .value_kind:     global_buffer
      - .actual_access:  read_only
        .address_space:  global
        .offset:         64
        .size:           8
        .value_kind:     global_buffer
      - .actual_access:  read_only
        .address_space:  global
        .offset:         72
        .size:           8
        .value_kind:     global_buffer
      - .offset:         80
        .size:           8
        .value_kind:     by_value
      - .actual_access:  read_only
        .address_space:  global
        .offset:         88
        .size:           8
        .value_kind:     global_buffer
      - .actual_access:  read_only
        .address_space:  global
        .offset:         96
        .size:           8
        .value_kind:     global_buffer
      - .actual_access:  read_only
        .address_space:  global
        .offset:         104
        .size:           8
        .value_kind:     global_buffer
      - .actual_access:  read_only
        .address_space:  global
        .offset:         112
        .size:           8
        .value_kind:     global_buffer
      - .actual_access:  write_only
        .address_space:  global
        .offset:         120
        .size:           8
        .value_kind:     global_buffer
      - .actual_access:  write_only
        .address_space:  global
        .offset:         128
        .size:           8
        .value_kind:     global_buffer
      - .offset:         136
        .size:           4
        .value_kind:     by_value
      - .offset:         140
        .size:           4
        .value_kind:     by_value
      - .offset:         144
        .size:           4
        .value_kind:     by_value
      - .offset:         148
        .size:           4
        .value_kind:     by_value
      - .offset:         152
        .size:           1
        .value_kind:     by_value
      - .offset:         153
        .size:           1
        .value_kind:     by_value
      - .offset:         154
        .size:           1
        .value_kind:     by_value
    .group_segment_fixed_size: 0
    .kernarg_segment_align: 8
    .kernarg_segment_size: 156
    .language:       OpenCL C
    .language_version:
      - 2
      - 0
    .max_flat_workgroup_size: 1024
    .name:           _ZN9rocsparseL26csrgemm_fill_block_per_rowILj1024ELj32ELj2048ELj137ELj64ElldEEvT5_PKS1_S3_NS_24const_host_device_scalarIT6_EEPKT4_S3_PKS5_S9_S3_SB_S6_S9_S3_SB_S9_PS1_PS5_21rocsparse_index_base_SE_SE_SE_bbb
    .private_segment_fixed_size: 0
    .sgpr_count:     46
    .sgpr_spill_count: 0
    .symbol:         _ZN9rocsparseL26csrgemm_fill_block_per_rowILj1024ELj32ELj2048ELj137ELj64ElldEEvT5_PKS1_S3_NS_24const_host_device_scalarIT6_EEPKT4_S3_PKS5_S9_S3_SB_S6_S9_S3_SB_S9_PS1_PS5_21rocsparse_index_base_SE_SE_SE_bbb.kd
    .uniform_work_group_size: 1
    .uses_dynamic_stack: false
    .vgpr_count:     27
    .vgpr_spill_count: 0
    .wavefront_size: 32
    .workgroup_processor_mode: 1
  - .args:
      - .offset:         0
        .size:           8
        .value_kind:     by_value
      - .actual_access:  read_only
        .address_space:  global
        .offset:         8
        .size:           8
        .value_kind:     global_buffer
      - .actual_access:  read_only
        .address_space:  global
        .offset:         16
        .size:           8
        .value_kind:     global_buffer
      - .offset:         24
        .size:           8
        .value_kind:     by_value
      - .actual_access:  read_only
        .address_space:  global
        .offset:         32
        .size:           8
        .value_kind:     global_buffer
      - .actual_access:  read_only
        .address_space:  global
        .offset:         40
        .size:           8
        .value_kind:     global_buffer
      - .actual_access:  read_only
        .address_space:  global
        .offset:         48
        .size:           8
        .value_kind:     global_buffer
      - .actual_access:  read_only
        .address_space:  global
        .offset:         56
        .size:           8
        .value_kind:     global_buffer
      - .actual_access:  read_only
        .address_space:  global
        .offset:         64
        .size:           8
        .value_kind:     global_buffer
      - .actual_access:  read_only
        .address_space:  global
        .offset:         72
        .size:           8
        .value_kind:     global_buffer
      - .offset:         80
        .size:           8
        .value_kind:     by_value
      - .actual_access:  read_only
        .address_space:  global
        .offset:         88
        .size:           8
        .value_kind:     global_buffer
      - .actual_access:  read_only
        .address_space:  global
        .offset:         96
        .size:           8
        .value_kind:     global_buffer
      - .actual_access:  read_only
        .address_space:  global
        .offset:         104
        .size:           8
        .value_kind:     global_buffer
      - .actual_access:  read_only
        .address_space:  global
        .offset:         112
        .size:           8
        .value_kind:     global_buffer
      - .actual_access:  write_only
        .address_space:  global
        .offset:         120
        .size:           8
        .value_kind:     global_buffer
      - .actual_access:  write_only
        .address_space:  global
        .offset:         128
        .size:           8
        .value_kind:     global_buffer
      - .offset:         136
        .size:           4
        .value_kind:     by_value
      - .offset:         140
        .size:           4
        .value_kind:     by_value
      - .offset:         144
        .size:           4
        .value_kind:     by_value
      - .offset:         148
        .size:           4
        .value_kind:     by_value
      - .offset:         152
        .size:           1
        .value_kind:     by_value
      - .offset:         153
        .size:           1
        .value_kind:     by_value
      - .offset:         154
        .size:           1
        .value_kind:     by_value
    .group_segment_fixed_size: 0
    .kernarg_segment_align: 8
    .kernarg_segment_size: 156
    .language:       OpenCL C
    .language_version:
      - 2
      - 0
    .max_flat_workgroup_size: 1024
    .name:           _ZN9rocsparseL26csrgemm_fill_block_per_rowILj1024ELj64ELj4096ELj137ELj32ElldEEvT5_PKS1_S3_NS_24const_host_device_scalarIT6_EEPKT4_S3_PKS5_S9_S3_SB_S6_S9_S3_SB_S9_PS1_PS5_21rocsparse_index_base_SE_SE_SE_bbb
    .private_segment_fixed_size: 0
    .sgpr_count:     80
    .sgpr_spill_count: 0
    .symbol:         _ZN9rocsparseL26csrgemm_fill_block_per_rowILj1024ELj64ELj4096ELj137ELj32ElldEEvT5_PKS1_S3_NS_24const_host_device_scalarIT6_EEPKT4_S3_PKS5_S9_S3_SB_S6_S9_S3_SB_S9_PS1_PS5_21rocsparse_index_base_SE_SE_SE_bbb.kd
    .uniform_work_group_size: 1
    .uses_dynamic_stack: false
    .vgpr_count:     27
    .vgpr_spill_count: 0
    .wavefront_size: 32
    .workgroup_processor_mode: 1
  - .args:
      - .offset:         0
        .size:           8
        .value_kind:     by_value
      - .actual_access:  read_only
        .address_space:  global
        .offset:         8
        .size:           8
        .value_kind:     global_buffer
      - .actual_access:  read_only
        .address_space:  global
        .offset:         16
        .size:           8
        .value_kind:     global_buffer
      - .offset:         24
        .size:           8
        .value_kind:     by_value
      - .actual_access:  read_only
        .address_space:  global
        .offset:         32
        .size:           8
        .value_kind:     global_buffer
      - .actual_access:  read_only
        .address_space:  global
        .offset:         40
        .size:           8
        .value_kind:     global_buffer
      - .actual_access:  read_only
        .address_space:  global
        .offset:         48
        .size:           8
        .value_kind:     global_buffer
      - .actual_access:  read_only
        .address_space:  global
        .offset:         56
        .size:           8
        .value_kind:     global_buffer
      - .actual_access:  read_only
        .address_space:  global
        .offset:         64
        .size:           8
        .value_kind:     global_buffer
      - .actual_access:  read_only
        .address_space:  global
        .offset:         72
        .size:           8
        .value_kind:     global_buffer
      - .offset:         80
        .size:           8
        .value_kind:     by_value
      - .actual_access:  read_only
        .address_space:  global
        .offset:         88
        .size:           8
        .value_kind:     global_buffer
      - .actual_access:  read_only
        .address_space:  global
        .offset:         96
        .size:           8
        .value_kind:     global_buffer
      - .actual_access:  read_only
        .address_space:  global
        .offset:         104
        .size:           8
        .value_kind:     global_buffer
      - .actual_access:  read_only
        .address_space:  global
        .offset:         112
        .size:           8
        .value_kind:     global_buffer
      - .actual_access:  write_only
        .address_space:  global
        .offset:         120
        .size:           8
        .value_kind:     global_buffer
      - .actual_access:  write_only
        .address_space:  global
        .offset:         128
        .size:           8
        .value_kind:     global_buffer
      - .offset:         136
        .size:           4
        .value_kind:     by_value
      - .offset:         140
        .size:           4
        .value_kind:     by_value
      - .offset:         144
        .size:           4
        .value_kind:     by_value
      - .offset:         148
        .size:           4
        .value_kind:     by_value
      - .offset:         152
        .size:           1
        .value_kind:     by_value
      - .offset:         153
        .size:           1
        .value_kind:     by_value
      - .offset:         154
        .size:           1
        .value_kind:     by_value
    .group_segment_fixed_size: 0
    .kernarg_segment_align: 8
    .kernarg_segment_size: 156
    .language:       OpenCL C
    .language_version:
      - 2
      - 0
    .max_flat_workgroup_size: 1024
    .name:           _ZN9rocsparseL26csrgemm_fill_block_per_rowILj1024ELj64ELj4096ELj137ELj64ElldEEvT5_PKS1_S3_NS_24const_host_device_scalarIT6_EEPKT4_S3_PKS5_S9_S3_SB_S6_S9_S3_SB_S9_PS1_PS5_21rocsparse_index_base_SE_SE_SE_bbb
    .private_segment_fixed_size: 0
    .sgpr_count:     48
    .sgpr_spill_count: 0
    .symbol:         _ZN9rocsparseL26csrgemm_fill_block_per_rowILj1024ELj64ELj4096ELj137ELj64ElldEEvT5_PKS1_S3_NS_24const_host_device_scalarIT6_EEPKT4_S3_PKS5_S9_S3_SB_S6_S9_S3_SB_S9_PS1_PS5_21rocsparse_index_base_SE_SE_SE_bbb.kd
    .uniform_work_group_size: 1
    .uses_dynamic_stack: false
    .vgpr_count:     28
    .vgpr_spill_count: 0
    .wavefront_size: 32
    .workgroup_processor_mode: 1
  - .args:
      - .offset:         0
        .size:           8
        .value_kind:     by_value
      - .actual_access:  read_only
        .address_space:  global
        .offset:         8
        .size:           8
        .value_kind:     global_buffer
      - .actual_access:  read_only
        .address_space:  global
        .offset:         16
        .size:           8
        .value_kind:     global_buffer
      - .offset:         24
        .size:           8
        .value_kind:     by_value
      - .actual_access:  read_only
        .address_space:  global
        .offset:         32
        .size:           8
        .value_kind:     global_buffer
      - .actual_access:  read_only
        .address_space:  global
        .offset:         40
        .size:           8
        .value_kind:     global_buffer
      - .actual_access:  read_only
        .address_space:  global
        .offset:         48
        .size:           8
        .value_kind:     global_buffer
      - .actual_access:  read_only
        .address_space:  global
        .offset:         56
        .size:           8
        .value_kind:     global_buffer
      - .actual_access:  read_only
        .address_space:  global
        .offset:         64
        .size:           8
        .value_kind:     global_buffer
      - .actual_access:  read_only
        .address_space:  global
        .offset:         72
        .size:           8
        .value_kind:     global_buffer
      - .offset:         80
        .size:           8
        .value_kind:     by_value
      - .actual_access:  read_only
        .address_space:  global
        .offset:         88
        .size:           8
        .value_kind:     global_buffer
      - .actual_access:  read_only
        .address_space:  global
        .offset:         96
        .size:           8
        .value_kind:     global_buffer
      - .actual_access:  read_only
        .address_space:  global
        .offset:         104
        .size:           8
        .value_kind:     global_buffer
      - .actual_access:  read_only
        .address_space:  global
        .offset:         112
        .size:           8
        .value_kind:     global_buffer
      - .actual_access:  write_only
        .address_space:  global
        .offset:         120
        .size:           8
        .value_kind:     global_buffer
      - .actual_access:  write_only
        .address_space:  global
        .offset:         128
        .size:           8
        .value_kind:     global_buffer
      - .offset:         136
        .size:           4
        .value_kind:     by_value
      - .offset:         140
        .size:           4
        .value_kind:     by_value
      - .offset:         144
        .size:           4
        .value_kind:     by_value
      - .offset:         148
        .size:           4
        .value_kind:     by_value
      - .offset:         152
        .size:           1
        .value_kind:     by_value
      - .offset:         153
        .size:           1
        .value_kind:     by_value
      - .offset:         154
        .size:           1
        .value_kind:     by_value
    .group_segment_fixed_size: 0
    .kernarg_segment_align: 8
    .kernarg_segment_size: 156
    .language:       OpenCL C
    .language_version:
      - 2
      - 0
    .max_flat_workgroup_size: 1024
    .name:           _ZN9rocsparseL26csrgemm_fill_block_per_rowILj1024ELj64ELj8192ELj137ELj32ElldEEvT5_PKS1_S3_NS_24const_host_device_scalarIT6_EEPKT4_S3_PKS5_S9_S3_SB_S6_S9_S3_SB_S9_PS1_PS5_21rocsparse_index_base_SE_SE_SE_bbb
    .private_segment_fixed_size: 0
    .sgpr_count:     80
    .sgpr_spill_count: 0
    .symbol:         _ZN9rocsparseL26csrgemm_fill_block_per_rowILj1024ELj64ELj8192ELj137ELj32ElldEEvT5_PKS1_S3_NS_24const_host_device_scalarIT6_EEPKT4_S3_PKS5_S9_S3_SB_S6_S9_S3_SB_S9_PS1_PS5_21rocsparse_index_base_SE_SE_SE_bbb.kd
    .uniform_work_group_size: 1
    .uses_dynamic_stack: false
    .vgpr_count:     26
    .vgpr_spill_count: 0
    .wavefront_size: 32
    .workgroup_processor_mode: 1
  - .args:
      - .offset:         0
        .size:           8
        .value_kind:     by_value
      - .actual_access:  read_only
        .address_space:  global
        .offset:         8
        .size:           8
        .value_kind:     global_buffer
      - .actual_access:  read_only
        .address_space:  global
        .offset:         16
        .size:           8
        .value_kind:     global_buffer
      - .offset:         24
        .size:           8
        .value_kind:     by_value
      - .actual_access:  read_only
        .address_space:  global
        .offset:         32
        .size:           8
        .value_kind:     global_buffer
      - .actual_access:  read_only
        .address_space:  global
        .offset:         40
        .size:           8
        .value_kind:     global_buffer
      - .actual_access:  read_only
        .address_space:  global
        .offset:         48
        .size:           8
        .value_kind:     global_buffer
      - .actual_access:  read_only
        .address_space:  global
        .offset:         56
        .size:           8
        .value_kind:     global_buffer
      - .actual_access:  read_only
        .address_space:  global
        .offset:         64
        .size:           8
        .value_kind:     global_buffer
      - .actual_access:  read_only
        .address_space:  global
        .offset:         72
        .size:           8
        .value_kind:     global_buffer
      - .offset:         80
        .size:           8
        .value_kind:     by_value
      - .actual_access:  read_only
        .address_space:  global
        .offset:         88
        .size:           8
        .value_kind:     global_buffer
      - .actual_access:  read_only
        .address_space:  global
        .offset:         96
        .size:           8
        .value_kind:     global_buffer
      - .actual_access:  read_only
        .address_space:  global
        .offset:         104
        .size:           8
        .value_kind:     global_buffer
      - .actual_access:  read_only
        .address_space:  global
        .offset:         112
        .size:           8
        .value_kind:     global_buffer
      - .actual_access:  write_only
        .address_space:  global
        .offset:         120
        .size:           8
        .value_kind:     global_buffer
      - .actual_access:  write_only
        .address_space:  global
        .offset:         128
        .size:           8
        .value_kind:     global_buffer
      - .offset:         136
        .size:           4
        .value_kind:     by_value
      - .offset:         140
        .size:           4
        .value_kind:     by_value
      - .offset:         144
        .size:           4
        .value_kind:     by_value
      - .offset:         148
        .size:           4
        .value_kind:     by_value
      - .offset:         152
        .size:           1
        .value_kind:     by_value
      - .offset:         153
        .size:           1
        .value_kind:     by_value
      - .offset:         154
        .size:           1
        .value_kind:     by_value
    .group_segment_fixed_size: 0
    .kernarg_segment_align: 8
    .kernarg_segment_size: 156
    .language:       OpenCL C
    .language_version:
      - 2
      - 0
    .max_flat_workgroup_size: 1024
    .name:           _ZN9rocsparseL26csrgemm_fill_block_per_rowILj1024ELj64ELj8192ELj137ELj64ElldEEvT5_PKS1_S3_NS_24const_host_device_scalarIT6_EEPKT4_S3_PKS5_S9_S3_SB_S6_S9_S3_SB_S9_PS1_PS5_21rocsparse_index_base_SE_SE_SE_bbb
    .private_segment_fixed_size: 0
    .sgpr_count:     48
    .sgpr_spill_count: 0
    .symbol:         _ZN9rocsparseL26csrgemm_fill_block_per_rowILj1024ELj64ELj8192ELj137ELj64ElldEEvT5_PKS1_S3_NS_24const_host_device_scalarIT6_EEPKT4_S3_PKS5_S9_S3_SB_S6_S9_S3_SB_S9_PS1_PS5_21rocsparse_index_base_SE_SE_SE_bbb.kd
    .uniform_work_group_size: 1
    .uses_dynamic_stack: false
    .vgpr_count:     27
    .vgpr_spill_count: 0
    .wavefront_size: 32
    .workgroup_processor_mode: 1
  - .args:
      - .offset:         0
        .size:           8
        .value_kind:     by_value
      - .actual_access:  read_only
        .address_space:  global
        .offset:         8
        .size:           8
        .value_kind:     global_buffer
      - .actual_access:  read_only
        .address_space:  global
        .offset:         16
        .size:           8
        .value_kind:     global_buffer
      - .offset:         24
        .size:           8
        .value_kind:     by_value
      - .actual_access:  read_only
        .address_space:  global
        .offset:         32
        .size:           8
        .value_kind:     global_buffer
      - .actual_access:  read_only
        .address_space:  global
        .offset:         40
        .size:           8
        .value_kind:     global_buffer
      - .actual_access:  read_only
        .address_space:  global
        .offset:         48
        .size:           8
        .value_kind:     global_buffer
      - .actual_access:  read_only
        .address_space:  global
        .offset:         56
        .size:           8
        .value_kind:     global_buffer
      - .actual_access:  read_only
        .address_space:  global
        .offset:         64
        .size:           8
        .value_kind:     global_buffer
      - .actual_access:  read_only
        .address_space:  global
        .offset:         72
        .size:           8
        .value_kind:     global_buffer
      - .offset:         80
        .size:           8
        .value_kind:     by_value
      - .actual_access:  read_only
        .address_space:  global
        .offset:         88
        .size:           8
        .value_kind:     global_buffer
      - .actual_access:  read_only
        .address_space:  global
        .offset:         96
        .size:           8
        .value_kind:     global_buffer
      - .actual_access:  read_only
        .address_space:  global
        .offset:         104
        .size:           8
        .value_kind:     global_buffer
      - .actual_access:  read_only
        .address_space:  global
        .offset:         112
        .size:           8
        .value_kind:     global_buffer
      - .actual_access:  write_only
        .address_space:  global
        .offset:         120
        .size:           8
        .value_kind:     global_buffer
      - .actual_access:  write_only
        .address_space:  global
        .offset:         128
        .size:           8
        .value_kind:     global_buffer
      - .offset:         136
        .size:           4
        .value_kind:     by_value
      - .offset:         140
        .size:           4
        .value_kind:     by_value
      - .offset:         144
        .size:           4
        .value_kind:     by_value
      - .offset:         148
        .size:           4
        .value_kind:     by_value
      - .offset:         152
        .size:           1
        .value_kind:     by_value
      - .offset:         153
        .size:           1
        .value_kind:     by_value
      - .offset:         154
        .size:           1
        .value_kind:     by_value
    .group_segment_fixed_size: 0
    .kernarg_segment_align: 8
    .kernarg_segment_size: 156
    .language:       OpenCL C
    .language_version:
      - 2
      - 0
    .max_flat_workgroup_size: 1024
    .name:           _ZN9rocsparseL26csrgemm_fill_block_per_rowILj1024ELj64ELj16384ELj137ELj32ElldEEvT5_PKS1_S3_NS_24const_host_device_scalarIT6_EEPKT4_S3_PKS5_S9_S3_SB_S6_S9_S3_SB_S9_PS1_PS5_21rocsparse_index_base_SE_SE_SE_bbb
    .private_segment_fixed_size: 0
    .sgpr_count:     80
    .sgpr_spill_count: 0
    .symbol:         _ZN9rocsparseL26csrgemm_fill_block_per_rowILj1024ELj64ELj16384ELj137ELj32ElldEEvT5_PKS1_S3_NS_24const_host_device_scalarIT6_EEPKT4_S3_PKS5_S9_S3_SB_S6_S9_S3_SB_S9_PS1_PS5_21rocsparse_index_base_SE_SE_SE_bbb.kd
    .uniform_work_group_size: 1
    .uses_dynamic_stack: false
    .vgpr_count:     27
    .vgpr_spill_count: 0
    .wavefront_size: 32
    .workgroup_processor_mode: 1
  - .args:
      - .offset:         0
        .size:           8
        .value_kind:     by_value
      - .actual_access:  read_only
        .address_space:  global
        .offset:         8
        .size:           8
        .value_kind:     global_buffer
      - .actual_access:  read_only
        .address_space:  global
        .offset:         16
        .size:           8
        .value_kind:     global_buffer
      - .offset:         24
        .size:           8
        .value_kind:     by_value
      - .actual_access:  read_only
        .address_space:  global
        .offset:         32
        .size:           8
        .value_kind:     global_buffer
      - .actual_access:  read_only
        .address_space:  global
        .offset:         40
        .size:           8
        .value_kind:     global_buffer
      - .actual_access:  read_only
        .address_space:  global
        .offset:         48
        .size:           8
        .value_kind:     global_buffer
      - .actual_access:  read_only
        .address_space:  global
        .offset:         56
        .size:           8
        .value_kind:     global_buffer
      - .actual_access:  read_only
        .address_space:  global
        .offset:         64
        .size:           8
        .value_kind:     global_buffer
      - .actual_access:  read_only
        .address_space:  global
        .offset:         72
        .size:           8
        .value_kind:     global_buffer
      - .offset:         80
        .size:           8
        .value_kind:     by_value
      - .actual_access:  read_only
        .address_space:  global
        .offset:         88
        .size:           8
        .value_kind:     global_buffer
      - .actual_access:  read_only
        .address_space:  global
        .offset:         96
        .size:           8
        .value_kind:     global_buffer
      - .actual_access:  read_only
        .address_space:  global
        .offset:         104
        .size:           8
        .value_kind:     global_buffer
      - .actual_access:  read_only
        .address_space:  global
        .offset:         112
        .size:           8
        .value_kind:     global_buffer
      - .actual_access:  write_only
        .address_space:  global
        .offset:         120
        .size:           8
        .value_kind:     global_buffer
      - .actual_access:  write_only
        .address_space:  global
        .offset:         128
        .size:           8
        .value_kind:     global_buffer
      - .offset:         136
        .size:           4
        .value_kind:     by_value
      - .offset:         140
        .size:           4
        .value_kind:     by_value
      - .offset:         144
        .size:           4
        .value_kind:     by_value
      - .offset:         148
        .size:           4
        .value_kind:     by_value
      - .offset:         152
        .size:           1
        .value_kind:     by_value
      - .offset:         153
        .size:           1
        .value_kind:     by_value
      - .offset:         154
        .size:           1
        .value_kind:     by_value
    .group_segment_fixed_size: 0
    .kernarg_segment_align: 8
    .kernarg_segment_size: 156
    .language:       OpenCL C
    .language_version:
      - 2
      - 0
    .max_flat_workgroup_size: 1024
    .name:           _ZN9rocsparseL26csrgemm_fill_block_per_rowILj1024ELj64ELj16384ELj137ELj64ElldEEvT5_PKS1_S3_NS_24const_host_device_scalarIT6_EEPKT4_S3_PKS5_S9_S3_SB_S6_S9_S3_SB_S9_PS1_PS5_21rocsparse_index_base_SE_SE_SE_bbb
    .private_segment_fixed_size: 0
    .sgpr_count:     48
    .sgpr_spill_count: 0
    .symbol:         _ZN9rocsparseL26csrgemm_fill_block_per_rowILj1024ELj64ELj16384ELj137ELj64ElldEEvT5_PKS1_S3_NS_24const_host_device_scalarIT6_EEPKT4_S3_PKS5_S9_S3_SB_S6_S9_S3_SB_S9_PS1_PS5_21rocsparse_index_base_SE_SE_SE_bbb.kd
    .uniform_work_group_size: 1
    .uses_dynamic_stack: false
    .vgpr_count:     28
    .vgpr_spill_count: 0
    .wavefront_size: 32
    .workgroup_processor_mode: 1
  - .args:
      - .offset:         0
        .size:           8
        .value_kind:     by_value
      - .actual_access:  read_only
        .address_space:  global
        .offset:         8
        .size:           8
        .value_kind:     global_buffer
      - .actual_access:  read_only
        .address_space:  global
        .offset:         16
        .size:           8
        .value_kind:     global_buffer
      - .offset:         24
        .size:           8
        .value_kind:     by_value
      - .actual_access:  read_only
        .address_space:  global
        .offset:         32
        .size:           8
        .value_kind:     global_buffer
      - .actual_access:  read_only
        .address_space:  global
        .offset:         40
        .size:           8
        .value_kind:     global_buffer
      - .actual_access:  read_only
        .address_space:  global
        .offset:         48
        .size:           8
        .value_kind:     global_buffer
      - .actual_access:  read_only
        .address_space:  global
        .offset:         56
        .size:           8
        .value_kind:     global_buffer
      - .actual_access:  read_only
        .address_space:  global
        .offset:         64
        .size:           8
        .value_kind:     global_buffer
      - .actual_access:  read_only
        .address_space:  global
        .offset:         72
        .size:           8
        .value_kind:     global_buffer
      - .offset:         80
        .size:           8
        .value_kind:     by_value
      - .actual_access:  read_only
        .address_space:  global
        .offset:         88
        .size:           8
        .value_kind:     global_buffer
      - .actual_access:  read_only
        .address_space:  global
        .offset:         96
        .size:           8
        .value_kind:     global_buffer
      - .actual_access:  read_only
        .address_space:  global
        .offset:         104
        .size:           8
        .value_kind:     global_buffer
      - .actual_access:  read_only
        .address_space:  global
        .offset:         112
        .size:           8
        .value_kind:     global_buffer
      - .actual_access:  write_only
        .address_space:  global
        .offset:         120
        .size:           8
        .value_kind:     global_buffer
      - .actual_access:  write_only
        .address_space:  global
        .offset:         128
        .size:           8
        .value_kind:     global_buffer
      - .offset:         136
        .size:           4
        .value_kind:     by_value
      - .offset:         140
        .size:           4
        .value_kind:     by_value
      - .offset:         144
        .size:           4
        .value_kind:     by_value
      - .offset:         148
        .size:           4
        .value_kind:     by_value
      - .offset:         152
        .size:           1
        .value_kind:     by_value
      - .offset:         153
        .size:           1
        .value_kind:     by_value
      - .offset:         154
        .size:           1
        .value_kind:     by_value
    .group_segment_fixed_size: 0
    .kernarg_segment_align: 8
    .kernarg_segment_size: 156
    .language:       OpenCL C
    .language_version:
      - 2
      - 0
    .max_flat_workgroup_size: 1024
    .name:           _ZN9rocsparseL26csrgemm_fill_block_per_rowILj1024ELj64ELj32768ELj137ELj32ElldEEvT5_PKS1_S3_NS_24const_host_device_scalarIT6_EEPKT4_S3_PKS5_S9_S3_SB_S6_S9_S3_SB_S9_PS1_PS5_21rocsparse_index_base_SE_SE_SE_bbb
    .private_segment_fixed_size: 0
    .sgpr_count:     80
    .sgpr_spill_count: 0
    .symbol:         _ZN9rocsparseL26csrgemm_fill_block_per_rowILj1024ELj64ELj32768ELj137ELj32ElldEEvT5_PKS1_S3_NS_24const_host_device_scalarIT6_EEPKT4_S3_PKS5_S9_S3_SB_S6_S9_S3_SB_S9_PS1_PS5_21rocsparse_index_base_SE_SE_SE_bbb.kd
    .uniform_work_group_size: 1
    .uses_dynamic_stack: false
    .vgpr_count:     27
    .vgpr_spill_count: 0
    .wavefront_size: 32
    .workgroup_processor_mode: 1
  - .args:
      - .offset:         0
        .size:           8
        .value_kind:     by_value
      - .actual_access:  read_only
        .address_space:  global
        .offset:         8
        .size:           8
        .value_kind:     global_buffer
      - .actual_access:  read_only
        .address_space:  global
        .offset:         16
        .size:           8
        .value_kind:     global_buffer
      - .offset:         24
        .size:           8
        .value_kind:     by_value
      - .actual_access:  read_only
        .address_space:  global
        .offset:         32
        .size:           8
        .value_kind:     global_buffer
      - .actual_access:  read_only
        .address_space:  global
        .offset:         40
        .size:           8
        .value_kind:     global_buffer
      - .actual_access:  read_only
        .address_space:  global
        .offset:         48
        .size:           8
        .value_kind:     global_buffer
      - .actual_access:  read_only
        .address_space:  global
        .offset:         56
        .size:           8
        .value_kind:     global_buffer
      - .actual_access:  read_only
        .address_space:  global
        .offset:         64
        .size:           8
        .value_kind:     global_buffer
      - .actual_access:  read_only
        .address_space:  global
        .offset:         72
        .size:           8
        .value_kind:     global_buffer
      - .offset:         80
        .size:           8
        .value_kind:     by_value
      - .actual_access:  read_only
        .address_space:  global
        .offset:         88
        .size:           8
        .value_kind:     global_buffer
      - .actual_access:  read_only
        .address_space:  global
        .offset:         96
        .size:           8
        .value_kind:     global_buffer
      - .actual_access:  read_only
        .address_space:  global
        .offset:         104
        .size:           8
        .value_kind:     global_buffer
      - .actual_access:  read_only
        .address_space:  global
        .offset:         112
        .size:           8
        .value_kind:     global_buffer
      - .actual_access:  write_only
        .address_space:  global
        .offset:         120
        .size:           8
        .value_kind:     global_buffer
      - .actual_access:  write_only
        .address_space:  global
        .offset:         128
        .size:           8
        .value_kind:     global_buffer
      - .offset:         136
        .size:           4
        .value_kind:     by_value
      - .offset:         140
        .size:           4
        .value_kind:     by_value
      - .offset:         144
        .size:           4
        .value_kind:     by_value
      - .offset:         148
        .size:           4
        .value_kind:     by_value
      - .offset:         152
        .size:           1
        .value_kind:     by_value
      - .offset:         153
        .size:           1
        .value_kind:     by_value
      - .offset:         154
        .size:           1
        .value_kind:     by_value
    .group_segment_fixed_size: 0
    .kernarg_segment_align: 8
    .kernarg_segment_size: 156
    .language:       OpenCL C
    .language_version:
      - 2
      - 0
    .max_flat_workgroup_size: 1024
    .name:           _ZN9rocsparseL26csrgemm_fill_block_per_rowILj1024ELj64ELj32768ELj137ELj64ElldEEvT5_PKS1_S3_NS_24const_host_device_scalarIT6_EEPKT4_S3_PKS5_S9_S3_SB_S6_S9_S3_SB_S9_PS1_PS5_21rocsparse_index_base_SE_SE_SE_bbb
    .private_segment_fixed_size: 0
    .sgpr_count:     48
    .sgpr_spill_count: 0
    .symbol:         _ZN9rocsparseL26csrgemm_fill_block_per_rowILj1024ELj64ELj32768ELj137ELj64ElldEEvT5_PKS1_S3_NS_24const_host_device_scalarIT6_EEPKT4_S3_PKS5_S9_S3_SB_S6_S9_S3_SB_S9_PS1_PS5_21rocsparse_index_base_SE_SE_SE_bbb.kd
    .uniform_work_group_size: 1
    .uses_dynamic_stack: false
    .vgpr_count:     28
    .vgpr_spill_count: 0
    .wavefront_size: 32
    .workgroup_processor_mode: 1
  - .args:
      - .offset:         0
        .size:           8
        .value_kind:     by_value
      - .actual_access:  read_only
        .address_space:  global
        .offset:         8
        .size:           8
        .value_kind:     global_buffer
      - .actual_access:  read_only
        .address_space:  global
        .offset:         16
        .size:           8
        .value_kind:     global_buffer
      - .offset:         24
        .size:           8
        .value_kind:     by_value
      - .actual_access:  read_only
        .address_space:  global
        .offset:         32
        .size:           8
        .value_kind:     global_buffer
      - .actual_access:  read_only
        .address_space:  global
        .offset:         40
        .size:           8
        .value_kind:     global_buffer
      - .actual_access:  read_only
        .address_space:  global
        .offset:         48
        .size:           8
        .value_kind:     global_buffer
      - .actual_access:  read_only
        .address_space:  global
        .offset:         56
        .size:           8
        .value_kind:     global_buffer
      - .actual_access:  read_only
        .address_space:  global
        .offset:         64
        .size:           8
        .value_kind:     global_buffer
      - .actual_access:  read_only
        .address_space:  global
        .offset:         72
        .size:           8
        .value_kind:     global_buffer
      - .offset:         80
        .size:           8
        .value_kind:     by_value
      - .actual_access:  read_only
        .address_space:  global
        .offset:         88
        .size:           8
        .value_kind:     global_buffer
      - .actual_access:  read_only
        .address_space:  global
        .offset:         96
        .size:           8
        .value_kind:     global_buffer
      - .actual_access:  read_only
        .address_space:  global
        .offset:         104
        .size:           8
        .value_kind:     global_buffer
      - .actual_access:  read_only
        .address_space:  global
        .offset:         112
        .size:           8
        .value_kind:     global_buffer
      - .actual_access:  write_only
        .address_space:  global
        .offset:         120
        .size:           8
        .value_kind:     global_buffer
      - .actual_access:  write_only
        .address_space:  global
        .offset:         128
        .size:           8
        .value_kind:     global_buffer
      - .address_space:  global
        .offset:         136
        .size:           8
        .value_kind:     global_buffer
      - .offset:         144
        .size:           4
        .value_kind:     by_value
      - .offset:         148
        .size:           4
        .value_kind:     by_value
      - .offset:         152
        .size:           4
        .value_kind:     by_value
      - .offset:         156
        .size:           4
        .value_kind:     by_value
      - .offset:         160
        .size:           1
        .value_kind:     by_value
      - .offset:         161
        .size:           1
        .value_kind:     by_value
      - .offset:         162
        .size:           1
        .value_kind:     by_value
    .group_segment_fixed_size: 18440
    .kernarg_segment_align: 8
    .kernarg_segment_size: 164
    .language:       OpenCL C
    .language_version:
      - 2
      - 0
    .max_flat_workgroup_size: 512
    .name:           _ZN9rocsparseL36csrgemm_fill_block_per_row_multipassILj512ELj16ELj2048ELj32ElldEEvT4_PKS1_S3_NS_24const_host_device_scalarIT5_EEPKT3_S3_PKS5_S9_S3_SB_S6_S9_S3_SB_S9_PS1_PS5_PS7_21rocsparse_index_base_SF_SF_SF_bbb
    .private_segment_fixed_size: 0
    .sgpr_count:     66
    .sgpr_spill_count: 0
    .symbol:         _ZN9rocsparseL36csrgemm_fill_block_per_row_multipassILj512ELj16ELj2048ELj32ElldEEvT4_PKS1_S3_NS_24const_host_device_scalarIT5_EEPKT3_S3_PKS5_S9_S3_SB_S6_S9_S3_SB_S9_PS1_PS5_PS7_21rocsparse_index_base_SF_SF_SF_bbb.kd
    .uniform_work_group_size: 1
    .uses_dynamic_stack: false
    .vgpr_count:     51
    .vgpr_spill_count: 0
    .wavefront_size: 32
    .workgroup_processor_mode: 1
  - .args:
      - .offset:         0
        .size:           8
        .value_kind:     by_value
      - .actual_access:  read_only
        .address_space:  global
        .offset:         8
        .size:           8
        .value_kind:     global_buffer
      - .actual_access:  read_only
        .address_space:  global
        .offset:         16
        .size:           8
        .value_kind:     global_buffer
      - .offset:         24
        .size:           8
        .value_kind:     by_value
      - .actual_access:  read_only
        .address_space:  global
        .offset:         32
        .size:           8
        .value_kind:     global_buffer
      - .actual_access:  read_only
        .address_space:  global
        .offset:         40
        .size:           8
        .value_kind:     global_buffer
      - .actual_access:  read_only
        .address_space:  global
        .offset:         48
        .size:           8
        .value_kind:     global_buffer
      - .actual_access:  read_only
        .address_space:  global
        .offset:         56
        .size:           8
        .value_kind:     global_buffer
      - .actual_access:  read_only
        .address_space:  global
        .offset:         64
        .size:           8
        .value_kind:     global_buffer
      - .actual_access:  read_only
        .address_space:  global
        .offset:         72
        .size:           8
        .value_kind:     global_buffer
      - .offset:         80
        .size:           8
        .value_kind:     by_value
      - .actual_access:  read_only
        .address_space:  global
        .offset:         88
        .size:           8
        .value_kind:     global_buffer
      - .actual_access:  read_only
        .address_space:  global
        .offset:         96
        .size:           8
        .value_kind:     global_buffer
      - .actual_access:  read_only
        .address_space:  global
        .offset:         104
        .size:           8
        .value_kind:     global_buffer
      - .actual_access:  read_only
        .address_space:  global
        .offset:         112
        .size:           8
        .value_kind:     global_buffer
      - .actual_access:  write_only
        .address_space:  global
        .offset:         120
        .size:           8
        .value_kind:     global_buffer
      - .actual_access:  write_only
        .address_space:  global
        .offset:         128
        .size:           8
        .value_kind:     global_buffer
      - .address_space:  global
        .offset:         136
        .size:           8
        .value_kind:     global_buffer
      - .offset:         144
        .size:           4
        .value_kind:     by_value
      - .offset:         148
        .size:           4
        .value_kind:     by_value
      - .offset:         152
        .size:           4
        .value_kind:     by_value
      - .offset:         156
        .size:           4
        .value_kind:     by_value
      - .offset:         160
        .size:           1
        .value_kind:     by_value
      - .offset:         161
        .size:           1
        .value_kind:     by_value
      - .offset:         162
        .size:           1
        .value_kind:     by_value
    .group_segment_fixed_size: 18440
    .kernarg_segment_align: 8
    .kernarg_segment_size: 164
    .language:       OpenCL C
    .language_version:
      - 2
      - 0
    .max_flat_workgroup_size: 512
    .name:           _ZN9rocsparseL36csrgemm_fill_block_per_row_multipassILj512ELj16ELj2048ELj64ElldEEvT4_PKS1_S3_NS_24const_host_device_scalarIT5_EEPKT3_S3_PKS5_S9_S3_SB_S6_S9_S3_SB_S9_PS1_PS5_PS7_21rocsparse_index_base_SF_SF_SF_bbb
    .private_segment_fixed_size: 0
    .sgpr_count:     58
    .sgpr_spill_count: 0
    .symbol:         _ZN9rocsparseL36csrgemm_fill_block_per_row_multipassILj512ELj16ELj2048ELj64ElldEEvT4_PKS1_S3_NS_24const_host_device_scalarIT5_EEPKT3_S3_PKS5_S9_S3_SB_S6_S9_S3_SB_S9_PS1_PS5_PS7_21rocsparse_index_base_SF_SF_SF_bbb.kd
    .uniform_work_group_size: 1
    .uses_dynamic_stack: false
    .vgpr_count:     51
    .vgpr_spill_count: 0
    .wavefront_size: 32
    .workgroup_processor_mode: 1
  - .args:
      - .offset:         0
        .size:           8
        .value_kind:     by_value
      - .actual_access:  read_only
        .address_space:  global
        .offset:         8
        .size:           8
        .value_kind:     global_buffer
      - .actual_access:  write_only
        .address_space:  global
        .offset:         16
        .size:           8
        .value_kind:     global_buffer
      - .actual_access:  write_only
        .address_space:  global
        .offset:         24
        .size:           8
        .value_kind:     global_buffer
      - .offset:         32
        .size:           4
        .value_kind:     by_value
      - .offset:         40
        .size:           4
        .value_kind:     hidden_block_count_x
      - .offset:         44
        .size:           4
        .value_kind:     hidden_block_count_y
      - .offset:         48
        .size:           4
        .value_kind:     hidden_block_count_z
      - .offset:         52
        .size:           2
        .value_kind:     hidden_group_size_x
      - .offset:         54
        .size:           2
        .value_kind:     hidden_group_size_y
      - .offset:         56
        .size:           2
        .value_kind:     hidden_group_size_z
      - .offset:         58
        .size:           2
        .value_kind:     hidden_remainder_x
      - .offset:         60
        .size:           2
        .value_kind:     hidden_remainder_y
      - .offset:         62
        .size:           2
        .value_kind:     hidden_remainder_z
      - .offset:         80
        .size:           8
        .value_kind:     hidden_global_offset_x
      - .offset:         88
        .size:           8
        .value_kind:     hidden_global_offset_y
      - .offset:         96
        .size:           8
        .value_kind:     hidden_global_offset_z
      - .offset:         104
        .size:           2
        .value_kind:     hidden_grid_dims
    .group_segment_fixed_size: 22528
    .kernarg_segment_align: 8
    .kernarg_segment_size: 296
    .language:       OpenCL C
    .language_version:
      - 2
      - 0
    .max_flat_workgroup_size: 256
    .name:           _ZN9rocsparseL26csrgemm_group_reduce_part2ILj256ELj11E21rocsparse_complex_numIfEllEEvT3_PKT2_PS3_Pij
    .private_segment_fixed_size: 0
    .sgpr_count:     29
    .sgpr_spill_count: 0
    .symbol:         _ZN9rocsparseL26csrgemm_group_reduce_part2ILj256ELj11E21rocsparse_complex_numIfEllEEvT3_PKT2_PS3_Pij.kd
    .uniform_work_group_size: 1
    .uses_dynamic_stack: false
    .vgpr_count:     43
    .vgpr_spill_count: 0
    .wavefront_size: 32
    .workgroup_processor_mode: 1
  - .args:
      - .offset:         0
        .size:           8
        .value_kind:     by_value
      - .offset:         8
        .size:           8
        .value_kind:     by_value
      - .actual_access:  read_only
        .address_space:  global
        .offset:         16
        .size:           8
        .value_kind:     global_buffer
      - .actual_access:  read_only
        .address_space:  global
        .offset:         24
        .size:           8
        .value_kind:     global_buffer
      - .offset:         32
        .size:           8
        .value_kind:     by_value
      - .actual_access:  read_only
        .address_space:  global
        .offset:         40
        .size:           8
        .value_kind:     global_buffer
      - .actual_access:  read_only
        .address_space:  global
        .offset:         48
        .size:           8
        .value_kind:     global_buffer
      - .actual_access:  read_only
        .address_space:  global
        .offset:         56
        .size:           8
        .value_kind:     global_buffer
      - .actual_access:  read_only
        .address_space:  global
        .offset:         64
        .size:           8
        .value_kind:     global_buffer
      - .actual_access:  read_only
        .address_space:  global
        .offset:         72
        .size:           8
        .value_kind:     global_buffer
      - .actual_access:  read_only
        .address_space:  global
        .offset:         80
        .size:           8
        .value_kind:     global_buffer
      - .offset:         88
        .size:           8
        .value_kind:     by_value
      - .actual_access:  read_only
        .address_space:  global
        .offset:         96
        .size:           8
        .value_kind:     global_buffer
      - .actual_access:  read_only
        .address_space:  global
        .offset:         104
        .size:           8
        .value_kind:     global_buffer
      - .actual_access:  read_only
        .address_space:  global
        .offset:         112
        .size:           8
        .value_kind:     global_buffer
      - .actual_access:  read_only
        .address_space:  global
        .offset:         120
        .size:           8
        .value_kind:     global_buffer
      - .actual_access:  write_only
        .address_space:  global
        .offset:         128
        .size:           8
        .value_kind:     global_buffer
      - .actual_access:  write_only
        .address_space:  global
        .offset:         136
        .size:           8
        .value_kind:     global_buffer
      - .offset:         144
        .size:           4
        .value_kind:     by_value
      - .offset:         148
        .size:           4
        .value_kind:     by_value
      - .offset:         152
        .size:           4
        .value_kind:     by_value
      - .offset:         156
        .size:           4
        .value_kind:     by_value
      - .offset:         160
        .size:           1
        .value_kind:     by_value
      - .offset:         161
        .size:           1
        .value_kind:     by_value
      - .offset:         162
        .size:           1
        .value_kind:     by_value
    .group_segment_fixed_size: 8192
    .kernarg_segment_align: 8
    .kernarg_segment_size: 164
    .language:       OpenCL C
    .language_version:
      - 2
      - 0
    .max_flat_workgroup_size: 256
    .name:           _ZN9rocsparseL23csrgemm_fill_wf_per_rowILj256ELj8ELj16ELj137Ell21rocsparse_complex_numIfEEEvT4_S3_PKS3_S5_NS_24const_host_device_scalarIT5_EEPKT3_S5_PKS7_SB_S5_SD_S8_SB_S5_SD_SB_PS3_PS7_21rocsparse_index_base_SG_SG_SG_bbb
    .private_segment_fixed_size: 0
    .sgpr_count:     48
    .sgpr_spill_count: 0
    .symbol:         _ZN9rocsparseL23csrgemm_fill_wf_per_rowILj256ELj8ELj16ELj137Ell21rocsparse_complex_numIfEEEvT4_S3_PKS3_S5_NS_24const_host_device_scalarIT5_EEPKT3_S5_PKS7_SB_S5_SD_S8_SB_S5_SD_SB_PS3_PS7_21rocsparse_index_base_SG_SG_SG_bbb.kd
    .uniform_work_group_size: 1
    .uses_dynamic_stack: false
    .vgpr_count:     41
    .vgpr_spill_count: 0
    .wavefront_size: 32
    .workgroup_processor_mode: 1
  - .args:
      - .offset:         0
        .size:           8
        .value_kind:     by_value
      - .offset:         8
        .size:           8
        .value_kind:     by_value
      - .actual_access:  read_only
        .address_space:  global
        .offset:         16
        .size:           8
        .value_kind:     global_buffer
      - .actual_access:  read_only
        .address_space:  global
        .offset:         24
        .size:           8
        .value_kind:     global_buffer
      - .offset:         32
        .size:           8
        .value_kind:     by_value
      - .actual_access:  read_only
        .address_space:  global
        .offset:         40
        .size:           8
        .value_kind:     global_buffer
      - .actual_access:  read_only
        .address_space:  global
        .offset:         48
        .size:           8
        .value_kind:     global_buffer
      - .actual_access:  read_only
        .address_space:  global
        .offset:         56
        .size:           8
        .value_kind:     global_buffer
      - .actual_access:  read_only
        .address_space:  global
        .offset:         64
        .size:           8
        .value_kind:     global_buffer
      - .actual_access:  read_only
        .address_space:  global
        .offset:         72
        .size:           8
        .value_kind:     global_buffer
      - .actual_access:  read_only
        .address_space:  global
        .offset:         80
        .size:           8
        .value_kind:     global_buffer
      - .offset:         88
        .size:           8
        .value_kind:     by_value
      - .actual_access:  read_only
        .address_space:  global
        .offset:         96
        .size:           8
        .value_kind:     global_buffer
      - .actual_access:  read_only
        .address_space:  global
        .offset:         104
        .size:           8
        .value_kind:     global_buffer
      - .actual_access:  read_only
        .address_space:  global
        .offset:         112
        .size:           8
        .value_kind:     global_buffer
      - .actual_access:  read_only
        .address_space:  global
        .offset:         120
        .size:           8
        .value_kind:     global_buffer
      - .actual_access:  write_only
        .address_space:  global
        .offset:         128
        .size:           8
        .value_kind:     global_buffer
      - .actual_access:  write_only
        .address_space:  global
        .offset:         136
        .size:           8
        .value_kind:     global_buffer
      - .offset:         144
        .size:           4
        .value_kind:     by_value
      - .offset:         148
        .size:           4
        .value_kind:     by_value
      - .offset:         152
        .size:           4
        .value_kind:     by_value
      - .offset:         156
        .size:           4
        .value_kind:     by_value
      - .offset:         160
        .size:           1
        .value_kind:     by_value
      - .offset:         161
        .size:           1
        .value_kind:     by_value
      - .offset:         162
        .size:           1
        .value_kind:     by_value
    .group_segment_fixed_size: 8192
    .kernarg_segment_align: 8
    .kernarg_segment_size: 164
    .language:       OpenCL C
    .language_version:
      - 2
      - 0
    .max_flat_workgroup_size: 256
    .name:           _ZN9rocsparseL23csrgemm_fill_wf_per_rowILj256ELj16ELj32ELj137Ell21rocsparse_complex_numIfEEEvT4_S3_PKS3_S5_NS_24const_host_device_scalarIT5_EEPKT3_S5_PKS7_SB_S5_SD_S8_SB_S5_SD_SB_PS3_PS7_21rocsparse_index_base_SG_SG_SG_bbb
    .private_segment_fixed_size: 0
    .sgpr_count:     48
    .sgpr_spill_count: 0
    .symbol:         _ZN9rocsparseL23csrgemm_fill_wf_per_rowILj256ELj16ELj32ELj137Ell21rocsparse_complex_numIfEEEvT4_S3_PKS3_S5_NS_24const_host_device_scalarIT5_EEPKT3_S5_PKS7_SB_S5_SD_S8_SB_S5_SD_SB_PS3_PS7_21rocsparse_index_base_SG_SG_SG_bbb.kd
    .uniform_work_group_size: 1
    .uses_dynamic_stack: false
    .vgpr_count:     41
    .vgpr_spill_count: 0
    .wavefront_size: 32
    .workgroup_processor_mode: 1
  - .args:
      - .offset:         0
        .size:           8
        .value_kind:     by_value
      - .actual_access:  read_only
        .address_space:  global
        .offset:         8
        .size:           8
        .value_kind:     global_buffer
      - .actual_access:  read_only
        .address_space:  global
        .offset:         16
        .size:           8
        .value_kind:     global_buffer
      - .offset:         24
        .size:           8
        .value_kind:     by_value
      - .actual_access:  read_only
        .address_space:  global
        .offset:         32
        .size:           8
        .value_kind:     global_buffer
      - .actual_access:  read_only
        .address_space:  global
        .offset:         40
        .size:           8
        .value_kind:     global_buffer
      - .actual_access:  read_only
        .address_space:  global
        .offset:         48
        .size:           8
        .value_kind:     global_buffer
      - .actual_access:  read_only
        .address_space:  global
        .offset:         56
        .size:           8
        .value_kind:     global_buffer
      - .actual_access:  read_only
        .address_space:  global
        .offset:         64
        .size:           8
        .value_kind:     global_buffer
      - .actual_access:  read_only
        .address_space:  global
        .offset:         72
        .size:           8
        .value_kind:     global_buffer
      - .offset:         80
        .size:           8
        .value_kind:     by_value
      - .actual_access:  read_only
        .address_space:  global
        .offset:         88
        .size:           8
        .value_kind:     global_buffer
      - .actual_access:  read_only
        .address_space:  global
        .offset:         96
        .size:           8
        .value_kind:     global_buffer
      - .actual_access:  read_only
        .address_space:  global
        .offset:         104
        .size:           8
        .value_kind:     global_buffer
      - .actual_access:  read_only
        .address_space:  global
        .offset:         112
        .size:           8
        .value_kind:     global_buffer
      - .actual_access:  write_only
        .address_space:  global
        .offset:         120
        .size:           8
        .value_kind:     global_buffer
      - .actual_access:  write_only
        .address_space:  global
        .offset:         128
        .size:           8
        .value_kind:     global_buffer
      - .offset:         136
        .size:           4
        .value_kind:     by_value
      - .offset:         140
        .size:           4
        .value_kind:     by_value
      - .offset:         144
        .size:           4
        .value_kind:     by_value
      - .offset:         148
        .size:           4
        .value_kind:     by_value
      - .offset:         152
        .size:           1
        .value_kind:     by_value
      - .offset:         153
        .size:           1
        .value_kind:     by_value
      - .offset:         154
        .size:           1
        .value_kind:     by_value
    .group_segment_fixed_size: 0
    .kernarg_segment_align: 8
    .kernarg_segment_size: 156
    .language:       OpenCL C
    .language_version:
      - 2
      - 0
    .max_flat_workgroup_size: 128
    .name:           _ZN9rocsparseL26csrgemm_fill_block_per_rowILj128ELj16ELj256ELj137ELj32Ell21rocsparse_complex_numIfEEEvT5_PKS3_S5_NS_24const_host_device_scalarIT6_EEPKT4_S5_PKS7_SB_S5_SD_S8_SB_S5_SD_SB_PS3_PS7_21rocsparse_index_base_SG_SG_SG_bbb
    .private_segment_fixed_size: 0
    .sgpr_count:     51
    .sgpr_spill_count: 0
    .symbol:         _ZN9rocsparseL26csrgemm_fill_block_per_rowILj128ELj16ELj256ELj137ELj32Ell21rocsparse_complex_numIfEEEvT5_PKS3_S5_NS_24const_host_device_scalarIT6_EEPKT4_S5_PKS7_SB_S5_SD_S8_SB_S5_SD_SB_PS3_PS7_21rocsparse_index_base_SG_SG_SG_bbb.kd
    .uniform_work_group_size: 1
    .uses_dynamic_stack: false
    .vgpr_count:     24
    .vgpr_spill_count: 0
    .wavefront_size: 32
    .workgroup_processor_mode: 1
  - .args:
      - .offset:         0
        .size:           8
        .value_kind:     by_value
      - .actual_access:  read_only
        .address_space:  global
        .offset:         8
        .size:           8
        .value_kind:     global_buffer
      - .actual_access:  read_only
        .address_space:  global
        .offset:         16
        .size:           8
        .value_kind:     global_buffer
      - .offset:         24
        .size:           8
        .value_kind:     by_value
      - .actual_access:  read_only
        .address_space:  global
        .offset:         32
        .size:           8
        .value_kind:     global_buffer
      - .actual_access:  read_only
        .address_space:  global
        .offset:         40
        .size:           8
        .value_kind:     global_buffer
      - .actual_access:  read_only
        .address_space:  global
        .offset:         48
        .size:           8
        .value_kind:     global_buffer
      - .actual_access:  read_only
        .address_space:  global
        .offset:         56
        .size:           8
        .value_kind:     global_buffer
      - .actual_access:  read_only
        .address_space:  global
        .offset:         64
        .size:           8
        .value_kind:     global_buffer
      - .actual_access:  read_only
        .address_space:  global
        .offset:         72
        .size:           8
        .value_kind:     global_buffer
      - .offset:         80
        .size:           8
        .value_kind:     by_value
      - .actual_access:  read_only
        .address_space:  global
        .offset:         88
        .size:           8
        .value_kind:     global_buffer
      - .actual_access:  read_only
        .address_space:  global
        .offset:         96
        .size:           8
        .value_kind:     global_buffer
      - .actual_access:  read_only
        .address_space:  global
        .offset:         104
        .size:           8
        .value_kind:     global_buffer
      - .actual_access:  read_only
        .address_space:  global
        .offset:         112
        .size:           8
        .value_kind:     global_buffer
      - .actual_access:  write_only
        .address_space:  global
        .offset:         120
        .size:           8
        .value_kind:     global_buffer
      - .actual_access:  write_only
        .address_space:  global
        .offset:         128
        .size:           8
        .value_kind:     global_buffer
      - .offset:         136
        .size:           4
        .value_kind:     by_value
      - .offset:         140
        .size:           4
        .value_kind:     by_value
      - .offset:         144
        .size:           4
        .value_kind:     by_value
      - .offset:         148
        .size:           4
        .value_kind:     by_value
      - .offset:         152
        .size:           1
        .value_kind:     by_value
      - .offset:         153
        .size:           1
        .value_kind:     by_value
      - .offset:         154
        .size:           1
        .value_kind:     by_value
    .group_segment_fixed_size: 0
    .kernarg_segment_align: 8
    .kernarg_segment_size: 156
    .language:       OpenCL C
    .language_version:
      - 2
      - 0
    .max_flat_workgroup_size: 128
    .name:           _ZN9rocsparseL26csrgemm_fill_block_per_rowILj128ELj16ELj256ELj137ELj64Ell21rocsparse_complex_numIfEEEvT5_PKS3_S5_NS_24const_host_device_scalarIT6_EEPKT4_S5_PKS7_SB_S5_SD_S8_SB_S5_SD_SB_PS3_PS7_21rocsparse_index_base_SG_SG_SG_bbb
    .private_segment_fixed_size: 0
    .sgpr_count:     51
    .sgpr_spill_count: 0
    .symbol:         _ZN9rocsparseL26csrgemm_fill_block_per_rowILj128ELj16ELj256ELj137ELj64Ell21rocsparse_complex_numIfEEEvT5_PKS3_S5_NS_24const_host_device_scalarIT6_EEPKT4_S5_PKS7_SB_S5_SD_S8_SB_S5_SD_SB_PS3_PS7_21rocsparse_index_base_SG_SG_SG_bbb.kd
    .uniform_work_group_size: 1
    .uses_dynamic_stack: false
    .vgpr_count:     24
    .vgpr_spill_count: 0
    .wavefront_size: 32
    .workgroup_processor_mode: 1
  - .args:
      - .offset:         0
        .size:           8
        .value_kind:     by_value
      - .actual_access:  read_only
        .address_space:  global
        .offset:         8
        .size:           8
        .value_kind:     global_buffer
      - .actual_access:  read_only
        .address_space:  global
        .offset:         16
        .size:           8
        .value_kind:     global_buffer
      - .offset:         24
        .size:           8
        .value_kind:     by_value
      - .actual_access:  read_only
        .address_space:  global
        .offset:         32
        .size:           8
        .value_kind:     global_buffer
      - .actual_access:  read_only
        .address_space:  global
        .offset:         40
        .size:           8
        .value_kind:     global_buffer
      - .actual_access:  read_only
        .address_space:  global
        .offset:         48
        .size:           8
        .value_kind:     global_buffer
      - .actual_access:  read_only
        .address_space:  global
        .offset:         56
        .size:           8
        .value_kind:     global_buffer
      - .actual_access:  read_only
        .address_space:  global
        .offset:         64
        .size:           8
        .value_kind:     global_buffer
      - .actual_access:  read_only
        .address_space:  global
        .offset:         72
        .size:           8
        .value_kind:     global_buffer
      - .offset:         80
        .size:           8
        .value_kind:     by_value
      - .actual_access:  read_only
        .address_space:  global
        .offset:         88
        .size:           8
        .value_kind:     global_buffer
      - .actual_access:  read_only
        .address_space:  global
        .offset:         96
        .size:           8
        .value_kind:     global_buffer
      - .actual_access:  read_only
        .address_space:  global
        .offset:         104
        .size:           8
        .value_kind:     global_buffer
      - .actual_access:  read_only
        .address_space:  global
        .offset:         112
        .size:           8
        .value_kind:     global_buffer
      - .actual_access:  write_only
        .address_space:  global
        .offset:         120
        .size:           8
        .value_kind:     global_buffer
      - .actual_access:  write_only
        .address_space:  global
        .offset:         128
        .size:           8
        .value_kind:     global_buffer
      - .offset:         136
        .size:           4
        .value_kind:     by_value
      - .offset:         140
        .size:           4
        .value_kind:     by_value
      - .offset:         144
        .size:           4
        .value_kind:     by_value
      - .offset:         148
        .size:           4
        .value_kind:     by_value
      - .offset:         152
        .size:           1
        .value_kind:     by_value
      - .offset:         153
        .size:           1
        .value_kind:     by_value
      - .offset:         154
        .size:           1
        .value_kind:     by_value
    .group_segment_fixed_size: 0
    .kernarg_segment_align: 8
    .kernarg_segment_size: 156
    .language:       OpenCL C
    .language_version:
      - 2
      - 0
    .max_flat_workgroup_size: 256
    .name:           _ZN9rocsparseL26csrgemm_fill_block_per_rowILj256ELj32ELj512ELj137ELj32Ell21rocsparse_complex_numIfEEEvT5_PKS3_S5_NS_24const_host_device_scalarIT6_EEPKT4_S5_PKS7_SB_S5_SD_S8_SB_S5_SD_SB_PS3_PS7_21rocsparse_index_base_SG_SG_SG_bbb
    .private_segment_fixed_size: 0
    .sgpr_count:     51
    .sgpr_spill_count: 0
    .symbol:         _ZN9rocsparseL26csrgemm_fill_block_per_rowILj256ELj32ELj512ELj137ELj32Ell21rocsparse_complex_numIfEEEvT5_PKS3_S5_NS_24const_host_device_scalarIT6_EEPKT4_S5_PKS7_SB_S5_SD_S8_SB_S5_SD_SB_PS3_PS7_21rocsparse_index_base_SG_SG_SG_bbb.kd
    .uniform_work_group_size: 1
    .uses_dynamic_stack: false
    .vgpr_count:     24
    .vgpr_spill_count: 0
    .wavefront_size: 32
    .workgroup_processor_mode: 1
  - .args:
      - .offset:         0
        .size:           8
        .value_kind:     by_value
      - .actual_access:  read_only
        .address_space:  global
        .offset:         8
        .size:           8
        .value_kind:     global_buffer
      - .actual_access:  read_only
        .address_space:  global
        .offset:         16
        .size:           8
        .value_kind:     global_buffer
      - .offset:         24
        .size:           8
        .value_kind:     by_value
      - .actual_access:  read_only
        .address_space:  global
        .offset:         32
        .size:           8
        .value_kind:     global_buffer
      - .actual_access:  read_only
        .address_space:  global
        .offset:         40
        .size:           8
        .value_kind:     global_buffer
      - .actual_access:  read_only
        .address_space:  global
        .offset:         48
        .size:           8
        .value_kind:     global_buffer
      - .actual_access:  read_only
        .address_space:  global
        .offset:         56
        .size:           8
        .value_kind:     global_buffer
      - .actual_access:  read_only
        .address_space:  global
        .offset:         64
        .size:           8
        .value_kind:     global_buffer
      - .actual_access:  read_only
        .address_space:  global
        .offset:         72
        .size:           8
        .value_kind:     global_buffer
      - .offset:         80
        .size:           8
        .value_kind:     by_value
      - .actual_access:  read_only
        .address_space:  global
        .offset:         88
        .size:           8
        .value_kind:     global_buffer
      - .actual_access:  read_only
        .address_space:  global
        .offset:         96
        .size:           8
        .value_kind:     global_buffer
      - .actual_access:  read_only
        .address_space:  global
        .offset:         104
        .size:           8
        .value_kind:     global_buffer
      - .actual_access:  read_only
        .address_space:  global
        .offset:         112
        .size:           8
        .value_kind:     global_buffer
      - .actual_access:  write_only
        .address_space:  global
        .offset:         120
        .size:           8
        .value_kind:     global_buffer
      - .actual_access:  write_only
        .address_space:  global
        .offset:         128
        .size:           8
        .value_kind:     global_buffer
      - .offset:         136
        .size:           4
        .value_kind:     by_value
      - .offset:         140
        .size:           4
        .value_kind:     by_value
      - .offset:         144
        .size:           4
        .value_kind:     by_value
      - .offset:         148
        .size:           4
        .value_kind:     by_value
      - .offset:         152
        .size:           1
        .value_kind:     by_value
      - .offset:         153
        .size:           1
        .value_kind:     by_value
      - .offset:         154
        .size:           1
        .value_kind:     by_value
    .group_segment_fixed_size: 0
    .kernarg_segment_align: 8
    .kernarg_segment_size: 156
    .language:       OpenCL C
    .language_version:
      - 2
      - 0
    .max_flat_workgroup_size: 256
    .name:           _ZN9rocsparseL26csrgemm_fill_block_per_rowILj256ELj32ELj512ELj137ELj64Ell21rocsparse_complex_numIfEEEvT5_PKS3_S5_NS_24const_host_device_scalarIT6_EEPKT4_S5_PKS7_SB_S5_SD_S8_SB_S5_SD_SB_PS3_PS7_21rocsparse_index_base_SG_SG_SG_bbb
    .private_segment_fixed_size: 0
    .sgpr_count:     51
    .sgpr_spill_count: 0
    .symbol:         _ZN9rocsparseL26csrgemm_fill_block_per_rowILj256ELj32ELj512ELj137ELj64Ell21rocsparse_complex_numIfEEEvT5_PKS3_S5_NS_24const_host_device_scalarIT6_EEPKT4_S5_PKS7_SB_S5_SD_S8_SB_S5_SD_SB_PS3_PS7_21rocsparse_index_base_SG_SG_SG_bbb.kd
    .uniform_work_group_size: 1
    .uses_dynamic_stack: false
    .vgpr_count:     24
    .vgpr_spill_count: 0
    .wavefront_size: 32
    .workgroup_processor_mode: 1
  - .args:
      - .offset:         0
        .size:           8
        .value_kind:     by_value
      - .actual_access:  read_only
        .address_space:  global
        .offset:         8
        .size:           8
        .value_kind:     global_buffer
      - .actual_access:  read_only
        .address_space:  global
        .offset:         16
        .size:           8
        .value_kind:     global_buffer
      - .offset:         24
        .size:           8
        .value_kind:     by_value
      - .actual_access:  read_only
        .address_space:  global
        .offset:         32
        .size:           8
        .value_kind:     global_buffer
      - .actual_access:  read_only
        .address_space:  global
        .offset:         40
        .size:           8
        .value_kind:     global_buffer
      - .actual_access:  read_only
        .address_space:  global
        .offset:         48
        .size:           8
        .value_kind:     global_buffer
      - .actual_access:  read_only
        .address_space:  global
        .offset:         56
        .size:           8
        .value_kind:     global_buffer
      - .actual_access:  read_only
        .address_space:  global
        .offset:         64
        .size:           8
        .value_kind:     global_buffer
      - .actual_access:  read_only
        .address_space:  global
        .offset:         72
        .size:           8
        .value_kind:     global_buffer
      - .offset:         80
        .size:           8
        .value_kind:     by_value
      - .actual_access:  read_only
        .address_space:  global
        .offset:         88
        .size:           8
        .value_kind:     global_buffer
      - .actual_access:  read_only
        .address_space:  global
        .offset:         96
        .size:           8
        .value_kind:     global_buffer
      - .actual_access:  read_only
        .address_space:  global
        .offset:         104
        .size:           8
        .value_kind:     global_buffer
      - .actual_access:  read_only
        .address_space:  global
        .offset:         112
        .size:           8
        .value_kind:     global_buffer
      - .actual_access:  write_only
        .address_space:  global
        .offset:         120
        .size:           8
        .value_kind:     global_buffer
      - .actual_access:  write_only
        .address_space:  global
        .offset:         128
        .size:           8
        .value_kind:     global_buffer
      - .offset:         136
        .size:           4
        .value_kind:     by_value
      - .offset:         140
        .size:           4
        .value_kind:     by_value
      - .offset:         144
        .size:           4
        .value_kind:     by_value
      - .offset:         148
        .size:           4
        .value_kind:     by_value
      - .offset:         152
        .size:           1
        .value_kind:     by_value
      - .offset:         153
        .size:           1
        .value_kind:     by_value
      - .offset:         154
        .size:           1
        .value_kind:     by_value
    .group_segment_fixed_size: 0
    .kernarg_segment_align: 8
    .kernarg_segment_size: 156
    .language:       OpenCL C
    .language_version:
      - 2
      - 0
    .max_flat_workgroup_size: 512
    .name:           _ZN9rocsparseL26csrgemm_fill_block_per_rowILj512ELj32ELj1024ELj137ELj32Ell21rocsparse_complex_numIfEEEvT5_PKS3_S5_NS_24const_host_device_scalarIT6_EEPKT4_S5_PKS7_SB_S5_SD_S8_SB_S5_SD_SB_PS3_PS7_21rocsparse_index_base_SG_SG_SG_bbb
    .private_segment_fixed_size: 0
    .sgpr_count:     54
    .sgpr_spill_count: 0
    .symbol:         _ZN9rocsparseL26csrgemm_fill_block_per_rowILj512ELj32ELj1024ELj137ELj32Ell21rocsparse_complex_numIfEEEvT5_PKS3_S5_NS_24const_host_device_scalarIT6_EEPKT4_S5_PKS7_SB_S5_SD_S8_SB_S5_SD_SB_PS3_PS7_21rocsparse_index_base_SG_SG_SG_bbb.kd
    .uniform_work_group_size: 1
    .uses_dynamic_stack: false
    .vgpr_count:     24
    .vgpr_spill_count: 0
    .wavefront_size: 32
    .workgroup_processor_mode: 1
  - .args:
      - .offset:         0
        .size:           8
        .value_kind:     by_value
      - .actual_access:  read_only
        .address_space:  global
        .offset:         8
        .size:           8
        .value_kind:     global_buffer
      - .actual_access:  read_only
        .address_space:  global
        .offset:         16
        .size:           8
        .value_kind:     global_buffer
      - .offset:         24
        .size:           8
        .value_kind:     by_value
      - .actual_access:  read_only
        .address_space:  global
        .offset:         32
        .size:           8
        .value_kind:     global_buffer
      - .actual_access:  read_only
        .address_space:  global
        .offset:         40
        .size:           8
        .value_kind:     global_buffer
      - .actual_access:  read_only
        .address_space:  global
        .offset:         48
        .size:           8
        .value_kind:     global_buffer
      - .actual_access:  read_only
        .address_space:  global
        .offset:         56
        .size:           8
        .value_kind:     global_buffer
      - .actual_access:  read_only
        .address_space:  global
        .offset:         64
        .size:           8
        .value_kind:     global_buffer
      - .actual_access:  read_only
        .address_space:  global
        .offset:         72
        .size:           8
        .value_kind:     global_buffer
      - .offset:         80
        .size:           8
        .value_kind:     by_value
      - .actual_access:  read_only
        .address_space:  global
        .offset:         88
        .size:           8
        .value_kind:     global_buffer
      - .actual_access:  read_only
        .address_space:  global
        .offset:         96
        .size:           8
        .value_kind:     global_buffer
      - .actual_access:  read_only
        .address_space:  global
        .offset:         104
        .size:           8
        .value_kind:     global_buffer
      - .actual_access:  read_only
        .address_space:  global
        .offset:         112
        .size:           8
        .value_kind:     global_buffer
      - .actual_access:  write_only
        .address_space:  global
        .offset:         120
        .size:           8
        .value_kind:     global_buffer
      - .actual_access:  write_only
        .address_space:  global
        .offset:         128
        .size:           8
        .value_kind:     global_buffer
      - .offset:         136
        .size:           4
        .value_kind:     by_value
      - .offset:         140
        .size:           4
        .value_kind:     by_value
      - .offset:         144
        .size:           4
        .value_kind:     by_value
      - .offset:         148
        .size:           4
        .value_kind:     by_value
      - .offset:         152
        .size:           1
        .value_kind:     by_value
      - .offset:         153
        .size:           1
        .value_kind:     by_value
      - .offset:         154
        .size:           1
        .value_kind:     by_value
    .group_segment_fixed_size: 0
    .kernarg_segment_align: 8
    .kernarg_segment_size: 156
    .language:       OpenCL C
    .language_version:
      - 2
      - 0
    .max_flat_workgroup_size: 512
    .name:           _ZN9rocsparseL26csrgemm_fill_block_per_rowILj512ELj32ELj1024ELj137ELj64Ell21rocsparse_complex_numIfEEEvT5_PKS3_S5_NS_24const_host_device_scalarIT6_EEPKT4_S5_PKS7_SB_S5_SD_S8_SB_S5_SD_SB_PS3_PS7_21rocsparse_index_base_SG_SG_SG_bbb
    .private_segment_fixed_size: 0
    .sgpr_count:     50
    .sgpr_spill_count: 0
    .symbol:         _ZN9rocsparseL26csrgemm_fill_block_per_rowILj512ELj32ELj1024ELj137ELj64Ell21rocsparse_complex_numIfEEEvT5_PKS3_S5_NS_24const_host_device_scalarIT6_EEPKT4_S5_PKS7_SB_S5_SD_S8_SB_S5_SD_SB_PS3_PS7_21rocsparse_index_base_SG_SG_SG_bbb.kd
    .uniform_work_group_size: 1
    .uses_dynamic_stack: false
    .vgpr_count:     24
    .vgpr_spill_count: 0
    .wavefront_size: 32
    .workgroup_processor_mode: 1
  - .args:
      - .offset:         0
        .size:           8
        .value_kind:     by_value
      - .actual_access:  read_only
        .address_space:  global
        .offset:         8
        .size:           8
        .value_kind:     global_buffer
      - .actual_access:  read_only
        .address_space:  global
        .offset:         16
        .size:           8
        .value_kind:     global_buffer
      - .offset:         24
        .size:           8
        .value_kind:     by_value
      - .actual_access:  read_only
        .address_space:  global
        .offset:         32
        .size:           8
        .value_kind:     global_buffer
      - .actual_access:  read_only
        .address_space:  global
        .offset:         40
        .size:           8
        .value_kind:     global_buffer
      - .actual_access:  read_only
        .address_space:  global
        .offset:         48
        .size:           8
        .value_kind:     global_buffer
      - .actual_access:  read_only
        .address_space:  global
        .offset:         56
        .size:           8
        .value_kind:     global_buffer
      - .actual_access:  read_only
        .address_space:  global
        .offset:         64
        .size:           8
        .value_kind:     global_buffer
      - .actual_access:  read_only
        .address_space:  global
        .offset:         72
        .size:           8
        .value_kind:     global_buffer
      - .offset:         80
        .size:           8
        .value_kind:     by_value
      - .actual_access:  read_only
        .address_space:  global
        .offset:         88
        .size:           8
        .value_kind:     global_buffer
      - .actual_access:  read_only
        .address_space:  global
        .offset:         96
        .size:           8
        .value_kind:     global_buffer
      - .actual_access:  read_only
        .address_space:  global
        .offset:         104
        .size:           8
        .value_kind:     global_buffer
      - .actual_access:  read_only
        .address_space:  global
        .offset:         112
        .size:           8
        .value_kind:     global_buffer
      - .actual_access:  write_only
        .address_space:  global
        .offset:         120
        .size:           8
        .value_kind:     global_buffer
      - .actual_access:  write_only
        .address_space:  global
        .offset:         128
        .size:           8
        .value_kind:     global_buffer
      - .offset:         136
        .size:           4
        .value_kind:     by_value
      - .offset:         140
        .size:           4
        .value_kind:     by_value
      - .offset:         144
        .size:           4
        .value_kind:     by_value
      - .offset:         148
        .size:           4
        .value_kind:     by_value
      - .offset:         152
        .size:           1
        .value_kind:     by_value
      - .offset:         153
        .size:           1
        .value_kind:     by_value
      - .offset:         154
        .size:           1
        .value_kind:     by_value
    .group_segment_fixed_size: 0
    .kernarg_segment_align: 8
    .kernarg_segment_size: 156
    .language:       OpenCL C
    .language_version:
      - 2
      - 0
    .max_flat_workgroup_size: 1024
    .name:           _ZN9rocsparseL26csrgemm_fill_block_per_rowILj1024ELj32ELj2048ELj137ELj32Ell21rocsparse_complex_numIfEEEvT5_PKS3_S5_NS_24const_host_device_scalarIT6_EEPKT4_S5_PKS7_SB_S5_SD_S8_SB_S5_SD_SB_PS3_PS7_21rocsparse_index_base_SG_SG_SG_bbb
    .private_segment_fixed_size: 0
    .sgpr_count:     54
    .sgpr_spill_count: 0
    .symbol:         _ZN9rocsparseL26csrgemm_fill_block_per_rowILj1024ELj32ELj2048ELj137ELj32Ell21rocsparse_complex_numIfEEEvT5_PKS3_S5_NS_24const_host_device_scalarIT6_EEPKT4_S5_PKS7_SB_S5_SD_S8_SB_S5_SD_SB_PS3_PS7_21rocsparse_index_base_SG_SG_SG_bbb.kd
    .uniform_work_group_size: 1
    .uses_dynamic_stack: false
    .vgpr_count:     24
    .vgpr_spill_count: 0
    .wavefront_size: 32
    .workgroup_processor_mode: 1
  - .args:
      - .offset:         0
        .size:           8
        .value_kind:     by_value
      - .actual_access:  read_only
        .address_space:  global
        .offset:         8
        .size:           8
        .value_kind:     global_buffer
      - .actual_access:  read_only
        .address_space:  global
        .offset:         16
        .size:           8
        .value_kind:     global_buffer
      - .offset:         24
        .size:           8
        .value_kind:     by_value
      - .actual_access:  read_only
        .address_space:  global
        .offset:         32
        .size:           8
        .value_kind:     global_buffer
      - .actual_access:  read_only
        .address_space:  global
        .offset:         40
        .size:           8
        .value_kind:     global_buffer
      - .actual_access:  read_only
        .address_space:  global
        .offset:         48
        .size:           8
        .value_kind:     global_buffer
      - .actual_access:  read_only
        .address_space:  global
        .offset:         56
        .size:           8
        .value_kind:     global_buffer
      - .actual_access:  read_only
        .address_space:  global
        .offset:         64
        .size:           8
        .value_kind:     global_buffer
      - .actual_access:  read_only
        .address_space:  global
        .offset:         72
        .size:           8
        .value_kind:     global_buffer
      - .offset:         80
        .size:           8
        .value_kind:     by_value
      - .actual_access:  read_only
        .address_space:  global
        .offset:         88
        .size:           8
        .value_kind:     global_buffer
      - .actual_access:  read_only
        .address_space:  global
        .offset:         96
        .size:           8
        .value_kind:     global_buffer
      - .actual_access:  read_only
        .address_space:  global
        .offset:         104
        .size:           8
        .value_kind:     global_buffer
      - .actual_access:  read_only
        .address_space:  global
        .offset:         112
        .size:           8
        .value_kind:     global_buffer
      - .actual_access:  write_only
        .address_space:  global
        .offset:         120
        .size:           8
        .value_kind:     global_buffer
      - .actual_access:  write_only
        .address_space:  global
        .offset:         128
        .size:           8
        .value_kind:     global_buffer
      - .offset:         136
        .size:           4
        .value_kind:     by_value
      - .offset:         140
        .size:           4
        .value_kind:     by_value
      - .offset:         144
        .size:           4
        .value_kind:     by_value
      - .offset:         148
        .size:           4
        .value_kind:     by_value
      - .offset:         152
        .size:           1
        .value_kind:     by_value
      - .offset:         153
        .size:           1
        .value_kind:     by_value
      - .offset:         154
        .size:           1
        .value_kind:     by_value
    .group_segment_fixed_size: 0
    .kernarg_segment_align: 8
    .kernarg_segment_size: 156
    .language:       OpenCL C
    .language_version:
      - 2
      - 0
    .max_flat_workgroup_size: 1024
    .name:           _ZN9rocsparseL26csrgemm_fill_block_per_rowILj1024ELj32ELj2048ELj137ELj64Ell21rocsparse_complex_numIfEEEvT5_PKS3_S5_NS_24const_host_device_scalarIT6_EEPKT4_S5_PKS7_SB_S5_SD_S8_SB_S5_SD_SB_PS3_PS7_21rocsparse_index_base_SG_SG_SG_bbb
    .private_segment_fixed_size: 0
    .sgpr_count:     54
    .sgpr_spill_count: 0
    .symbol:         _ZN9rocsparseL26csrgemm_fill_block_per_rowILj1024ELj32ELj2048ELj137ELj64Ell21rocsparse_complex_numIfEEEvT5_PKS3_S5_NS_24const_host_device_scalarIT6_EEPKT4_S5_PKS7_SB_S5_SD_S8_SB_S5_SD_SB_PS3_PS7_21rocsparse_index_base_SG_SG_SG_bbb.kd
    .uniform_work_group_size: 1
    .uses_dynamic_stack: false
    .vgpr_count:     24
    .vgpr_spill_count: 0
    .wavefront_size: 32
    .workgroup_processor_mode: 1
  - .args:
      - .offset:         0
        .size:           8
        .value_kind:     by_value
      - .actual_access:  read_only
        .address_space:  global
        .offset:         8
        .size:           8
        .value_kind:     global_buffer
      - .actual_access:  read_only
        .address_space:  global
        .offset:         16
        .size:           8
        .value_kind:     global_buffer
      - .offset:         24
        .size:           8
        .value_kind:     by_value
      - .actual_access:  read_only
        .address_space:  global
        .offset:         32
        .size:           8
        .value_kind:     global_buffer
      - .actual_access:  read_only
        .address_space:  global
        .offset:         40
        .size:           8
        .value_kind:     global_buffer
      - .actual_access:  read_only
        .address_space:  global
        .offset:         48
        .size:           8
        .value_kind:     global_buffer
      - .actual_access:  read_only
        .address_space:  global
        .offset:         56
        .size:           8
        .value_kind:     global_buffer
      - .actual_access:  read_only
        .address_space:  global
        .offset:         64
        .size:           8
        .value_kind:     global_buffer
      - .actual_access:  read_only
        .address_space:  global
        .offset:         72
        .size:           8
        .value_kind:     global_buffer
      - .offset:         80
        .size:           8
        .value_kind:     by_value
      - .actual_access:  read_only
        .address_space:  global
        .offset:         88
        .size:           8
        .value_kind:     global_buffer
      - .actual_access:  read_only
        .address_space:  global
        .offset:         96
        .size:           8
        .value_kind:     global_buffer
      - .actual_access:  read_only
        .address_space:  global
        .offset:         104
        .size:           8
        .value_kind:     global_buffer
      - .actual_access:  read_only
        .address_space:  global
        .offset:         112
        .size:           8
        .value_kind:     global_buffer
      - .actual_access:  write_only
        .address_space:  global
        .offset:         120
        .size:           8
        .value_kind:     global_buffer
      - .actual_access:  write_only
        .address_space:  global
        .offset:         128
        .size:           8
        .value_kind:     global_buffer
      - .offset:         136
        .size:           4
        .value_kind:     by_value
      - .offset:         140
        .size:           4
        .value_kind:     by_value
      - .offset:         144
        .size:           4
        .value_kind:     by_value
      - .offset:         148
        .size:           4
        .value_kind:     by_value
      - .offset:         152
        .size:           1
        .value_kind:     by_value
      - .offset:         153
        .size:           1
        .value_kind:     by_value
      - .offset:         154
        .size:           1
        .value_kind:     by_value
    .group_segment_fixed_size: 0
    .kernarg_segment_align: 8
    .kernarg_segment_size: 156
    .language:       OpenCL C
    .language_version:
      - 2
      - 0
    .max_flat_workgroup_size: 1024
    .name:           _ZN9rocsparseL26csrgemm_fill_block_per_rowILj1024ELj64ELj4096ELj137ELj32Ell21rocsparse_complex_numIfEEEvT5_PKS3_S5_NS_24const_host_device_scalarIT6_EEPKT4_S5_PKS7_SB_S5_SD_S8_SB_S5_SD_SB_PS3_PS7_21rocsparse_index_base_SG_SG_SG_bbb
    .private_segment_fixed_size: 0
    .sgpr_count:     80
    .sgpr_spill_count: 0
    .symbol:         _ZN9rocsparseL26csrgemm_fill_block_per_rowILj1024ELj64ELj4096ELj137ELj32Ell21rocsparse_complex_numIfEEEvT5_PKS3_S5_NS_24const_host_device_scalarIT6_EEPKT4_S5_PKS7_SB_S5_SD_S8_SB_S5_SD_SB_PS3_PS7_21rocsparse_index_base_SG_SG_SG_bbb.kd
    .uniform_work_group_size: 1
    .uses_dynamic_stack: false
    .vgpr_count:     24
    .vgpr_spill_count: 0
    .wavefront_size: 32
    .workgroup_processor_mode: 1
  - .args:
      - .offset:         0
        .size:           8
        .value_kind:     by_value
      - .actual_access:  read_only
        .address_space:  global
        .offset:         8
        .size:           8
        .value_kind:     global_buffer
      - .actual_access:  read_only
        .address_space:  global
        .offset:         16
        .size:           8
        .value_kind:     global_buffer
      - .offset:         24
        .size:           8
        .value_kind:     by_value
      - .actual_access:  read_only
        .address_space:  global
        .offset:         32
        .size:           8
        .value_kind:     global_buffer
      - .actual_access:  read_only
        .address_space:  global
        .offset:         40
        .size:           8
        .value_kind:     global_buffer
      - .actual_access:  read_only
        .address_space:  global
        .offset:         48
        .size:           8
        .value_kind:     global_buffer
      - .actual_access:  read_only
        .address_space:  global
        .offset:         56
        .size:           8
        .value_kind:     global_buffer
      - .actual_access:  read_only
        .address_space:  global
        .offset:         64
        .size:           8
        .value_kind:     global_buffer
      - .actual_access:  read_only
        .address_space:  global
        .offset:         72
        .size:           8
        .value_kind:     global_buffer
      - .offset:         80
        .size:           8
        .value_kind:     by_value
      - .actual_access:  read_only
        .address_space:  global
        .offset:         88
        .size:           8
        .value_kind:     global_buffer
      - .actual_access:  read_only
        .address_space:  global
        .offset:         96
        .size:           8
        .value_kind:     global_buffer
      - .actual_access:  read_only
        .address_space:  global
        .offset:         104
        .size:           8
        .value_kind:     global_buffer
      - .actual_access:  read_only
        .address_space:  global
        .offset:         112
        .size:           8
        .value_kind:     global_buffer
      - .actual_access:  write_only
        .address_space:  global
        .offset:         120
        .size:           8
        .value_kind:     global_buffer
      - .actual_access:  write_only
        .address_space:  global
        .offset:         128
        .size:           8
        .value_kind:     global_buffer
      - .offset:         136
        .size:           4
        .value_kind:     by_value
      - .offset:         140
        .size:           4
        .value_kind:     by_value
      - .offset:         144
        .size:           4
        .value_kind:     by_value
      - .offset:         148
        .size:           4
        .value_kind:     by_value
      - .offset:         152
        .size:           1
        .value_kind:     by_value
      - .offset:         153
        .size:           1
        .value_kind:     by_value
      - .offset:         154
        .size:           1
        .value_kind:     by_value
    .group_segment_fixed_size: 0
    .kernarg_segment_align: 8
    .kernarg_segment_size: 156
    .language:       OpenCL C
    .language_version:
      - 2
      - 0
    .max_flat_workgroup_size: 1024
    .name:           _ZN9rocsparseL26csrgemm_fill_block_per_rowILj1024ELj64ELj4096ELj137ELj64Ell21rocsparse_complex_numIfEEEvT5_PKS3_S5_NS_24const_host_device_scalarIT6_EEPKT4_S5_PKS7_SB_S5_SD_S8_SB_S5_SD_SB_PS3_PS7_21rocsparse_index_base_SG_SG_SG_bbb
    .private_segment_fixed_size: 0
    .sgpr_count:     50
    .sgpr_spill_count: 0
    .symbol:         _ZN9rocsparseL26csrgemm_fill_block_per_rowILj1024ELj64ELj4096ELj137ELj64Ell21rocsparse_complex_numIfEEEvT5_PKS3_S5_NS_24const_host_device_scalarIT6_EEPKT4_S5_PKS7_SB_S5_SD_S8_SB_S5_SD_SB_PS3_PS7_21rocsparse_index_base_SG_SG_SG_bbb.kd
    .uniform_work_group_size: 1
    .uses_dynamic_stack: false
    .vgpr_count:     24
    .vgpr_spill_count: 0
    .wavefront_size: 32
    .workgroup_processor_mode: 1
  - .args:
      - .offset:         0
        .size:           8
        .value_kind:     by_value
      - .actual_access:  read_only
        .address_space:  global
        .offset:         8
        .size:           8
        .value_kind:     global_buffer
      - .actual_access:  read_only
        .address_space:  global
        .offset:         16
        .size:           8
        .value_kind:     global_buffer
      - .offset:         24
        .size:           8
        .value_kind:     by_value
      - .actual_access:  read_only
        .address_space:  global
        .offset:         32
        .size:           8
        .value_kind:     global_buffer
      - .actual_access:  read_only
        .address_space:  global
        .offset:         40
        .size:           8
        .value_kind:     global_buffer
      - .actual_access:  read_only
        .address_space:  global
        .offset:         48
        .size:           8
        .value_kind:     global_buffer
      - .actual_access:  read_only
        .address_space:  global
        .offset:         56
        .size:           8
        .value_kind:     global_buffer
      - .actual_access:  read_only
        .address_space:  global
        .offset:         64
        .size:           8
        .value_kind:     global_buffer
      - .actual_access:  read_only
        .address_space:  global
        .offset:         72
        .size:           8
        .value_kind:     global_buffer
      - .offset:         80
        .size:           8
        .value_kind:     by_value
      - .actual_access:  read_only
        .address_space:  global
        .offset:         88
        .size:           8
        .value_kind:     global_buffer
      - .actual_access:  read_only
        .address_space:  global
        .offset:         96
        .size:           8
        .value_kind:     global_buffer
      - .actual_access:  read_only
        .address_space:  global
        .offset:         104
        .size:           8
        .value_kind:     global_buffer
      - .actual_access:  read_only
        .address_space:  global
        .offset:         112
        .size:           8
        .value_kind:     global_buffer
      - .actual_access:  write_only
        .address_space:  global
        .offset:         120
        .size:           8
        .value_kind:     global_buffer
      - .actual_access:  write_only
        .address_space:  global
        .offset:         128
        .size:           8
        .value_kind:     global_buffer
      - .offset:         136
        .size:           4
        .value_kind:     by_value
      - .offset:         140
        .size:           4
        .value_kind:     by_value
      - .offset:         144
        .size:           4
        .value_kind:     by_value
      - .offset:         148
        .size:           4
        .value_kind:     by_value
      - .offset:         152
        .size:           1
        .value_kind:     by_value
      - .offset:         153
        .size:           1
        .value_kind:     by_value
      - .offset:         154
        .size:           1
        .value_kind:     by_value
    .group_segment_fixed_size: 0
    .kernarg_segment_align: 8
    .kernarg_segment_size: 156
    .language:       OpenCL C
    .language_version:
      - 2
      - 0
    .max_flat_workgroup_size: 1024
    .name:           _ZN9rocsparseL26csrgemm_fill_block_per_rowILj1024ELj64ELj8192ELj137ELj32Ell21rocsparse_complex_numIfEEEvT5_PKS3_S5_NS_24const_host_device_scalarIT6_EEPKT4_S5_PKS7_SB_S5_SD_S8_SB_S5_SD_SB_PS3_PS7_21rocsparse_index_base_SG_SG_SG_bbb
    .private_segment_fixed_size: 0
    .sgpr_count:     80
    .sgpr_spill_count: 0
    .symbol:         _ZN9rocsparseL26csrgemm_fill_block_per_rowILj1024ELj64ELj8192ELj137ELj32Ell21rocsparse_complex_numIfEEEvT5_PKS3_S5_NS_24const_host_device_scalarIT6_EEPKT4_S5_PKS7_SB_S5_SD_S8_SB_S5_SD_SB_PS3_PS7_21rocsparse_index_base_SG_SG_SG_bbb.kd
    .uniform_work_group_size: 1
    .uses_dynamic_stack: false
    .vgpr_count:     27
    .vgpr_spill_count: 0
    .wavefront_size: 32
    .workgroup_processor_mode: 1
  - .args:
      - .offset:         0
        .size:           8
        .value_kind:     by_value
      - .actual_access:  read_only
        .address_space:  global
        .offset:         8
        .size:           8
        .value_kind:     global_buffer
      - .actual_access:  read_only
        .address_space:  global
        .offset:         16
        .size:           8
        .value_kind:     global_buffer
      - .offset:         24
        .size:           8
        .value_kind:     by_value
      - .actual_access:  read_only
        .address_space:  global
        .offset:         32
        .size:           8
        .value_kind:     global_buffer
      - .actual_access:  read_only
        .address_space:  global
        .offset:         40
        .size:           8
        .value_kind:     global_buffer
      - .actual_access:  read_only
        .address_space:  global
        .offset:         48
        .size:           8
        .value_kind:     global_buffer
      - .actual_access:  read_only
        .address_space:  global
        .offset:         56
        .size:           8
        .value_kind:     global_buffer
      - .actual_access:  read_only
        .address_space:  global
        .offset:         64
        .size:           8
        .value_kind:     global_buffer
      - .actual_access:  read_only
        .address_space:  global
        .offset:         72
        .size:           8
        .value_kind:     global_buffer
      - .offset:         80
        .size:           8
        .value_kind:     by_value
      - .actual_access:  read_only
        .address_space:  global
        .offset:         88
        .size:           8
        .value_kind:     global_buffer
      - .actual_access:  read_only
        .address_space:  global
        .offset:         96
        .size:           8
        .value_kind:     global_buffer
      - .actual_access:  read_only
        .address_space:  global
        .offset:         104
        .size:           8
        .value_kind:     global_buffer
      - .actual_access:  read_only
        .address_space:  global
        .offset:         112
        .size:           8
        .value_kind:     global_buffer
      - .actual_access:  write_only
        .address_space:  global
        .offset:         120
        .size:           8
        .value_kind:     global_buffer
      - .actual_access:  write_only
        .address_space:  global
        .offset:         128
        .size:           8
        .value_kind:     global_buffer
      - .offset:         136
        .size:           4
        .value_kind:     by_value
      - .offset:         140
        .size:           4
        .value_kind:     by_value
      - .offset:         144
        .size:           4
        .value_kind:     by_value
      - .offset:         148
        .size:           4
        .value_kind:     by_value
      - .offset:         152
        .size:           1
        .value_kind:     by_value
      - .offset:         153
        .size:           1
        .value_kind:     by_value
      - .offset:         154
        .size:           1
        .value_kind:     by_value
    .group_segment_fixed_size: 0
    .kernarg_segment_align: 8
    .kernarg_segment_size: 156
    .language:       OpenCL C
    .language_version:
      - 2
      - 0
    .max_flat_workgroup_size: 1024
    .name:           _ZN9rocsparseL26csrgemm_fill_block_per_rowILj1024ELj64ELj8192ELj137ELj64Ell21rocsparse_complex_numIfEEEvT5_PKS3_S5_NS_24const_host_device_scalarIT6_EEPKT4_S5_PKS7_SB_S5_SD_S8_SB_S5_SD_SB_PS3_PS7_21rocsparse_index_base_SG_SG_SG_bbb
    .private_segment_fixed_size: 0
    .sgpr_count:     50
    .sgpr_spill_count: 0
    .symbol:         _ZN9rocsparseL26csrgemm_fill_block_per_rowILj1024ELj64ELj8192ELj137ELj64Ell21rocsparse_complex_numIfEEEvT5_PKS3_S5_NS_24const_host_device_scalarIT6_EEPKT4_S5_PKS7_SB_S5_SD_S8_SB_S5_SD_SB_PS3_PS7_21rocsparse_index_base_SG_SG_SG_bbb.kd
    .uniform_work_group_size: 1
    .uses_dynamic_stack: false
    .vgpr_count:     27
    .vgpr_spill_count: 0
    .wavefront_size: 32
    .workgroup_processor_mode: 1
  - .args:
      - .offset:         0
        .size:           8
        .value_kind:     by_value
      - .actual_access:  read_only
        .address_space:  global
        .offset:         8
        .size:           8
        .value_kind:     global_buffer
      - .actual_access:  read_only
        .address_space:  global
        .offset:         16
        .size:           8
        .value_kind:     global_buffer
      - .offset:         24
        .size:           8
        .value_kind:     by_value
      - .actual_access:  read_only
        .address_space:  global
        .offset:         32
        .size:           8
        .value_kind:     global_buffer
      - .actual_access:  read_only
        .address_space:  global
        .offset:         40
        .size:           8
        .value_kind:     global_buffer
      - .actual_access:  read_only
        .address_space:  global
        .offset:         48
        .size:           8
        .value_kind:     global_buffer
      - .actual_access:  read_only
        .address_space:  global
        .offset:         56
        .size:           8
        .value_kind:     global_buffer
      - .actual_access:  read_only
        .address_space:  global
        .offset:         64
        .size:           8
        .value_kind:     global_buffer
      - .actual_access:  read_only
        .address_space:  global
        .offset:         72
        .size:           8
        .value_kind:     global_buffer
      - .offset:         80
        .size:           8
        .value_kind:     by_value
      - .actual_access:  read_only
        .address_space:  global
        .offset:         88
        .size:           8
        .value_kind:     global_buffer
      - .actual_access:  read_only
        .address_space:  global
        .offset:         96
        .size:           8
        .value_kind:     global_buffer
      - .actual_access:  read_only
        .address_space:  global
        .offset:         104
        .size:           8
        .value_kind:     global_buffer
      - .actual_access:  read_only
        .address_space:  global
        .offset:         112
        .size:           8
        .value_kind:     global_buffer
      - .actual_access:  write_only
        .address_space:  global
        .offset:         120
        .size:           8
        .value_kind:     global_buffer
      - .actual_access:  write_only
        .address_space:  global
        .offset:         128
        .size:           8
        .value_kind:     global_buffer
      - .offset:         136
        .size:           4
        .value_kind:     by_value
      - .offset:         140
        .size:           4
        .value_kind:     by_value
      - .offset:         144
        .size:           4
        .value_kind:     by_value
      - .offset:         148
        .size:           4
        .value_kind:     by_value
      - .offset:         152
        .size:           1
        .value_kind:     by_value
      - .offset:         153
        .size:           1
        .value_kind:     by_value
      - .offset:         154
        .size:           1
        .value_kind:     by_value
    .group_segment_fixed_size: 0
    .kernarg_segment_align: 8
    .kernarg_segment_size: 156
    .language:       OpenCL C
    .language_version:
      - 2
      - 0
    .max_flat_workgroup_size: 1024
    .name:           _ZN9rocsparseL26csrgemm_fill_block_per_rowILj1024ELj64ELj16384ELj137ELj32Ell21rocsparse_complex_numIfEEEvT5_PKS3_S5_NS_24const_host_device_scalarIT6_EEPKT4_S5_PKS7_SB_S5_SD_S8_SB_S5_SD_SB_PS3_PS7_21rocsparse_index_base_SG_SG_SG_bbb
    .private_segment_fixed_size: 0
    .sgpr_count:     80
    .sgpr_spill_count: 0
    .symbol:         _ZN9rocsparseL26csrgemm_fill_block_per_rowILj1024ELj64ELj16384ELj137ELj32Ell21rocsparse_complex_numIfEEEvT5_PKS3_S5_NS_24const_host_device_scalarIT6_EEPKT4_S5_PKS7_SB_S5_SD_S8_SB_S5_SD_SB_PS3_PS7_21rocsparse_index_base_SG_SG_SG_bbb.kd
    .uniform_work_group_size: 1
    .uses_dynamic_stack: false
    .vgpr_count:     24
    .vgpr_spill_count: 0
    .wavefront_size: 32
    .workgroup_processor_mode: 1
  - .args:
      - .offset:         0
        .size:           8
        .value_kind:     by_value
      - .actual_access:  read_only
        .address_space:  global
        .offset:         8
        .size:           8
        .value_kind:     global_buffer
      - .actual_access:  read_only
        .address_space:  global
        .offset:         16
        .size:           8
        .value_kind:     global_buffer
      - .offset:         24
        .size:           8
        .value_kind:     by_value
      - .actual_access:  read_only
        .address_space:  global
        .offset:         32
        .size:           8
        .value_kind:     global_buffer
      - .actual_access:  read_only
        .address_space:  global
        .offset:         40
        .size:           8
        .value_kind:     global_buffer
      - .actual_access:  read_only
        .address_space:  global
        .offset:         48
        .size:           8
        .value_kind:     global_buffer
      - .actual_access:  read_only
        .address_space:  global
        .offset:         56
        .size:           8
        .value_kind:     global_buffer
      - .actual_access:  read_only
        .address_space:  global
        .offset:         64
        .size:           8
        .value_kind:     global_buffer
      - .actual_access:  read_only
        .address_space:  global
        .offset:         72
        .size:           8
        .value_kind:     global_buffer
      - .offset:         80
        .size:           8
        .value_kind:     by_value
      - .actual_access:  read_only
        .address_space:  global
        .offset:         88
        .size:           8
        .value_kind:     global_buffer
      - .actual_access:  read_only
        .address_space:  global
        .offset:         96
        .size:           8
        .value_kind:     global_buffer
      - .actual_access:  read_only
        .address_space:  global
        .offset:         104
        .size:           8
        .value_kind:     global_buffer
      - .actual_access:  read_only
        .address_space:  global
        .offset:         112
        .size:           8
        .value_kind:     global_buffer
      - .actual_access:  write_only
        .address_space:  global
        .offset:         120
        .size:           8
        .value_kind:     global_buffer
      - .actual_access:  write_only
        .address_space:  global
        .offset:         128
        .size:           8
        .value_kind:     global_buffer
      - .offset:         136
        .size:           4
        .value_kind:     by_value
      - .offset:         140
        .size:           4
        .value_kind:     by_value
      - .offset:         144
        .size:           4
        .value_kind:     by_value
      - .offset:         148
        .size:           4
        .value_kind:     by_value
      - .offset:         152
        .size:           1
        .value_kind:     by_value
      - .offset:         153
        .size:           1
        .value_kind:     by_value
      - .offset:         154
        .size:           1
        .value_kind:     by_value
    .group_segment_fixed_size: 0
    .kernarg_segment_align: 8
    .kernarg_segment_size: 156
    .language:       OpenCL C
    .language_version:
      - 2
      - 0
    .max_flat_workgroup_size: 1024
    .name:           _ZN9rocsparseL26csrgemm_fill_block_per_rowILj1024ELj64ELj16384ELj137ELj64Ell21rocsparse_complex_numIfEEEvT5_PKS3_S5_NS_24const_host_device_scalarIT6_EEPKT4_S5_PKS7_SB_S5_SD_S8_SB_S5_SD_SB_PS3_PS7_21rocsparse_index_base_SG_SG_SG_bbb
    .private_segment_fixed_size: 0
    .sgpr_count:     50
    .sgpr_spill_count: 0
    .symbol:         _ZN9rocsparseL26csrgemm_fill_block_per_rowILj1024ELj64ELj16384ELj137ELj64Ell21rocsparse_complex_numIfEEEvT5_PKS3_S5_NS_24const_host_device_scalarIT6_EEPKT4_S5_PKS7_SB_S5_SD_S8_SB_S5_SD_SB_PS3_PS7_21rocsparse_index_base_SG_SG_SG_bbb.kd
    .uniform_work_group_size: 1
    .uses_dynamic_stack: false
    .vgpr_count:     24
    .vgpr_spill_count: 0
    .wavefront_size: 32
    .workgroup_processor_mode: 1
  - .args:
      - .offset:         0
        .size:           8
        .value_kind:     by_value
      - .actual_access:  read_only
        .address_space:  global
        .offset:         8
        .size:           8
        .value_kind:     global_buffer
      - .actual_access:  read_only
        .address_space:  global
        .offset:         16
        .size:           8
        .value_kind:     global_buffer
      - .offset:         24
        .size:           8
        .value_kind:     by_value
      - .actual_access:  read_only
        .address_space:  global
        .offset:         32
        .size:           8
        .value_kind:     global_buffer
      - .actual_access:  read_only
        .address_space:  global
        .offset:         40
        .size:           8
        .value_kind:     global_buffer
      - .actual_access:  read_only
        .address_space:  global
        .offset:         48
        .size:           8
        .value_kind:     global_buffer
      - .actual_access:  read_only
        .address_space:  global
        .offset:         56
        .size:           8
        .value_kind:     global_buffer
      - .actual_access:  read_only
        .address_space:  global
        .offset:         64
        .size:           8
        .value_kind:     global_buffer
      - .actual_access:  read_only
        .address_space:  global
        .offset:         72
        .size:           8
        .value_kind:     global_buffer
      - .offset:         80
        .size:           8
        .value_kind:     by_value
      - .actual_access:  read_only
        .address_space:  global
        .offset:         88
        .size:           8
        .value_kind:     global_buffer
      - .actual_access:  read_only
        .address_space:  global
        .offset:         96
        .size:           8
        .value_kind:     global_buffer
      - .actual_access:  read_only
        .address_space:  global
        .offset:         104
        .size:           8
        .value_kind:     global_buffer
      - .actual_access:  read_only
        .address_space:  global
        .offset:         112
        .size:           8
        .value_kind:     global_buffer
      - .actual_access:  write_only
        .address_space:  global
        .offset:         120
        .size:           8
        .value_kind:     global_buffer
      - .actual_access:  write_only
        .address_space:  global
        .offset:         128
        .size:           8
        .value_kind:     global_buffer
      - .offset:         136
        .size:           4
        .value_kind:     by_value
      - .offset:         140
        .size:           4
        .value_kind:     by_value
      - .offset:         144
        .size:           4
        .value_kind:     by_value
      - .offset:         148
        .size:           4
        .value_kind:     by_value
      - .offset:         152
        .size:           1
        .value_kind:     by_value
      - .offset:         153
        .size:           1
        .value_kind:     by_value
      - .offset:         154
        .size:           1
        .value_kind:     by_value
    .group_segment_fixed_size: 0
    .kernarg_segment_align: 8
    .kernarg_segment_size: 156
    .language:       OpenCL C
    .language_version:
      - 2
      - 0
    .max_flat_workgroup_size: 1024
    .name:           _ZN9rocsparseL26csrgemm_fill_block_per_rowILj1024ELj64ELj32768ELj137ELj32Ell21rocsparse_complex_numIfEEEvT5_PKS3_S5_NS_24const_host_device_scalarIT6_EEPKT4_S5_PKS7_SB_S5_SD_S8_SB_S5_SD_SB_PS3_PS7_21rocsparse_index_base_SG_SG_SG_bbb
    .private_segment_fixed_size: 0
    .sgpr_count:     80
    .sgpr_spill_count: 0
    .symbol:         _ZN9rocsparseL26csrgemm_fill_block_per_rowILj1024ELj64ELj32768ELj137ELj32Ell21rocsparse_complex_numIfEEEvT5_PKS3_S5_NS_24const_host_device_scalarIT6_EEPKT4_S5_PKS7_SB_S5_SD_S8_SB_S5_SD_SB_PS3_PS7_21rocsparse_index_base_SG_SG_SG_bbb.kd
    .uniform_work_group_size: 1
    .uses_dynamic_stack: false
    .vgpr_count:     24
    .vgpr_spill_count: 0
    .wavefront_size: 32
    .workgroup_processor_mode: 1
  - .args:
      - .offset:         0
        .size:           8
        .value_kind:     by_value
      - .actual_access:  read_only
        .address_space:  global
        .offset:         8
        .size:           8
        .value_kind:     global_buffer
      - .actual_access:  read_only
        .address_space:  global
        .offset:         16
        .size:           8
        .value_kind:     global_buffer
      - .offset:         24
        .size:           8
        .value_kind:     by_value
      - .actual_access:  read_only
        .address_space:  global
        .offset:         32
        .size:           8
        .value_kind:     global_buffer
      - .actual_access:  read_only
        .address_space:  global
        .offset:         40
        .size:           8
        .value_kind:     global_buffer
      - .actual_access:  read_only
        .address_space:  global
        .offset:         48
        .size:           8
        .value_kind:     global_buffer
      - .actual_access:  read_only
        .address_space:  global
        .offset:         56
        .size:           8
        .value_kind:     global_buffer
      - .actual_access:  read_only
        .address_space:  global
        .offset:         64
        .size:           8
        .value_kind:     global_buffer
      - .actual_access:  read_only
        .address_space:  global
        .offset:         72
        .size:           8
        .value_kind:     global_buffer
      - .offset:         80
        .size:           8
        .value_kind:     by_value
      - .actual_access:  read_only
        .address_space:  global
        .offset:         88
        .size:           8
        .value_kind:     global_buffer
      - .actual_access:  read_only
        .address_space:  global
        .offset:         96
        .size:           8
        .value_kind:     global_buffer
      - .actual_access:  read_only
        .address_space:  global
        .offset:         104
        .size:           8
        .value_kind:     global_buffer
      - .actual_access:  read_only
        .address_space:  global
        .offset:         112
        .size:           8
        .value_kind:     global_buffer
      - .actual_access:  write_only
        .address_space:  global
        .offset:         120
        .size:           8
        .value_kind:     global_buffer
      - .actual_access:  write_only
        .address_space:  global
        .offset:         128
        .size:           8
        .value_kind:     global_buffer
      - .offset:         136
        .size:           4
        .value_kind:     by_value
      - .offset:         140
        .size:           4
        .value_kind:     by_value
      - .offset:         144
        .size:           4
        .value_kind:     by_value
      - .offset:         148
        .size:           4
        .value_kind:     by_value
      - .offset:         152
        .size:           1
        .value_kind:     by_value
      - .offset:         153
        .size:           1
        .value_kind:     by_value
      - .offset:         154
        .size:           1
        .value_kind:     by_value
    .group_segment_fixed_size: 0
    .kernarg_segment_align: 8
    .kernarg_segment_size: 156
    .language:       OpenCL C
    .language_version:
      - 2
      - 0
    .max_flat_workgroup_size: 1024
    .name:           _ZN9rocsparseL26csrgemm_fill_block_per_rowILj1024ELj64ELj32768ELj137ELj64Ell21rocsparse_complex_numIfEEEvT5_PKS3_S5_NS_24const_host_device_scalarIT6_EEPKT4_S5_PKS7_SB_S5_SD_S8_SB_S5_SD_SB_PS3_PS7_21rocsparse_index_base_SG_SG_SG_bbb
    .private_segment_fixed_size: 0
    .sgpr_count:     50
    .sgpr_spill_count: 0
    .symbol:         _ZN9rocsparseL26csrgemm_fill_block_per_rowILj1024ELj64ELj32768ELj137ELj64Ell21rocsparse_complex_numIfEEEvT5_PKS3_S5_NS_24const_host_device_scalarIT6_EEPKT4_S5_PKS7_SB_S5_SD_S8_SB_S5_SD_SB_PS3_PS7_21rocsparse_index_base_SG_SG_SG_bbb.kd
    .uniform_work_group_size: 1
    .uses_dynamic_stack: false
    .vgpr_count:     24
    .vgpr_spill_count: 0
    .wavefront_size: 32
    .workgroup_processor_mode: 1
  - .args:
      - .offset:         0
        .size:           8
        .value_kind:     by_value
      - .actual_access:  read_only
        .address_space:  global
        .offset:         8
        .size:           8
        .value_kind:     global_buffer
      - .actual_access:  read_only
        .address_space:  global
        .offset:         16
        .size:           8
        .value_kind:     global_buffer
      - .offset:         24
        .size:           8
        .value_kind:     by_value
      - .actual_access:  read_only
        .address_space:  global
        .offset:         32
        .size:           8
        .value_kind:     global_buffer
      - .actual_access:  read_only
        .address_space:  global
        .offset:         40
        .size:           8
        .value_kind:     global_buffer
      - .actual_access:  read_only
        .address_space:  global
        .offset:         48
        .size:           8
        .value_kind:     global_buffer
      - .actual_access:  read_only
        .address_space:  global
        .offset:         56
        .size:           8
        .value_kind:     global_buffer
      - .actual_access:  read_only
        .address_space:  global
        .offset:         64
        .size:           8
        .value_kind:     global_buffer
      - .actual_access:  read_only
        .address_space:  global
        .offset:         72
        .size:           8
        .value_kind:     global_buffer
      - .offset:         80
        .size:           8
        .value_kind:     by_value
      - .actual_access:  read_only
        .address_space:  global
        .offset:         88
        .size:           8
        .value_kind:     global_buffer
      - .actual_access:  read_only
        .address_space:  global
        .offset:         96
        .size:           8
        .value_kind:     global_buffer
      - .actual_access:  read_only
        .address_space:  global
        .offset:         104
        .size:           8
        .value_kind:     global_buffer
      - .actual_access:  read_only
        .address_space:  global
        .offset:         112
        .size:           8
        .value_kind:     global_buffer
      - .actual_access:  write_only
        .address_space:  global
        .offset:         120
        .size:           8
        .value_kind:     global_buffer
      - .actual_access:  write_only
        .address_space:  global
        .offset:         128
        .size:           8
        .value_kind:     global_buffer
      - .address_space:  global
        .offset:         136
        .size:           8
        .value_kind:     global_buffer
      - .offset:         144
        .size:           4
        .value_kind:     by_value
      - .offset:         148
        .size:           4
        .value_kind:     by_value
      - .offset:         152
        .size:           4
        .value_kind:     by_value
      - .offset:         156
        .size:           4
        .value_kind:     by_value
      - .offset:         160
        .size:           1
        .value_kind:     by_value
      - .offset:         161
        .size:           1
        .value_kind:     by_value
      - .offset:         162
        .size:           1
        .value_kind:     by_value
    .group_segment_fixed_size: 18440
    .kernarg_segment_align: 8
    .kernarg_segment_size: 164
    .language:       OpenCL C
    .language_version:
      - 2
      - 0
    .max_flat_workgroup_size: 512
    .name:           _ZN9rocsparseL36csrgemm_fill_block_per_row_multipassILj512ELj16ELj2048ELj32Ell21rocsparse_complex_numIfEEEvT4_PKS3_S5_NS_24const_host_device_scalarIT5_EEPKT3_S5_PKS7_SB_S5_SD_S8_SB_S5_SD_SB_PS3_PS7_PS9_21rocsparse_index_base_SH_SH_SH_bbb
    .private_segment_fixed_size: 0
    .sgpr_count:     70
    .sgpr_spill_count: 0
    .symbol:         _ZN9rocsparseL36csrgemm_fill_block_per_row_multipassILj512ELj16ELj2048ELj32Ell21rocsparse_complex_numIfEEEvT4_PKS3_S5_NS_24const_host_device_scalarIT5_EEPKT3_S5_PKS7_SB_S5_SD_S8_SB_S5_SD_SB_PS3_PS7_PS9_21rocsparse_index_base_SH_SH_SH_bbb.kd
    .uniform_work_group_size: 1
    .uses_dynamic_stack: false
    .vgpr_count:     49
    .vgpr_spill_count: 0
    .wavefront_size: 32
    .workgroup_processor_mode: 1
  - .args:
      - .offset:         0
        .size:           8
        .value_kind:     by_value
      - .actual_access:  read_only
        .address_space:  global
        .offset:         8
        .size:           8
        .value_kind:     global_buffer
      - .actual_access:  read_only
        .address_space:  global
        .offset:         16
        .size:           8
        .value_kind:     global_buffer
      - .offset:         24
        .size:           8
        .value_kind:     by_value
      - .actual_access:  read_only
        .address_space:  global
        .offset:         32
        .size:           8
        .value_kind:     global_buffer
      - .actual_access:  read_only
        .address_space:  global
        .offset:         40
        .size:           8
        .value_kind:     global_buffer
      - .actual_access:  read_only
        .address_space:  global
        .offset:         48
        .size:           8
        .value_kind:     global_buffer
      - .actual_access:  read_only
        .address_space:  global
        .offset:         56
        .size:           8
        .value_kind:     global_buffer
      - .actual_access:  read_only
        .address_space:  global
        .offset:         64
        .size:           8
        .value_kind:     global_buffer
      - .actual_access:  read_only
        .address_space:  global
        .offset:         72
        .size:           8
        .value_kind:     global_buffer
      - .offset:         80
        .size:           8
        .value_kind:     by_value
      - .actual_access:  read_only
        .address_space:  global
        .offset:         88
        .size:           8
        .value_kind:     global_buffer
      - .actual_access:  read_only
        .address_space:  global
        .offset:         96
        .size:           8
        .value_kind:     global_buffer
      - .actual_access:  read_only
        .address_space:  global
        .offset:         104
        .size:           8
        .value_kind:     global_buffer
      - .actual_access:  read_only
        .address_space:  global
        .offset:         112
        .size:           8
        .value_kind:     global_buffer
      - .actual_access:  write_only
        .address_space:  global
        .offset:         120
        .size:           8
        .value_kind:     global_buffer
      - .actual_access:  write_only
        .address_space:  global
        .offset:         128
        .size:           8
        .value_kind:     global_buffer
      - .address_space:  global
        .offset:         136
        .size:           8
        .value_kind:     global_buffer
      - .offset:         144
        .size:           4
        .value_kind:     by_value
      - .offset:         148
        .size:           4
        .value_kind:     by_value
      - .offset:         152
        .size:           4
        .value_kind:     by_value
      - .offset:         156
        .size:           4
        .value_kind:     by_value
      - .offset:         160
        .size:           1
        .value_kind:     by_value
      - .offset:         161
        .size:           1
        .value_kind:     by_value
      - .offset:         162
        .size:           1
        .value_kind:     by_value
    .group_segment_fixed_size: 18440
    .kernarg_segment_align: 8
    .kernarg_segment_size: 164
    .language:       OpenCL C
    .language_version:
      - 2
      - 0
    .max_flat_workgroup_size: 512
    .name:           _ZN9rocsparseL36csrgemm_fill_block_per_row_multipassILj512ELj16ELj2048ELj64Ell21rocsparse_complex_numIfEEEvT4_PKS3_S5_NS_24const_host_device_scalarIT5_EEPKT3_S5_PKS7_SB_S5_SD_S8_SB_S5_SD_SB_PS3_PS7_PS9_21rocsparse_index_base_SH_SH_SH_bbb
    .private_segment_fixed_size: 0
    .sgpr_count:     62
    .sgpr_spill_count: 0
    .symbol:         _ZN9rocsparseL36csrgemm_fill_block_per_row_multipassILj512ELj16ELj2048ELj64Ell21rocsparse_complex_numIfEEEvT4_PKS3_S5_NS_24const_host_device_scalarIT5_EEPKT3_S5_PKS7_SB_S5_SD_S8_SB_S5_SD_SB_PS3_PS7_PS9_21rocsparse_index_base_SH_SH_SH_bbb.kd
    .uniform_work_group_size: 1
    .uses_dynamic_stack: false
    .vgpr_count:     49
    .vgpr_spill_count: 0
    .wavefront_size: 32
    .workgroup_processor_mode: 1
  - .args:
      - .offset:         0
        .size:           8
        .value_kind:     by_value
      - .actual_access:  read_only
        .address_space:  global
        .offset:         8
        .size:           8
        .value_kind:     global_buffer
      - .actual_access:  write_only
        .address_space:  global
        .offset:         16
        .size:           8
        .value_kind:     global_buffer
      - .actual_access:  write_only
        .address_space:  global
        .offset:         24
        .size:           8
        .value_kind:     global_buffer
      - .offset:         32
        .size:           4
        .value_kind:     by_value
      - .offset:         40
        .size:           4
        .value_kind:     hidden_block_count_x
      - .offset:         44
        .size:           4
        .value_kind:     hidden_block_count_y
      - .offset:         48
        .size:           4
        .value_kind:     hidden_block_count_z
      - .offset:         52
        .size:           2
        .value_kind:     hidden_group_size_x
      - .offset:         54
        .size:           2
        .value_kind:     hidden_group_size_y
      - .offset:         56
        .size:           2
        .value_kind:     hidden_group_size_z
      - .offset:         58
        .size:           2
        .value_kind:     hidden_remainder_x
      - .offset:         60
        .size:           2
        .value_kind:     hidden_remainder_y
      - .offset:         62
        .size:           2
        .value_kind:     hidden_remainder_z
      - .offset:         80
        .size:           8
        .value_kind:     hidden_global_offset_x
      - .offset:         88
        .size:           8
        .value_kind:     hidden_global_offset_y
      - .offset:         96
        .size:           8
        .value_kind:     hidden_global_offset_z
      - .offset:         104
        .size:           2
        .value_kind:     hidden_grid_dims
    .group_segment_fixed_size: 22528
    .kernarg_segment_align: 8
    .kernarg_segment_size: 296
    .language:       OpenCL C
    .language_version:
      - 2
      - 0
    .max_flat_workgroup_size: 256
    .name:           _ZN9rocsparseL26csrgemm_group_reduce_part2ILj256ELj11E21rocsparse_complex_numIdEllEEvT3_PKT2_PS3_Pij
    .private_segment_fixed_size: 0
    .sgpr_count:     29
    .sgpr_spill_count: 0
    .symbol:         _ZN9rocsparseL26csrgemm_group_reduce_part2ILj256ELj11E21rocsparse_complex_numIdEllEEvT3_PKT2_PS3_Pij.kd
    .uniform_work_group_size: 1
    .uses_dynamic_stack: false
    .vgpr_count:     43
    .vgpr_spill_count: 0
    .wavefront_size: 32
    .workgroup_processor_mode: 1
  - .args:
      - .offset:         0
        .size:           8
        .value_kind:     by_value
      - .offset:         8
        .size:           8
        .value_kind:     by_value
      - .actual_access:  read_only
        .address_space:  global
        .offset:         16
        .size:           8
        .value_kind:     global_buffer
      - .actual_access:  read_only
        .address_space:  global
        .offset:         24
        .size:           8
        .value_kind:     global_buffer
      - .offset:         32
        .size:           16
        .value_kind:     by_value
      - .actual_access:  read_only
        .address_space:  global
        .offset:         48
        .size:           8
        .value_kind:     global_buffer
      - .actual_access:  read_only
        .address_space:  global
        .offset:         56
        .size:           8
        .value_kind:     global_buffer
      - .actual_access:  read_only
        .address_space:  global
        .offset:         64
        .size:           8
        .value_kind:     global_buffer
      - .actual_access:  read_only
        .address_space:  global
        .offset:         72
        .size:           8
        .value_kind:     global_buffer
      - .actual_access:  read_only
        .address_space:  global
        .offset:         80
        .size:           8
        .value_kind:     global_buffer
      - .actual_access:  read_only
        .address_space:  global
        .offset:         88
        .size:           8
        .value_kind:     global_buffer
      - .offset:         96
        .size:           16
        .value_kind:     by_value
      - .actual_access:  read_only
        .address_space:  global
        .offset:         112
        .size:           8
        .value_kind:     global_buffer
      - .actual_access:  read_only
        .address_space:  global
        .offset:         120
        .size:           8
        .value_kind:     global_buffer
      - .actual_access:  read_only
        .address_space:  global
        .offset:         128
        .size:           8
        .value_kind:     global_buffer
      - .actual_access:  read_only
        .address_space:  global
        .offset:         136
        .size:           8
        .value_kind:     global_buffer
      - .actual_access:  write_only
        .address_space:  global
        .offset:         144
        .size:           8
        .value_kind:     global_buffer
      - .actual_access:  write_only
        .address_space:  global
        .offset:         152
        .size:           8
        .value_kind:     global_buffer
      - .offset:         160
        .size:           4
        .value_kind:     by_value
      - .offset:         164
        .size:           4
        .value_kind:     by_value
      - .offset:         168
        .size:           4
        .value_kind:     by_value
      - .offset:         172
        .size:           4
        .value_kind:     by_value
      - .offset:         176
        .size:           1
        .value_kind:     by_value
      - .offset:         177
        .size:           1
        .value_kind:     by_value
      - .offset:         178
        .size:           1
        .value_kind:     by_value
    .group_segment_fixed_size: 16384
    .kernarg_segment_align: 8
    .kernarg_segment_size: 180
    .language:       OpenCL C
    .language_version:
      - 2
      - 0
    .max_flat_workgroup_size: 256
    .name:           _ZN9rocsparseL23csrgemm_fill_wf_per_rowILj256ELj8ELj16ELj137Ell21rocsparse_complex_numIdEEEvT4_S3_PKS3_S5_NS_24const_host_device_scalarIT5_EEPKT3_S5_PKS7_SB_S5_SD_S8_SB_S5_SD_SB_PS3_PS7_21rocsparse_index_base_SG_SG_SG_bbb
    .private_segment_fixed_size: 0
    .sgpr_count:     50
    .sgpr_spill_count: 0
    .symbol:         _ZN9rocsparseL23csrgemm_fill_wf_per_rowILj256ELj8ELj16ELj137Ell21rocsparse_complex_numIdEEEvT4_S3_PKS3_S5_NS_24const_host_device_scalarIT5_EEPKT3_S5_PKS7_SB_S5_SD_S8_SB_S5_SD_SB_PS3_PS7_21rocsparse_index_base_SG_SG_SG_bbb.kd
    .uniform_work_group_size: 1
    .uses_dynamic_stack: false
    .vgpr_count:     42
    .vgpr_spill_count: 0
    .wavefront_size: 32
    .workgroup_processor_mode: 1
  - .args:
      - .offset:         0
        .size:           8
        .value_kind:     by_value
      - .offset:         8
        .size:           8
        .value_kind:     by_value
      - .actual_access:  read_only
        .address_space:  global
        .offset:         16
        .size:           8
        .value_kind:     global_buffer
      - .actual_access:  read_only
        .address_space:  global
        .offset:         24
        .size:           8
        .value_kind:     global_buffer
      - .offset:         32
        .size:           16
        .value_kind:     by_value
      - .actual_access:  read_only
        .address_space:  global
        .offset:         48
        .size:           8
        .value_kind:     global_buffer
      - .actual_access:  read_only
        .address_space:  global
        .offset:         56
        .size:           8
        .value_kind:     global_buffer
      - .actual_access:  read_only
        .address_space:  global
        .offset:         64
        .size:           8
        .value_kind:     global_buffer
      - .actual_access:  read_only
        .address_space:  global
        .offset:         72
        .size:           8
        .value_kind:     global_buffer
      - .actual_access:  read_only
        .address_space:  global
        .offset:         80
        .size:           8
        .value_kind:     global_buffer
      - .actual_access:  read_only
        .address_space:  global
        .offset:         88
        .size:           8
        .value_kind:     global_buffer
      - .offset:         96
        .size:           16
        .value_kind:     by_value
      - .actual_access:  read_only
        .address_space:  global
        .offset:         112
        .size:           8
        .value_kind:     global_buffer
      - .actual_access:  read_only
        .address_space:  global
        .offset:         120
        .size:           8
        .value_kind:     global_buffer
      - .actual_access:  read_only
        .address_space:  global
        .offset:         128
        .size:           8
        .value_kind:     global_buffer
      - .actual_access:  read_only
        .address_space:  global
        .offset:         136
        .size:           8
        .value_kind:     global_buffer
      - .actual_access:  write_only
        .address_space:  global
        .offset:         144
        .size:           8
        .value_kind:     global_buffer
      - .actual_access:  write_only
        .address_space:  global
        .offset:         152
        .size:           8
        .value_kind:     global_buffer
      - .offset:         160
        .size:           4
        .value_kind:     by_value
      - .offset:         164
        .size:           4
        .value_kind:     by_value
      - .offset:         168
        .size:           4
        .value_kind:     by_value
      - .offset:         172
        .size:           4
        .value_kind:     by_value
      - .offset:         176
        .size:           1
        .value_kind:     by_value
      - .offset:         177
        .size:           1
        .value_kind:     by_value
      - .offset:         178
        .size:           1
        .value_kind:     by_value
    .group_segment_fixed_size: 16384
    .kernarg_segment_align: 8
    .kernarg_segment_size: 180
    .language:       OpenCL C
    .language_version:
      - 2
      - 0
    .max_flat_workgroup_size: 256
    .name:           _ZN9rocsparseL23csrgemm_fill_wf_per_rowILj256ELj16ELj32ELj137Ell21rocsparse_complex_numIdEEEvT4_S3_PKS3_S5_NS_24const_host_device_scalarIT5_EEPKT3_S5_PKS7_SB_S5_SD_S8_SB_S5_SD_SB_PS3_PS7_21rocsparse_index_base_SG_SG_SG_bbb
    .private_segment_fixed_size: 0
    .sgpr_count:     50
    .sgpr_spill_count: 0
    .symbol:         _ZN9rocsparseL23csrgemm_fill_wf_per_rowILj256ELj16ELj32ELj137Ell21rocsparse_complex_numIdEEEvT4_S3_PKS3_S5_NS_24const_host_device_scalarIT5_EEPKT3_S5_PKS7_SB_S5_SD_S8_SB_S5_SD_SB_PS3_PS7_21rocsparse_index_base_SG_SG_SG_bbb.kd
    .uniform_work_group_size: 1
    .uses_dynamic_stack: false
    .vgpr_count:     42
    .vgpr_spill_count: 0
    .wavefront_size: 32
    .workgroup_processor_mode: 1
  - .args:
      - .offset:         0
        .size:           8
        .value_kind:     by_value
      - .actual_access:  read_only
        .address_space:  global
        .offset:         8
        .size:           8
        .value_kind:     global_buffer
      - .actual_access:  read_only
        .address_space:  global
        .offset:         16
        .size:           8
        .value_kind:     global_buffer
      - .offset:         24
        .size:           16
        .value_kind:     by_value
      - .actual_access:  read_only
        .address_space:  global
        .offset:         40
        .size:           8
        .value_kind:     global_buffer
      - .actual_access:  read_only
        .address_space:  global
        .offset:         48
        .size:           8
        .value_kind:     global_buffer
      - .actual_access:  read_only
        .address_space:  global
        .offset:         56
        .size:           8
        .value_kind:     global_buffer
      - .actual_access:  read_only
        .address_space:  global
        .offset:         64
        .size:           8
        .value_kind:     global_buffer
      - .actual_access:  read_only
        .address_space:  global
        .offset:         72
        .size:           8
        .value_kind:     global_buffer
      - .actual_access:  read_only
        .address_space:  global
        .offset:         80
        .size:           8
        .value_kind:     global_buffer
      - .offset:         88
        .size:           16
        .value_kind:     by_value
      - .actual_access:  read_only
        .address_space:  global
        .offset:         104
        .size:           8
        .value_kind:     global_buffer
      - .actual_access:  read_only
        .address_space:  global
        .offset:         112
        .size:           8
        .value_kind:     global_buffer
      - .actual_access:  read_only
        .address_space:  global
        .offset:         120
        .size:           8
        .value_kind:     global_buffer
      - .actual_access:  read_only
        .address_space:  global
        .offset:         128
        .size:           8
        .value_kind:     global_buffer
      - .actual_access:  write_only
        .address_space:  global
        .offset:         136
        .size:           8
        .value_kind:     global_buffer
      - .actual_access:  write_only
        .address_space:  global
        .offset:         144
        .size:           8
        .value_kind:     global_buffer
      - .offset:         152
        .size:           4
        .value_kind:     by_value
      - .offset:         156
        .size:           4
        .value_kind:     by_value
      - .offset:         160
        .size:           4
        .value_kind:     by_value
      - .offset:         164
        .size:           4
        .value_kind:     by_value
      - .offset:         168
        .size:           1
        .value_kind:     by_value
      - .offset:         169
        .size:           1
        .value_kind:     by_value
      - .offset:         170
        .size:           1
        .value_kind:     by_value
    .group_segment_fixed_size: 0
    .kernarg_segment_align: 8
    .kernarg_segment_size: 172
    .language:       OpenCL C
    .language_version:
      - 2
      - 0
    .max_flat_workgroup_size: 128
    .name:           _ZN9rocsparseL26csrgemm_fill_block_per_rowILj128ELj16ELj256ELj137ELj32Ell21rocsparse_complex_numIdEEEvT5_PKS3_S5_NS_24const_host_device_scalarIT6_EEPKT4_S5_PKS7_SB_S5_SD_S8_SB_S5_SD_SB_PS3_PS7_21rocsparse_index_base_SG_SG_SG_bbb
    .private_segment_fixed_size: 40
    .sgpr_count:     48
    .sgpr_spill_count: 0
    .symbol:         _ZN9rocsparseL26csrgemm_fill_block_per_rowILj128ELj16ELj256ELj137ELj32Ell21rocsparse_complex_numIdEEEvT5_PKS3_S5_NS_24const_host_device_scalarIT6_EEPKT4_S5_PKS7_SB_S5_SD_S8_SB_S5_SD_SB_PS3_PS7_21rocsparse_index_base_SG_SG_SG_bbb.kd
    .uniform_work_group_size: 1
    .uses_dynamic_stack: false
    .vgpr_count:     36
    .vgpr_spill_count: 0
    .wavefront_size: 32
    .workgroup_processor_mode: 1
  - .args:
      - .offset:         0
        .size:           8
        .value_kind:     by_value
      - .actual_access:  read_only
        .address_space:  global
        .offset:         8
        .size:           8
        .value_kind:     global_buffer
      - .actual_access:  read_only
        .address_space:  global
        .offset:         16
        .size:           8
        .value_kind:     global_buffer
      - .offset:         24
        .size:           16
        .value_kind:     by_value
      - .actual_access:  read_only
        .address_space:  global
        .offset:         40
        .size:           8
        .value_kind:     global_buffer
      - .actual_access:  read_only
        .address_space:  global
        .offset:         48
        .size:           8
        .value_kind:     global_buffer
      - .actual_access:  read_only
        .address_space:  global
        .offset:         56
        .size:           8
        .value_kind:     global_buffer
      - .actual_access:  read_only
        .address_space:  global
        .offset:         64
        .size:           8
        .value_kind:     global_buffer
      - .actual_access:  read_only
        .address_space:  global
        .offset:         72
        .size:           8
        .value_kind:     global_buffer
      - .actual_access:  read_only
        .address_space:  global
        .offset:         80
        .size:           8
        .value_kind:     global_buffer
      - .offset:         88
        .size:           16
        .value_kind:     by_value
      - .actual_access:  read_only
        .address_space:  global
        .offset:         104
        .size:           8
        .value_kind:     global_buffer
      - .actual_access:  read_only
        .address_space:  global
        .offset:         112
        .size:           8
        .value_kind:     global_buffer
      - .actual_access:  read_only
        .address_space:  global
        .offset:         120
        .size:           8
        .value_kind:     global_buffer
      - .actual_access:  read_only
        .address_space:  global
        .offset:         128
        .size:           8
        .value_kind:     global_buffer
      - .actual_access:  write_only
        .address_space:  global
        .offset:         136
        .size:           8
        .value_kind:     global_buffer
      - .actual_access:  write_only
        .address_space:  global
        .offset:         144
        .size:           8
        .value_kind:     global_buffer
      - .offset:         152
        .size:           4
        .value_kind:     by_value
      - .offset:         156
        .size:           4
        .value_kind:     by_value
      - .offset:         160
        .size:           4
        .value_kind:     by_value
      - .offset:         164
        .size:           4
        .value_kind:     by_value
      - .offset:         168
        .size:           1
        .value_kind:     by_value
      - .offset:         169
        .size:           1
        .value_kind:     by_value
      - .offset:         170
        .size:           1
        .value_kind:     by_value
    .group_segment_fixed_size: 0
    .kernarg_segment_align: 8
    .kernarg_segment_size: 172
    .language:       OpenCL C
    .language_version:
      - 2
      - 0
    .max_flat_workgroup_size: 128
    .name:           _ZN9rocsparseL26csrgemm_fill_block_per_rowILj128ELj16ELj256ELj137ELj64Ell21rocsparse_complex_numIdEEEvT5_PKS3_S5_NS_24const_host_device_scalarIT6_EEPKT4_S5_PKS7_SB_S5_SD_S8_SB_S5_SD_SB_PS3_PS7_21rocsparse_index_base_SG_SG_SG_bbb
    .private_segment_fixed_size: 40
    .sgpr_count:     48
    .sgpr_spill_count: 0
    .symbol:         _ZN9rocsparseL26csrgemm_fill_block_per_rowILj128ELj16ELj256ELj137ELj64Ell21rocsparse_complex_numIdEEEvT5_PKS3_S5_NS_24const_host_device_scalarIT6_EEPKT4_S5_PKS7_SB_S5_SD_S8_SB_S5_SD_SB_PS3_PS7_21rocsparse_index_base_SG_SG_SG_bbb.kd
    .uniform_work_group_size: 1
    .uses_dynamic_stack: false
    .vgpr_count:     36
    .vgpr_spill_count: 0
    .wavefront_size: 32
    .workgroup_processor_mode: 1
  - .args:
      - .offset:         0
        .size:           8
        .value_kind:     by_value
      - .actual_access:  read_only
        .address_space:  global
        .offset:         8
        .size:           8
        .value_kind:     global_buffer
      - .actual_access:  read_only
        .address_space:  global
        .offset:         16
        .size:           8
        .value_kind:     global_buffer
      - .offset:         24
        .size:           16
        .value_kind:     by_value
      - .actual_access:  read_only
        .address_space:  global
        .offset:         40
        .size:           8
        .value_kind:     global_buffer
      - .actual_access:  read_only
        .address_space:  global
        .offset:         48
        .size:           8
        .value_kind:     global_buffer
      - .actual_access:  read_only
        .address_space:  global
        .offset:         56
        .size:           8
        .value_kind:     global_buffer
      - .actual_access:  read_only
        .address_space:  global
        .offset:         64
        .size:           8
        .value_kind:     global_buffer
      - .actual_access:  read_only
        .address_space:  global
        .offset:         72
        .size:           8
        .value_kind:     global_buffer
      - .actual_access:  read_only
        .address_space:  global
        .offset:         80
        .size:           8
        .value_kind:     global_buffer
      - .offset:         88
        .size:           16
        .value_kind:     by_value
      - .actual_access:  read_only
        .address_space:  global
        .offset:         104
        .size:           8
        .value_kind:     global_buffer
      - .actual_access:  read_only
        .address_space:  global
        .offset:         112
        .size:           8
        .value_kind:     global_buffer
      - .actual_access:  read_only
        .address_space:  global
        .offset:         120
        .size:           8
        .value_kind:     global_buffer
      - .actual_access:  read_only
        .address_space:  global
        .offset:         128
        .size:           8
        .value_kind:     global_buffer
      - .actual_access:  write_only
        .address_space:  global
        .offset:         136
        .size:           8
        .value_kind:     global_buffer
      - .actual_access:  write_only
        .address_space:  global
        .offset:         144
        .size:           8
        .value_kind:     global_buffer
      - .offset:         152
        .size:           4
        .value_kind:     by_value
      - .offset:         156
        .size:           4
        .value_kind:     by_value
      - .offset:         160
        .size:           4
        .value_kind:     by_value
      - .offset:         164
        .size:           4
        .value_kind:     by_value
      - .offset:         168
        .size:           1
        .value_kind:     by_value
      - .offset:         169
        .size:           1
        .value_kind:     by_value
      - .offset:         170
        .size:           1
        .value_kind:     by_value
    .group_segment_fixed_size: 0
    .kernarg_segment_align: 8
    .kernarg_segment_size: 172
    .language:       OpenCL C
    .language_version:
      - 2
      - 0
    .max_flat_workgroup_size: 256
    .name:           _ZN9rocsparseL26csrgemm_fill_block_per_rowILj256ELj32ELj512ELj137ELj32Ell21rocsparse_complex_numIdEEEvT5_PKS3_S5_NS_24const_host_device_scalarIT6_EEPKT4_S5_PKS7_SB_S5_SD_S8_SB_S5_SD_SB_PS3_PS7_21rocsparse_index_base_SG_SG_SG_bbb
    .private_segment_fixed_size: 40
    .sgpr_count:     48
    .sgpr_spill_count: 0
    .symbol:         _ZN9rocsparseL26csrgemm_fill_block_per_rowILj256ELj32ELj512ELj137ELj32Ell21rocsparse_complex_numIdEEEvT5_PKS3_S5_NS_24const_host_device_scalarIT6_EEPKT4_S5_PKS7_SB_S5_SD_S8_SB_S5_SD_SB_PS3_PS7_21rocsparse_index_base_SG_SG_SG_bbb.kd
    .uniform_work_group_size: 1
    .uses_dynamic_stack: false
    .vgpr_count:     37
    .vgpr_spill_count: 0
    .wavefront_size: 32
    .workgroup_processor_mode: 1
  - .args:
      - .offset:         0
        .size:           8
        .value_kind:     by_value
      - .actual_access:  read_only
        .address_space:  global
        .offset:         8
        .size:           8
        .value_kind:     global_buffer
      - .actual_access:  read_only
        .address_space:  global
        .offset:         16
        .size:           8
        .value_kind:     global_buffer
      - .offset:         24
        .size:           16
        .value_kind:     by_value
      - .actual_access:  read_only
        .address_space:  global
        .offset:         40
        .size:           8
        .value_kind:     global_buffer
      - .actual_access:  read_only
        .address_space:  global
        .offset:         48
        .size:           8
        .value_kind:     global_buffer
      - .actual_access:  read_only
        .address_space:  global
        .offset:         56
        .size:           8
        .value_kind:     global_buffer
      - .actual_access:  read_only
        .address_space:  global
        .offset:         64
        .size:           8
        .value_kind:     global_buffer
      - .actual_access:  read_only
        .address_space:  global
        .offset:         72
        .size:           8
        .value_kind:     global_buffer
      - .actual_access:  read_only
        .address_space:  global
        .offset:         80
        .size:           8
        .value_kind:     global_buffer
      - .offset:         88
        .size:           16
        .value_kind:     by_value
      - .actual_access:  read_only
        .address_space:  global
        .offset:         104
        .size:           8
        .value_kind:     global_buffer
      - .actual_access:  read_only
        .address_space:  global
        .offset:         112
        .size:           8
        .value_kind:     global_buffer
      - .actual_access:  read_only
        .address_space:  global
        .offset:         120
        .size:           8
        .value_kind:     global_buffer
      - .actual_access:  read_only
        .address_space:  global
        .offset:         128
        .size:           8
        .value_kind:     global_buffer
      - .actual_access:  write_only
        .address_space:  global
        .offset:         136
        .size:           8
        .value_kind:     global_buffer
      - .actual_access:  write_only
        .address_space:  global
        .offset:         144
        .size:           8
        .value_kind:     global_buffer
      - .offset:         152
        .size:           4
        .value_kind:     by_value
      - .offset:         156
        .size:           4
        .value_kind:     by_value
      - .offset:         160
        .size:           4
        .value_kind:     by_value
      - .offset:         164
        .size:           4
        .value_kind:     by_value
      - .offset:         168
        .size:           1
        .value_kind:     by_value
      - .offset:         169
        .size:           1
        .value_kind:     by_value
      - .offset:         170
        .size:           1
        .value_kind:     by_value
    .group_segment_fixed_size: 0
    .kernarg_segment_align: 8
    .kernarg_segment_size: 172
    .language:       OpenCL C
    .language_version:
      - 2
      - 0
    .max_flat_workgroup_size: 256
    .name:           _ZN9rocsparseL26csrgemm_fill_block_per_rowILj256ELj32ELj512ELj137ELj64Ell21rocsparse_complex_numIdEEEvT5_PKS3_S5_NS_24const_host_device_scalarIT6_EEPKT4_S5_PKS7_SB_S5_SD_S8_SB_S5_SD_SB_PS3_PS7_21rocsparse_index_base_SG_SG_SG_bbb
    .private_segment_fixed_size: 40
    .sgpr_count:     48
    .sgpr_spill_count: 0
    .symbol:         _ZN9rocsparseL26csrgemm_fill_block_per_rowILj256ELj32ELj512ELj137ELj64Ell21rocsparse_complex_numIdEEEvT5_PKS3_S5_NS_24const_host_device_scalarIT6_EEPKT4_S5_PKS7_SB_S5_SD_S8_SB_S5_SD_SB_PS3_PS7_21rocsparse_index_base_SG_SG_SG_bbb.kd
    .uniform_work_group_size: 1
    .uses_dynamic_stack: false
    .vgpr_count:     36
    .vgpr_spill_count: 0
    .wavefront_size: 32
    .workgroup_processor_mode: 1
  - .args:
      - .offset:         0
        .size:           8
        .value_kind:     by_value
      - .actual_access:  read_only
        .address_space:  global
        .offset:         8
        .size:           8
        .value_kind:     global_buffer
      - .actual_access:  read_only
        .address_space:  global
        .offset:         16
        .size:           8
        .value_kind:     global_buffer
      - .offset:         24
        .size:           16
        .value_kind:     by_value
      - .actual_access:  read_only
        .address_space:  global
        .offset:         40
        .size:           8
        .value_kind:     global_buffer
      - .actual_access:  read_only
        .address_space:  global
        .offset:         48
        .size:           8
        .value_kind:     global_buffer
      - .actual_access:  read_only
        .address_space:  global
        .offset:         56
        .size:           8
        .value_kind:     global_buffer
      - .actual_access:  read_only
        .address_space:  global
        .offset:         64
        .size:           8
        .value_kind:     global_buffer
      - .actual_access:  read_only
        .address_space:  global
        .offset:         72
        .size:           8
        .value_kind:     global_buffer
      - .actual_access:  read_only
        .address_space:  global
        .offset:         80
        .size:           8
        .value_kind:     global_buffer
      - .offset:         88
        .size:           16
        .value_kind:     by_value
      - .actual_access:  read_only
        .address_space:  global
        .offset:         104
        .size:           8
        .value_kind:     global_buffer
      - .actual_access:  read_only
        .address_space:  global
        .offset:         112
        .size:           8
        .value_kind:     global_buffer
      - .actual_access:  read_only
        .address_space:  global
        .offset:         120
        .size:           8
        .value_kind:     global_buffer
      - .actual_access:  read_only
        .address_space:  global
        .offset:         128
        .size:           8
        .value_kind:     global_buffer
      - .actual_access:  write_only
        .address_space:  global
        .offset:         136
        .size:           8
        .value_kind:     global_buffer
      - .actual_access:  write_only
        .address_space:  global
        .offset:         144
        .size:           8
        .value_kind:     global_buffer
      - .offset:         152
        .size:           4
        .value_kind:     by_value
      - .offset:         156
        .size:           4
        .value_kind:     by_value
      - .offset:         160
        .size:           4
        .value_kind:     by_value
      - .offset:         164
        .size:           4
        .value_kind:     by_value
      - .offset:         168
        .size:           1
        .value_kind:     by_value
      - .offset:         169
        .size:           1
        .value_kind:     by_value
      - .offset:         170
        .size:           1
        .value_kind:     by_value
    .group_segment_fixed_size: 0
    .kernarg_segment_align: 8
    .kernarg_segment_size: 172
    .language:       OpenCL C
    .language_version:
      - 2
      - 0
    .max_flat_workgroup_size: 512
    .name:           _ZN9rocsparseL26csrgemm_fill_block_per_rowILj512ELj32ELj1024ELj137ELj32Ell21rocsparse_complex_numIdEEEvT5_PKS3_S5_NS_24const_host_device_scalarIT6_EEPKT4_S5_PKS7_SB_S5_SD_S8_SB_S5_SD_SB_PS3_PS7_21rocsparse_index_base_SG_SG_SG_bbb
    .private_segment_fixed_size: 40
    .sgpr_count:     50
    .sgpr_spill_count: 0
    .symbol:         _ZN9rocsparseL26csrgemm_fill_block_per_rowILj512ELj32ELj1024ELj137ELj32Ell21rocsparse_complex_numIdEEEvT5_PKS3_S5_NS_24const_host_device_scalarIT6_EEPKT4_S5_PKS7_SB_S5_SD_S8_SB_S5_SD_SB_PS3_PS7_21rocsparse_index_base_SG_SG_SG_bbb.kd
    .uniform_work_group_size: 1
    .uses_dynamic_stack: false
    .vgpr_count:     37
    .vgpr_spill_count: 0
    .wavefront_size: 32
    .workgroup_processor_mode: 1
  - .args:
      - .offset:         0
        .size:           8
        .value_kind:     by_value
      - .actual_access:  read_only
        .address_space:  global
        .offset:         8
        .size:           8
        .value_kind:     global_buffer
      - .actual_access:  read_only
        .address_space:  global
        .offset:         16
        .size:           8
        .value_kind:     global_buffer
      - .offset:         24
        .size:           16
        .value_kind:     by_value
      - .actual_access:  read_only
        .address_space:  global
        .offset:         40
        .size:           8
        .value_kind:     global_buffer
      - .actual_access:  read_only
        .address_space:  global
        .offset:         48
        .size:           8
        .value_kind:     global_buffer
      - .actual_access:  read_only
        .address_space:  global
        .offset:         56
        .size:           8
        .value_kind:     global_buffer
      - .actual_access:  read_only
        .address_space:  global
        .offset:         64
        .size:           8
        .value_kind:     global_buffer
      - .actual_access:  read_only
        .address_space:  global
        .offset:         72
        .size:           8
        .value_kind:     global_buffer
      - .actual_access:  read_only
        .address_space:  global
        .offset:         80
        .size:           8
        .value_kind:     global_buffer
      - .offset:         88
        .size:           16
        .value_kind:     by_value
      - .actual_access:  read_only
        .address_space:  global
        .offset:         104
        .size:           8
        .value_kind:     global_buffer
      - .actual_access:  read_only
        .address_space:  global
        .offset:         112
        .size:           8
        .value_kind:     global_buffer
      - .actual_access:  read_only
        .address_space:  global
        .offset:         120
        .size:           8
        .value_kind:     global_buffer
      - .actual_access:  read_only
        .address_space:  global
        .offset:         128
        .size:           8
        .value_kind:     global_buffer
      - .actual_access:  write_only
        .address_space:  global
        .offset:         136
        .size:           8
        .value_kind:     global_buffer
      - .actual_access:  write_only
        .address_space:  global
        .offset:         144
        .size:           8
        .value_kind:     global_buffer
      - .offset:         152
        .size:           4
        .value_kind:     by_value
      - .offset:         156
        .size:           4
        .value_kind:     by_value
      - .offset:         160
        .size:           4
        .value_kind:     by_value
      - .offset:         164
        .size:           4
        .value_kind:     by_value
      - .offset:         168
        .size:           1
        .value_kind:     by_value
      - .offset:         169
        .size:           1
        .value_kind:     by_value
      - .offset:         170
        .size:           1
        .value_kind:     by_value
    .group_segment_fixed_size: 0
    .kernarg_segment_align: 8
    .kernarg_segment_size: 172
    .language:       OpenCL C
    .language_version:
      - 2
      - 0
    .max_flat_workgroup_size: 512
    .name:           _ZN9rocsparseL26csrgemm_fill_block_per_rowILj512ELj32ELj1024ELj137ELj64Ell21rocsparse_complex_numIdEEEvT5_PKS3_S5_NS_24const_host_device_scalarIT6_EEPKT4_S5_PKS7_SB_S5_SD_S8_SB_S5_SD_SB_PS3_PS7_21rocsparse_index_base_SG_SG_SG_bbb
    .private_segment_fixed_size: 40
    .sgpr_count:     50
    .sgpr_spill_count: 0
    .symbol:         _ZN9rocsparseL26csrgemm_fill_block_per_rowILj512ELj32ELj1024ELj137ELj64Ell21rocsparse_complex_numIdEEEvT5_PKS3_S5_NS_24const_host_device_scalarIT6_EEPKT4_S5_PKS7_SB_S5_SD_S8_SB_S5_SD_SB_PS3_PS7_21rocsparse_index_base_SG_SG_SG_bbb.kd
    .uniform_work_group_size: 1
    .uses_dynamic_stack: false
    .vgpr_count:     36
    .vgpr_spill_count: 0
    .wavefront_size: 32
    .workgroup_processor_mode: 1
  - .args:
      - .offset:         0
        .size:           8
        .value_kind:     by_value
      - .actual_access:  read_only
        .address_space:  global
        .offset:         8
        .size:           8
        .value_kind:     global_buffer
      - .actual_access:  read_only
        .address_space:  global
        .offset:         16
        .size:           8
        .value_kind:     global_buffer
      - .offset:         24
        .size:           16
        .value_kind:     by_value
      - .actual_access:  read_only
        .address_space:  global
        .offset:         40
        .size:           8
        .value_kind:     global_buffer
      - .actual_access:  read_only
        .address_space:  global
        .offset:         48
        .size:           8
        .value_kind:     global_buffer
      - .actual_access:  read_only
        .address_space:  global
        .offset:         56
        .size:           8
        .value_kind:     global_buffer
      - .actual_access:  read_only
        .address_space:  global
        .offset:         64
        .size:           8
        .value_kind:     global_buffer
      - .actual_access:  read_only
        .address_space:  global
        .offset:         72
        .size:           8
        .value_kind:     global_buffer
      - .actual_access:  read_only
        .address_space:  global
        .offset:         80
        .size:           8
        .value_kind:     global_buffer
      - .offset:         88
        .size:           16
        .value_kind:     by_value
      - .actual_access:  read_only
        .address_space:  global
        .offset:         104
        .size:           8
        .value_kind:     global_buffer
      - .actual_access:  read_only
        .address_space:  global
        .offset:         112
        .size:           8
        .value_kind:     global_buffer
      - .actual_access:  read_only
        .address_space:  global
        .offset:         120
        .size:           8
        .value_kind:     global_buffer
      - .actual_access:  read_only
        .address_space:  global
        .offset:         128
        .size:           8
        .value_kind:     global_buffer
      - .actual_access:  write_only
        .address_space:  global
        .offset:         136
        .size:           8
        .value_kind:     global_buffer
      - .actual_access:  write_only
        .address_space:  global
        .offset:         144
        .size:           8
        .value_kind:     global_buffer
      - .offset:         152
        .size:           4
        .value_kind:     by_value
      - .offset:         156
        .size:           4
        .value_kind:     by_value
      - .offset:         160
        .size:           4
        .value_kind:     by_value
      - .offset:         164
        .size:           4
        .value_kind:     by_value
      - .offset:         168
        .size:           1
        .value_kind:     by_value
      - .offset:         169
        .size:           1
        .value_kind:     by_value
      - .offset:         170
        .size:           1
        .value_kind:     by_value
    .group_segment_fixed_size: 0
    .kernarg_segment_align: 8
    .kernarg_segment_size: 172
    .language:       OpenCL C
    .language_version:
      - 2
      - 0
    .max_flat_workgroup_size: 1024
    .name:           _ZN9rocsparseL26csrgemm_fill_block_per_rowILj1024ELj32ELj2048ELj137ELj32Ell21rocsparse_complex_numIdEEEvT5_PKS3_S5_NS_24const_host_device_scalarIT6_EEPKT4_S5_PKS7_SB_S5_SD_S8_SB_S5_SD_SB_PS3_PS7_21rocsparse_index_base_SG_SG_SG_bbb
    .private_segment_fixed_size: 40
    .sgpr_count:     56
    .sgpr_spill_count: 0
    .symbol:         _ZN9rocsparseL26csrgemm_fill_block_per_rowILj1024ELj32ELj2048ELj137ELj32Ell21rocsparse_complex_numIdEEEvT5_PKS3_S5_NS_24const_host_device_scalarIT6_EEPKT4_S5_PKS7_SB_S5_SD_S8_SB_S5_SD_SB_PS3_PS7_21rocsparse_index_base_SG_SG_SG_bbb.kd
    .uniform_work_group_size: 1
    .uses_dynamic_stack: false
    .vgpr_count:     37
    .vgpr_spill_count: 0
    .wavefront_size: 32
    .workgroup_processor_mode: 1
  - .args:
      - .offset:         0
        .size:           8
        .value_kind:     by_value
      - .actual_access:  read_only
        .address_space:  global
        .offset:         8
        .size:           8
        .value_kind:     global_buffer
      - .actual_access:  read_only
        .address_space:  global
        .offset:         16
        .size:           8
        .value_kind:     global_buffer
      - .offset:         24
        .size:           16
        .value_kind:     by_value
      - .actual_access:  read_only
        .address_space:  global
        .offset:         40
        .size:           8
        .value_kind:     global_buffer
      - .actual_access:  read_only
        .address_space:  global
        .offset:         48
        .size:           8
        .value_kind:     global_buffer
      - .actual_access:  read_only
        .address_space:  global
        .offset:         56
        .size:           8
        .value_kind:     global_buffer
      - .actual_access:  read_only
        .address_space:  global
        .offset:         64
        .size:           8
        .value_kind:     global_buffer
      - .actual_access:  read_only
        .address_space:  global
        .offset:         72
        .size:           8
        .value_kind:     global_buffer
      - .actual_access:  read_only
        .address_space:  global
        .offset:         80
        .size:           8
        .value_kind:     global_buffer
      - .offset:         88
        .size:           16
        .value_kind:     by_value
      - .actual_access:  read_only
        .address_space:  global
        .offset:         104
        .size:           8
        .value_kind:     global_buffer
      - .actual_access:  read_only
        .address_space:  global
        .offset:         112
        .size:           8
        .value_kind:     global_buffer
      - .actual_access:  read_only
        .address_space:  global
        .offset:         120
        .size:           8
        .value_kind:     global_buffer
      - .actual_access:  read_only
        .address_space:  global
        .offset:         128
        .size:           8
        .value_kind:     global_buffer
      - .actual_access:  write_only
        .address_space:  global
        .offset:         136
        .size:           8
        .value_kind:     global_buffer
      - .actual_access:  write_only
        .address_space:  global
        .offset:         144
        .size:           8
        .value_kind:     global_buffer
      - .offset:         152
        .size:           4
        .value_kind:     by_value
      - .offset:         156
        .size:           4
        .value_kind:     by_value
      - .offset:         160
        .size:           4
        .value_kind:     by_value
      - .offset:         164
        .size:           4
        .value_kind:     by_value
      - .offset:         168
        .size:           1
        .value_kind:     by_value
      - .offset:         169
        .size:           1
        .value_kind:     by_value
      - .offset:         170
        .size:           1
        .value_kind:     by_value
    .group_segment_fixed_size: 0
    .kernarg_segment_align: 8
    .kernarg_segment_size: 172
    .language:       OpenCL C
    .language_version:
      - 2
      - 0
    .max_flat_workgroup_size: 1024
    .name:           _ZN9rocsparseL26csrgemm_fill_block_per_rowILj1024ELj32ELj2048ELj137ELj64Ell21rocsparse_complex_numIdEEEvT5_PKS3_S5_NS_24const_host_device_scalarIT6_EEPKT4_S5_PKS7_SB_S5_SD_S8_SB_S5_SD_SB_PS3_PS7_21rocsparse_index_base_SG_SG_SG_bbb
    .private_segment_fixed_size: 40
    .sgpr_count:     50
    .sgpr_spill_count: 0
    .symbol:         _ZN9rocsparseL26csrgemm_fill_block_per_rowILj1024ELj32ELj2048ELj137ELj64Ell21rocsparse_complex_numIdEEEvT5_PKS3_S5_NS_24const_host_device_scalarIT6_EEPKT4_S5_PKS7_SB_S5_SD_S8_SB_S5_SD_SB_PS3_PS7_21rocsparse_index_base_SG_SG_SG_bbb.kd
    .uniform_work_group_size: 1
    .uses_dynamic_stack: false
    .vgpr_count:     36
    .vgpr_spill_count: 0
    .wavefront_size: 32
    .workgroup_processor_mode: 1
  - .args:
      - .offset:         0
        .size:           8
        .value_kind:     by_value
      - .actual_access:  read_only
        .address_space:  global
        .offset:         8
        .size:           8
        .value_kind:     global_buffer
      - .actual_access:  read_only
        .address_space:  global
        .offset:         16
        .size:           8
        .value_kind:     global_buffer
      - .offset:         24
        .size:           16
        .value_kind:     by_value
      - .actual_access:  read_only
        .address_space:  global
        .offset:         40
        .size:           8
        .value_kind:     global_buffer
      - .actual_access:  read_only
        .address_space:  global
        .offset:         48
        .size:           8
        .value_kind:     global_buffer
      - .actual_access:  read_only
        .address_space:  global
        .offset:         56
        .size:           8
        .value_kind:     global_buffer
      - .actual_access:  read_only
        .address_space:  global
        .offset:         64
        .size:           8
        .value_kind:     global_buffer
      - .actual_access:  read_only
        .address_space:  global
        .offset:         72
        .size:           8
        .value_kind:     global_buffer
      - .actual_access:  read_only
        .address_space:  global
        .offset:         80
        .size:           8
        .value_kind:     global_buffer
      - .offset:         88
        .size:           16
        .value_kind:     by_value
      - .actual_access:  read_only
        .address_space:  global
        .offset:         104
        .size:           8
        .value_kind:     global_buffer
      - .actual_access:  read_only
        .address_space:  global
        .offset:         112
        .size:           8
        .value_kind:     global_buffer
      - .actual_access:  read_only
        .address_space:  global
        .offset:         120
        .size:           8
        .value_kind:     global_buffer
      - .actual_access:  read_only
        .address_space:  global
        .offset:         128
        .size:           8
        .value_kind:     global_buffer
      - .actual_access:  write_only
        .address_space:  global
        .offset:         136
        .size:           8
        .value_kind:     global_buffer
      - .actual_access:  write_only
        .address_space:  global
        .offset:         144
        .size:           8
        .value_kind:     global_buffer
      - .offset:         152
        .size:           4
        .value_kind:     by_value
      - .offset:         156
        .size:           4
        .value_kind:     by_value
      - .offset:         160
        .size:           4
        .value_kind:     by_value
      - .offset:         164
        .size:           4
        .value_kind:     by_value
      - .offset:         168
        .size:           1
        .value_kind:     by_value
      - .offset:         169
        .size:           1
        .value_kind:     by_value
      - .offset:         170
        .size:           1
        .value_kind:     by_value
    .group_segment_fixed_size: 0
    .kernarg_segment_align: 8
    .kernarg_segment_size: 172
    .language:       OpenCL C
    .language_version:
      - 2
      - 0
    .max_flat_workgroup_size: 1024
    .name:           _ZN9rocsparseL26csrgemm_fill_block_per_rowILj1024ELj64ELj4096ELj137ELj32Ell21rocsparse_complex_numIdEEEvT5_PKS3_S5_NS_24const_host_device_scalarIT6_EEPKT4_S5_PKS7_SB_S5_SD_S8_SB_S5_SD_SB_PS3_PS7_21rocsparse_index_base_SG_SG_SG_bbb
    .private_segment_fixed_size: 40
    .sgpr_count:     80
    .sgpr_spill_count: 0
    .symbol:         _ZN9rocsparseL26csrgemm_fill_block_per_rowILj1024ELj64ELj4096ELj137ELj32Ell21rocsparse_complex_numIdEEEvT5_PKS3_S5_NS_24const_host_device_scalarIT6_EEPKT4_S5_PKS7_SB_S5_SD_S8_SB_S5_SD_SB_PS3_PS7_21rocsparse_index_base_SG_SG_SG_bbb.kd
    .uniform_work_group_size: 1
    .uses_dynamic_stack: false
    .vgpr_count:     36
    .vgpr_spill_count: 0
    .wavefront_size: 32
    .workgroup_processor_mode: 1
  - .args:
      - .offset:         0
        .size:           8
        .value_kind:     by_value
      - .actual_access:  read_only
        .address_space:  global
        .offset:         8
        .size:           8
        .value_kind:     global_buffer
      - .actual_access:  read_only
        .address_space:  global
        .offset:         16
        .size:           8
        .value_kind:     global_buffer
      - .offset:         24
        .size:           16
        .value_kind:     by_value
      - .actual_access:  read_only
        .address_space:  global
        .offset:         40
        .size:           8
        .value_kind:     global_buffer
      - .actual_access:  read_only
        .address_space:  global
        .offset:         48
        .size:           8
        .value_kind:     global_buffer
      - .actual_access:  read_only
        .address_space:  global
        .offset:         56
        .size:           8
        .value_kind:     global_buffer
      - .actual_access:  read_only
        .address_space:  global
        .offset:         64
        .size:           8
        .value_kind:     global_buffer
      - .actual_access:  read_only
        .address_space:  global
        .offset:         72
        .size:           8
        .value_kind:     global_buffer
      - .actual_access:  read_only
        .address_space:  global
        .offset:         80
        .size:           8
        .value_kind:     global_buffer
      - .offset:         88
        .size:           16
        .value_kind:     by_value
      - .actual_access:  read_only
        .address_space:  global
        .offset:         104
        .size:           8
        .value_kind:     global_buffer
      - .actual_access:  read_only
        .address_space:  global
        .offset:         112
        .size:           8
        .value_kind:     global_buffer
      - .actual_access:  read_only
        .address_space:  global
        .offset:         120
        .size:           8
        .value_kind:     global_buffer
      - .actual_access:  read_only
        .address_space:  global
        .offset:         128
        .size:           8
        .value_kind:     global_buffer
      - .actual_access:  write_only
        .address_space:  global
        .offset:         136
        .size:           8
        .value_kind:     global_buffer
      - .actual_access:  write_only
        .address_space:  global
        .offset:         144
        .size:           8
        .value_kind:     global_buffer
      - .offset:         152
        .size:           4
        .value_kind:     by_value
      - .offset:         156
        .size:           4
        .value_kind:     by_value
      - .offset:         160
        .size:           4
        .value_kind:     by_value
      - .offset:         164
        .size:           4
        .value_kind:     by_value
      - .offset:         168
        .size:           1
        .value_kind:     by_value
      - .offset:         169
        .size:           1
        .value_kind:     by_value
      - .offset:         170
        .size:           1
        .value_kind:     by_value
    .group_segment_fixed_size: 0
    .kernarg_segment_align: 8
    .kernarg_segment_size: 172
    .language:       OpenCL C
    .language_version:
      - 2
      - 0
    .max_flat_workgroup_size: 1024
    .name:           _ZN9rocsparseL26csrgemm_fill_block_per_rowILj1024ELj64ELj4096ELj137ELj64Ell21rocsparse_complex_numIdEEEvT5_PKS3_S5_NS_24const_host_device_scalarIT6_EEPKT4_S5_PKS7_SB_S5_SD_S8_SB_S5_SD_SB_PS3_PS7_21rocsparse_index_base_SG_SG_SG_bbb
    .private_segment_fixed_size: 40
    .sgpr_count:     50
    .sgpr_spill_count: 0
    .symbol:         _ZN9rocsparseL26csrgemm_fill_block_per_rowILj1024ELj64ELj4096ELj137ELj64Ell21rocsparse_complex_numIdEEEvT5_PKS3_S5_NS_24const_host_device_scalarIT6_EEPKT4_S5_PKS7_SB_S5_SD_S8_SB_S5_SD_SB_PS3_PS7_21rocsparse_index_base_SG_SG_SG_bbb.kd
    .uniform_work_group_size: 1
    .uses_dynamic_stack: false
    .vgpr_count:     37
    .vgpr_spill_count: 0
    .wavefront_size: 32
    .workgroup_processor_mode: 1
  - .args:
      - .offset:         0
        .size:           8
        .value_kind:     by_value
      - .actual_access:  read_only
        .address_space:  global
        .offset:         8
        .size:           8
        .value_kind:     global_buffer
      - .actual_access:  read_only
        .address_space:  global
        .offset:         16
        .size:           8
        .value_kind:     global_buffer
      - .offset:         24
        .size:           16
        .value_kind:     by_value
      - .actual_access:  read_only
        .address_space:  global
        .offset:         40
        .size:           8
        .value_kind:     global_buffer
      - .actual_access:  read_only
        .address_space:  global
        .offset:         48
        .size:           8
        .value_kind:     global_buffer
      - .actual_access:  read_only
        .address_space:  global
        .offset:         56
        .size:           8
        .value_kind:     global_buffer
      - .actual_access:  read_only
        .address_space:  global
        .offset:         64
        .size:           8
        .value_kind:     global_buffer
      - .actual_access:  read_only
        .address_space:  global
        .offset:         72
        .size:           8
        .value_kind:     global_buffer
      - .actual_access:  read_only
        .address_space:  global
        .offset:         80
        .size:           8
        .value_kind:     global_buffer
      - .offset:         88
        .size:           16
        .value_kind:     by_value
      - .actual_access:  read_only
        .address_space:  global
        .offset:         104
        .size:           8
        .value_kind:     global_buffer
      - .actual_access:  read_only
        .address_space:  global
        .offset:         112
        .size:           8
        .value_kind:     global_buffer
      - .actual_access:  read_only
        .address_space:  global
        .offset:         120
        .size:           8
        .value_kind:     global_buffer
      - .actual_access:  read_only
        .address_space:  global
        .offset:         128
        .size:           8
        .value_kind:     global_buffer
      - .actual_access:  write_only
        .address_space:  global
        .offset:         136
        .size:           8
        .value_kind:     global_buffer
      - .actual_access:  write_only
        .address_space:  global
        .offset:         144
        .size:           8
        .value_kind:     global_buffer
      - .offset:         152
        .size:           4
        .value_kind:     by_value
      - .offset:         156
        .size:           4
        .value_kind:     by_value
      - .offset:         160
        .size:           4
        .value_kind:     by_value
      - .offset:         164
        .size:           4
        .value_kind:     by_value
      - .offset:         168
        .size:           1
        .value_kind:     by_value
      - .offset:         169
        .size:           1
        .value_kind:     by_value
      - .offset:         170
        .size:           1
        .value_kind:     by_value
    .group_segment_fixed_size: 0
    .kernarg_segment_align: 8
    .kernarg_segment_size: 172
    .language:       OpenCL C
    .language_version:
      - 2
      - 0
    .max_flat_workgroup_size: 1024
    .name:           _ZN9rocsparseL26csrgemm_fill_block_per_rowILj1024ELj64ELj8192ELj137ELj32Ell21rocsparse_complex_numIdEEEvT5_PKS3_S5_NS_24const_host_device_scalarIT6_EEPKT4_S5_PKS7_SB_S5_SD_S8_SB_S5_SD_SB_PS3_PS7_21rocsparse_index_base_SG_SG_SG_bbb
    .private_segment_fixed_size: 40
    .sgpr_count:     80
    .sgpr_spill_count: 0
    .symbol:         _ZN9rocsparseL26csrgemm_fill_block_per_rowILj1024ELj64ELj8192ELj137ELj32Ell21rocsparse_complex_numIdEEEvT5_PKS3_S5_NS_24const_host_device_scalarIT6_EEPKT4_S5_PKS7_SB_S5_SD_S8_SB_S5_SD_SB_PS3_PS7_21rocsparse_index_base_SG_SG_SG_bbb.kd
    .uniform_work_group_size: 1
    .uses_dynamic_stack: false
    .vgpr_count:     34
    .vgpr_spill_count: 0
    .wavefront_size: 32
    .workgroup_processor_mode: 1
  - .args:
      - .offset:         0
        .size:           8
        .value_kind:     by_value
      - .actual_access:  read_only
        .address_space:  global
        .offset:         8
        .size:           8
        .value_kind:     global_buffer
      - .actual_access:  read_only
        .address_space:  global
        .offset:         16
        .size:           8
        .value_kind:     global_buffer
      - .offset:         24
        .size:           16
        .value_kind:     by_value
      - .actual_access:  read_only
        .address_space:  global
        .offset:         40
        .size:           8
        .value_kind:     global_buffer
      - .actual_access:  read_only
        .address_space:  global
        .offset:         48
        .size:           8
        .value_kind:     global_buffer
      - .actual_access:  read_only
        .address_space:  global
        .offset:         56
        .size:           8
        .value_kind:     global_buffer
      - .actual_access:  read_only
        .address_space:  global
        .offset:         64
        .size:           8
        .value_kind:     global_buffer
      - .actual_access:  read_only
        .address_space:  global
        .offset:         72
        .size:           8
        .value_kind:     global_buffer
      - .actual_access:  read_only
        .address_space:  global
        .offset:         80
        .size:           8
        .value_kind:     global_buffer
      - .offset:         88
        .size:           16
        .value_kind:     by_value
      - .actual_access:  read_only
        .address_space:  global
        .offset:         104
        .size:           8
        .value_kind:     global_buffer
      - .actual_access:  read_only
        .address_space:  global
        .offset:         112
        .size:           8
        .value_kind:     global_buffer
      - .actual_access:  read_only
        .address_space:  global
        .offset:         120
        .size:           8
        .value_kind:     global_buffer
      - .actual_access:  read_only
        .address_space:  global
        .offset:         128
        .size:           8
        .value_kind:     global_buffer
      - .actual_access:  write_only
        .address_space:  global
        .offset:         136
        .size:           8
        .value_kind:     global_buffer
      - .actual_access:  write_only
        .address_space:  global
        .offset:         144
        .size:           8
        .value_kind:     global_buffer
      - .offset:         152
        .size:           4
        .value_kind:     by_value
      - .offset:         156
        .size:           4
        .value_kind:     by_value
      - .offset:         160
        .size:           4
        .value_kind:     by_value
      - .offset:         164
        .size:           4
        .value_kind:     by_value
      - .offset:         168
        .size:           1
        .value_kind:     by_value
      - .offset:         169
        .size:           1
        .value_kind:     by_value
      - .offset:         170
        .size:           1
        .value_kind:     by_value
    .group_segment_fixed_size: 0
    .kernarg_segment_align: 8
    .kernarg_segment_size: 172
    .language:       OpenCL C
    .language_version:
      - 2
      - 0
    .max_flat_workgroup_size: 1024
    .name:           _ZN9rocsparseL26csrgemm_fill_block_per_rowILj1024ELj64ELj8192ELj137ELj64Ell21rocsparse_complex_numIdEEEvT5_PKS3_S5_NS_24const_host_device_scalarIT6_EEPKT4_S5_PKS7_SB_S5_SD_S8_SB_S5_SD_SB_PS3_PS7_21rocsparse_index_base_SG_SG_SG_bbb
    .private_segment_fixed_size: 40
    .sgpr_count:     48
    .sgpr_spill_count: 0
    .symbol:         _ZN9rocsparseL26csrgemm_fill_block_per_rowILj1024ELj64ELj8192ELj137ELj64Ell21rocsparse_complex_numIdEEEvT5_PKS3_S5_NS_24const_host_device_scalarIT6_EEPKT4_S5_PKS7_SB_S5_SD_S8_SB_S5_SD_SB_PS3_PS7_21rocsparse_index_base_SG_SG_SG_bbb.kd
    .uniform_work_group_size: 1
    .uses_dynamic_stack: false
    .vgpr_count:     35
    .vgpr_spill_count: 0
    .wavefront_size: 32
    .workgroup_processor_mode: 1
  - .args:
      - .offset:         0
        .size:           8
        .value_kind:     by_value
      - .actual_access:  read_only
        .address_space:  global
        .offset:         8
        .size:           8
        .value_kind:     global_buffer
      - .actual_access:  read_only
        .address_space:  global
        .offset:         16
        .size:           8
        .value_kind:     global_buffer
      - .offset:         24
        .size:           16
        .value_kind:     by_value
      - .actual_access:  read_only
        .address_space:  global
        .offset:         40
        .size:           8
        .value_kind:     global_buffer
      - .actual_access:  read_only
        .address_space:  global
        .offset:         48
        .size:           8
        .value_kind:     global_buffer
      - .actual_access:  read_only
        .address_space:  global
        .offset:         56
        .size:           8
        .value_kind:     global_buffer
      - .actual_access:  read_only
        .address_space:  global
        .offset:         64
        .size:           8
        .value_kind:     global_buffer
      - .actual_access:  read_only
        .address_space:  global
        .offset:         72
        .size:           8
        .value_kind:     global_buffer
      - .actual_access:  read_only
        .address_space:  global
        .offset:         80
        .size:           8
        .value_kind:     global_buffer
      - .offset:         88
        .size:           16
        .value_kind:     by_value
      - .actual_access:  read_only
        .address_space:  global
        .offset:         104
        .size:           8
        .value_kind:     global_buffer
      - .actual_access:  read_only
        .address_space:  global
        .offset:         112
        .size:           8
        .value_kind:     global_buffer
      - .actual_access:  read_only
        .address_space:  global
        .offset:         120
        .size:           8
        .value_kind:     global_buffer
      - .actual_access:  read_only
        .address_space:  global
        .offset:         128
        .size:           8
        .value_kind:     global_buffer
      - .actual_access:  write_only
        .address_space:  global
        .offset:         136
        .size:           8
        .value_kind:     global_buffer
      - .actual_access:  write_only
        .address_space:  global
        .offset:         144
        .size:           8
        .value_kind:     global_buffer
      - .offset:         152
        .size:           4
        .value_kind:     by_value
      - .offset:         156
        .size:           4
        .value_kind:     by_value
      - .offset:         160
        .size:           4
        .value_kind:     by_value
      - .offset:         164
        .size:           4
        .value_kind:     by_value
      - .offset:         168
        .size:           1
        .value_kind:     by_value
      - .offset:         169
        .size:           1
        .value_kind:     by_value
      - .offset:         170
        .size:           1
        .value_kind:     by_value
    .group_segment_fixed_size: 0
    .kernarg_segment_align: 8
    .kernarg_segment_size: 172
    .language:       OpenCL C
    .language_version:
      - 2
      - 0
    .max_flat_workgroup_size: 1024
    .name:           _ZN9rocsparseL26csrgemm_fill_block_per_rowILj1024ELj64ELj16384ELj137ELj32Ell21rocsparse_complex_numIdEEEvT5_PKS3_S5_NS_24const_host_device_scalarIT6_EEPKT4_S5_PKS7_SB_S5_SD_S8_SB_S5_SD_SB_PS3_PS7_21rocsparse_index_base_SG_SG_SG_bbb
    .private_segment_fixed_size: 40
    .sgpr_count:     80
    .sgpr_spill_count: 0
    .symbol:         _ZN9rocsparseL26csrgemm_fill_block_per_rowILj1024ELj64ELj16384ELj137ELj32Ell21rocsparse_complex_numIdEEEvT5_PKS3_S5_NS_24const_host_device_scalarIT6_EEPKT4_S5_PKS7_SB_S5_SD_S8_SB_S5_SD_SB_PS3_PS7_21rocsparse_index_base_SG_SG_SG_bbb.kd
    .uniform_work_group_size: 1
    .uses_dynamic_stack: false
    .vgpr_count:     36
    .vgpr_spill_count: 0
    .wavefront_size: 32
    .workgroup_processor_mode: 1
  - .args:
      - .offset:         0
        .size:           8
        .value_kind:     by_value
      - .actual_access:  read_only
        .address_space:  global
        .offset:         8
        .size:           8
        .value_kind:     global_buffer
      - .actual_access:  read_only
        .address_space:  global
        .offset:         16
        .size:           8
        .value_kind:     global_buffer
      - .offset:         24
        .size:           16
        .value_kind:     by_value
      - .actual_access:  read_only
        .address_space:  global
        .offset:         40
        .size:           8
        .value_kind:     global_buffer
      - .actual_access:  read_only
        .address_space:  global
        .offset:         48
        .size:           8
        .value_kind:     global_buffer
      - .actual_access:  read_only
        .address_space:  global
        .offset:         56
        .size:           8
        .value_kind:     global_buffer
      - .actual_access:  read_only
        .address_space:  global
        .offset:         64
        .size:           8
        .value_kind:     global_buffer
      - .actual_access:  read_only
        .address_space:  global
        .offset:         72
        .size:           8
        .value_kind:     global_buffer
      - .actual_access:  read_only
        .address_space:  global
        .offset:         80
        .size:           8
        .value_kind:     global_buffer
      - .offset:         88
        .size:           16
        .value_kind:     by_value
      - .actual_access:  read_only
        .address_space:  global
        .offset:         104
        .size:           8
        .value_kind:     global_buffer
      - .actual_access:  read_only
        .address_space:  global
        .offset:         112
        .size:           8
        .value_kind:     global_buffer
      - .actual_access:  read_only
        .address_space:  global
        .offset:         120
        .size:           8
        .value_kind:     global_buffer
      - .actual_access:  read_only
        .address_space:  global
        .offset:         128
        .size:           8
        .value_kind:     global_buffer
      - .actual_access:  write_only
        .address_space:  global
        .offset:         136
        .size:           8
        .value_kind:     global_buffer
      - .actual_access:  write_only
        .address_space:  global
        .offset:         144
        .size:           8
        .value_kind:     global_buffer
      - .offset:         152
        .size:           4
        .value_kind:     by_value
      - .offset:         156
        .size:           4
        .value_kind:     by_value
      - .offset:         160
        .size:           4
        .value_kind:     by_value
      - .offset:         164
        .size:           4
        .value_kind:     by_value
      - .offset:         168
        .size:           1
        .value_kind:     by_value
      - .offset:         169
        .size:           1
        .value_kind:     by_value
      - .offset:         170
        .size:           1
        .value_kind:     by_value
    .group_segment_fixed_size: 0
    .kernarg_segment_align: 8
    .kernarg_segment_size: 172
    .language:       OpenCL C
    .language_version:
      - 2
      - 0
    .max_flat_workgroup_size: 1024
    .name:           _ZN9rocsparseL26csrgemm_fill_block_per_rowILj1024ELj64ELj16384ELj137ELj64Ell21rocsparse_complex_numIdEEEvT5_PKS3_S5_NS_24const_host_device_scalarIT6_EEPKT4_S5_PKS7_SB_S5_SD_S8_SB_S5_SD_SB_PS3_PS7_21rocsparse_index_base_SG_SG_SG_bbb
    .private_segment_fixed_size: 40
    .sgpr_count:     50
    .sgpr_spill_count: 0
    .symbol:         _ZN9rocsparseL26csrgemm_fill_block_per_rowILj1024ELj64ELj16384ELj137ELj64Ell21rocsparse_complex_numIdEEEvT5_PKS3_S5_NS_24const_host_device_scalarIT6_EEPKT4_S5_PKS7_SB_S5_SD_S8_SB_S5_SD_SB_PS3_PS7_21rocsparse_index_base_SG_SG_SG_bbb.kd
    .uniform_work_group_size: 1
    .uses_dynamic_stack: false
    .vgpr_count:     37
    .vgpr_spill_count: 0
    .wavefront_size: 32
    .workgroup_processor_mode: 1
  - .args:
      - .offset:         0
        .size:           8
        .value_kind:     by_value
      - .actual_access:  read_only
        .address_space:  global
        .offset:         8
        .size:           8
        .value_kind:     global_buffer
      - .actual_access:  read_only
        .address_space:  global
        .offset:         16
        .size:           8
        .value_kind:     global_buffer
      - .offset:         24
        .size:           16
        .value_kind:     by_value
      - .actual_access:  read_only
        .address_space:  global
        .offset:         40
        .size:           8
        .value_kind:     global_buffer
      - .actual_access:  read_only
        .address_space:  global
        .offset:         48
        .size:           8
        .value_kind:     global_buffer
      - .actual_access:  read_only
        .address_space:  global
        .offset:         56
        .size:           8
        .value_kind:     global_buffer
      - .actual_access:  read_only
        .address_space:  global
        .offset:         64
        .size:           8
        .value_kind:     global_buffer
      - .actual_access:  read_only
        .address_space:  global
        .offset:         72
        .size:           8
        .value_kind:     global_buffer
      - .actual_access:  read_only
        .address_space:  global
        .offset:         80
        .size:           8
        .value_kind:     global_buffer
      - .offset:         88
        .size:           16
        .value_kind:     by_value
      - .actual_access:  read_only
        .address_space:  global
        .offset:         104
        .size:           8
        .value_kind:     global_buffer
      - .actual_access:  read_only
        .address_space:  global
        .offset:         112
        .size:           8
        .value_kind:     global_buffer
      - .actual_access:  read_only
        .address_space:  global
        .offset:         120
        .size:           8
        .value_kind:     global_buffer
      - .actual_access:  read_only
        .address_space:  global
        .offset:         128
        .size:           8
        .value_kind:     global_buffer
      - .actual_access:  write_only
        .address_space:  global
        .offset:         136
        .size:           8
        .value_kind:     global_buffer
      - .actual_access:  write_only
        .address_space:  global
        .offset:         144
        .size:           8
        .value_kind:     global_buffer
      - .offset:         152
        .size:           4
        .value_kind:     by_value
      - .offset:         156
        .size:           4
        .value_kind:     by_value
      - .offset:         160
        .size:           4
        .value_kind:     by_value
      - .offset:         164
        .size:           4
        .value_kind:     by_value
      - .offset:         168
        .size:           1
        .value_kind:     by_value
      - .offset:         169
        .size:           1
        .value_kind:     by_value
      - .offset:         170
        .size:           1
        .value_kind:     by_value
    .group_segment_fixed_size: 0
    .kernarg_segment_align: 8
    .kernarg_segment_size: 172
    .language:       OpenCL C
    .language_version:
      - 2
      - 0
    .max_flat_workgroup_size: 1024
    .name:           _ZN9rocsparseL26csrgemm_fill_block_per_rowILj1024ELj64ELj32768ELj137ELj32Ell21rocsparse_complex_numIdEEEvT5_PKS3_S5_NS_24const_host_device_scalarIT6_EEPKT4_S5_PKS7_SB_S5_SD_S8_SB_S5_SD_SB_PS3_PS7_21rocsparse_index_base_SG_SG_SG_bbb
    .private_segment_fixed_size: 40
    .sgpr_count:     80
    .sgpr_spill_count: 0
    .symbol:         _ZN9rocsparseL26csrgemm_fill_block_per_rowILj1024ELj64ELj32768ELj137ELj32Ell21rocsparse_complex_numIdEEEvT5_PKS3_S5_NS_24const_host_device_scalarIT6_EEPKT4_S5_PKS7_SB_S5_SD_S8_SB_S5_SD_SB_PS3_PS7_21rocsparse_index_base_SG_SG_SG_bbb.kd
    .uniform_work_group_size: 1
    .uses_dynamic_stack: false
    .vgpr_count:     36
    .vgpr_spill_count: 0
    .wavefront_size: 32
    .workgroup_processor_mode: 1
  - .args:
      - .offset:         0
        .size:           8
        .value_kind:     by_value
      - .actual_access:  read_only
        .address_space:  global
        .offset:         8
        .size:           8
        .value_kind:     global_buffer
      - .actual_access:  read_only
        .address_space:  global
        .offset:         16
        .size:           8
        .value_kind:     global_buffer
      - .offset:         24
        .size:           16
        .value_kind:     by_value
      - .actual_access:  read_only
        .address_space:  global
        .offset:         40
        .size:           8
        .value_kind:     global_buffer
      - .actual_access:  read_only
        .address_space:  global
        .offset:         48
        .size:           8
        .value_kind:     global_buffer
      - .actual_access:  read_only
        .address_space:  global
        .offset:         56
        .size:           8
        .value_kind:     global_buffer
      - .actual_access:  read_only
        .address_space:  global
        .offset:         64
        .size:           8
        .value_kind:     global_buffer
      - .actual_access:  read_only
        .address_space:  global
        .offset:         72
        .size:           8
        .value_kind:     global_buffer
      - .actual_access:  read_only
        .address_space:  global
        .offset:         80
        .size:           8
        .value_kind:     global_buffer
      - .offset:         88
        .size:           16
        .value_kind:     by_value
      - .actual_access:  read_only
        .address_space:  global
        .offset:         104
        .size:           8
        .value_kind:     global_buffer
      - .actual_access:  read_only
        .address_space:  global
        .offset:         112
        .size:           8
        .value_kind:     global_buffer
      - .actual_access:  read_only
        .address_space:  global
        .offset:         120
        .size:           8
        .value_kind:     global_buffer
      - .actual_access:  read_only
        .address_space:  global
        .offset:         128
        .size:           8
        .value_kind:     global_buffer
      - .actual_access:  write_only
        .address_space:  global
        .offset:         136
        .size:           8
        .value_kind:     global_buffer
      - .actual_access:  write_only
        .address_space:  global
        .offset:         144
        .size:           8
        .value_kind:     global_buffer
      - .offset:         152
        .size:           4
        .value_kind:     by_value
      - .offset:         156
        .size:           4
        .value_kind:     by_value
      - .offset:         160
        .size:           4
        .value_kind:     by_value
      - .offset:         164
        .size:           4
        .value_kind:     by_value
      - .offset:         168
        .size:           1
        .value_kind:     by_value
      - .offset:         169
        .size:           1
        .value_kind:     by_value
      - .offset:         170
        .size:           1
        .value_kind:     by_value
    .group_segment_fixed_size: 0
    .kernarg_segment_align: 8
    .kernarg_segment_size: 172
    .language:       OpenCL C
    .language_version:
      - 2
      - 0
    .max_flat_workgroup_size: 1024
    .name:           _ZN9rocsparseL26csrgemm_fill_block_per_rowILj1024ELj64ELj32768ELj137ELj64Ell21rocsparse_complex_numIdEEEvT5_PKS3_S5_NS_24const_host_device_scalarIT6_EEPKT4_S5_PKS7_SB_S5_SD_S8_SB_S5_SD_SB_PS3_PS7_21rocsparse_index_base_SG_SG_SG_bbb
    .private_segment_fixed_size: 40
    .sgpr_count:     50
    .sgpr_spill_count: 0
    .symbol:         _ZN9rocsparseL26csrgemm_fill_block_per_rowILj1024ELj64ELj32768ELj137ELj64Ell21rocsparse_complex_numIdEEEvT5_PKS3_S5_NS_24const_host_device_scalarIT6_EEPKT4_S5_PKS7_SB_S5_SD_S8_SB_S5_SD_SB_PS3_PS7_21rocsparse_index_base_SG_SG_SG_bbb.kd
    .uniform_work_group_size: 1
    .uses_dynamic_stack: false
    .vgpr_count:     37
    .vgpr_spill_count: 0
    .wavefront_size: 32
    .workgroup_processor_mode: 1
  - .args:
      - .offset:         0
        .size:           8
        .value_kind:     by_value
      - .actual_access:  read_only
        .address_space:  global
        .offset:         8
        .size:           8
        .value_kind:     global_buffer
      - .actual_access:  read_only
        .address_space:  global
        .offset:         16
        .size:           8
        .value_kind:     global_buffer
      - .offset:         24
        .size:           16
        .value_kind:     by_value
      - .actual_access:  read_only
        .address_space:  global
        .offset:         40
        .size:           8
        .value_kind:     global_buffer
      - .actual_access:  read_only
        .address_space:  global
        .offset:         48
        .size:           8
        .value_kind:     global_buffer
      - .actual_access:  read_only
        .address_space:  global
        .offset:         56
        .size:           8
        .value_kind:     global_buffer
      - .actual_access:  read_only
        .address_space:  global
        .offset:         64
        .size:           8
        .value_kind:     global_buffer
      - .actual_access:  read_only
        .address_space:  global
        .offset:         72
        .size:           8
        .value_kind:     global_buffer
      - .actual_access:  read_only
        .address_space:  global
        .offset:         80
        .size:           8
        .value_kind:     global_buffer
      - .offset:         88
        .size:           16
        .value_kind:     by_value
      - .actual_access:  read_only
        .address_space:  global
        .offset:         104
        .size:           8
        .value_kind:     global_buffer
      - .actual_access:  read_only
        .address_space:  global
        .offset:         112
        .size:           8
        .value_kind:     global_buffer
      - .actual_access:  read_only
        .address_space:  global
        .offset:         120
        .size:           8
        .value_kind:     global_buffer
      - .actual_access:  read_only
        .address_space:  global
        .offset:         128
        .size:           8
        .value_kind:     global_buffer
      - .actual_access:  write_only
        .address_space:  global
        .offset:         136
        .size:           8
        .value_kind:     global_buffer
      - .actual_access:  write_only
        .address_space:  global
        .offset:         144
        .size:           8
        .value_kind:     global_buffer
      - .address_space:  global
        .offset:         152
        .size:           8
        .value_kind:     global_buffer
      - .offset:         160
        .size:           4
        .value_kind:     by_value
      - .offset:         164
        .size:           4
        .value_kind:     by_value
      - .offset:         168
        .size:           4
        .value_kind:     by_value
      - .offset:         172
        .size:           4
        .value_kind:     by_value
      - .offset:         176
        .size:           1
        .value_kind:     by_value
      - .offset:         177
        .size:           1
        .value_kind:     by_value
      - .offset:         178
        .size:           1
        .value_kind:     by_value
    .group_segment_fixed_size: 43016
    .kernarg_segment_align: 8
    .kernarg_segment_size: 180
    .language:       OpenCL C
    .language_version:
      - 2
      - 0
    .max_flat_workgroup_size: 512
    .name:           _ZN9rocsparseL36csrgemm_fill_block_per_row_multipassILj512ELj16ELj2048ELj32Ell21rocsparse_complex_numIdEEEvT4_PKS3_S5_NS_24const_host_device_scalarIT5_EEPKT3_S5_PKS7_SB_S5_SD_S8_SB_S5_SD_SB_PS3_PS7_PS9_21rocsparse_index_base_SH_SH_SH_bbb
    .private_segment_fixed_size: 24
    .sgpr_count:     66
    .sgpr_spill_count: 0
    .symbol:         _ZN9rocsparseL36csrgemm_fill_block_per_row_multipassILj512ELj16ELj2048ELj32Ell21rocsparse_complex_numIdEEEvT4_PKS3_S5_NS_24const_host_device_scalarIT5_EEPKT3_S5_PKS7_SB_S5_SD_S8_SB_S5_SD_SB_PS3_PS7_PS9_21rocsparse_index_base_SH_SH_SH_bbb.kd
    .uniform_work_group_size: 1
    .uses_dynamic_stack: false
    .vgpr_count:     64
    .vgpr_spill_count: 0
    .wavefront_size: 32
    .workgroup_processor_mode: 1
  - .args:
      - .offset:         0
        .size:           8
        .value_kind:     by_value
      - .actual_access:  read_only
        .address_space:  global
        .offset:         8
        .size:           8
        .value_kind:     global_buffer
      - .actual_access:  read_only
        .address_space:  global
        .offset:         16
        .size:           8
        .value_kind:     global_buffer
      - .offset:         24
        .size:           16
        .value_kind:     by_value
      - .actual_access:  read_only
        .address_space:  global
        .offset:         40
        .size:           8
        .value_kind:     global_buffer
      - .actual_access:  read_only
        .address_space:  global
        .offset:         48
        .size:           8
        .value_kind:     global_buffer
      - .actual_access:  read_only
        .address_space:  global
        .offset:         56
        .size:           8
        .value_kind:     global_buffer
      - .actual_access:  read_only
        .address_space:  global
        .offset:         64
        .size:           8
        .value_kind:     global_buffer
      - .actual_access:  read_only
        .address_space:  global
        .offset:         72
        .size:           8
        .value_kind:     global_buffer
      - .actual_access:  read_only
        .address_space:  global
        .offset:         80
        .size:           8
        .value_kind:     global_buffer
      - .offset:         88
        .size:           16
        .value_kind:     by_value
      - .actual_access:  read_only
        .address_space:  global
        .offset:         104
        .size:           8
        .value_kind:     global_buffer
      - .actual_access:  read_only
        .address_space:  global
        .offset:         112
        .size:           8
        .value_kind:     global_buffer
      - .actual_access:  read_only
        .address_space:  global
        .offset:         120
        .size:           8
        .value_kind:     global_buffer
      - .actual_access:  read_only
        .address_space:  global
        .offset:         128
        .size:           8
        .value_kind:     global_buffer
      - .actual_access:  write_only
        .address_space:  global
        .offset:         136
        .size:           8
        .value_kind:     global_buffer
      - .actual_access:  write_only
        .address_space:  global
        .offset:         144
        .size:           8
        .value_kind:     global_buffer
      - .address_space:  global
        .offset:         152
        .size:           8
        .value_kind:     global_buffer
      - .offset:         160
        .size:           4
        .value_kind:     by_value
      - .offset:         164
        .size:           4
        .value_kind:     by_value
      - .offset:         168
        .size:           4
        .value_kind:     by_value
      - .offset:         172
        .size:           4
        .value_kind:     by_value
      - .offset:         176
        .size:           1
        .value_kind:     by_value
      - .offset:         177
        .size:           1
        .value_kind:     by_value
      - .offset:         178
        .size:           1
        .value_kind:     by_value
    .group_segment_fixed_size: 43016
    .kernarg_segment_align: 8
    .kernarg_segment_size: 180
    .language:       OpenCL C
    .language_version:
      - 2
      - 0
    .max_flat_workgroup_size: 512
    .name:           _ZN9rocsparseL36csrgemm_fill_block_per_row_multipassILj512ELj16ELj2048ELj64Ell21rocsparse_complex_numIdEEEvT4_PKS3_S5_NS_24const_host_device_scalarIT5_EEPKT3_S5_PKS7_SB_S5_SD_S8_SB_S5_SD_SB_PS3_PS7_PS9_21rocsparse_index_base_SH_SH_SH_bbb
    .private_segment_fixed_size: 24
    .sgpr_count:     58
    .sgpr_spill_count: 0
    .symbol:         _ZN9rocsparseL36csrgemm_fill_block_per_row_multipassILj512ELj16ELj2048ELj64Ell21rocsparse_complex_numIdEEEvT4_PKS3_S5_NS_24const_host_device_scalarIT5_EEPKT3_S5_PKS7_SB_S5_SD_S8_SB_S5_SD_SB_PS3_PS7_PS9_21rocsparse_index_base_SH_SH_SH_bbb.kd
    .uniform_work_group_size: 1
    .uses_dynamic_stack: false
    .vgpr_count:     64
    .vgpr_spill_count: 0
    .wavefront_size: 32
    .workgroup_processor_mode: 1
  - .args:
      - .offset:         0
        .size:           4
        .value_kind:     by_value
      - .actual_access:  read_only
        .address_space:  global
        .offset:         8
        .size:           8
        .value_kind:     global_buffer
      - .actual_access:  write_only
        .address_space:  global
        .offset:         16
        .size:           8
        .value_kind:     global_buffer
      - .offset:         24
        .size:           4
        .value_kind:     hidden_block_count_x
      - .offset:         28
        .size:           4
        .value_kind:     hidden_block_count_y
      - .offset:         32
        .size:           4
        .value_kind:     hidden_block_count_z
      - .offset:         36
        .size:           2
        .value_kind:     hidden_group_size_x
      - .offset:         38
        .size:           2
        .value_kind:     hidden_group_size_y
      - .offset:         40
        .size:           2
        .value_kind:     hidden_group_size_z
      - .offset:         42
        .size:           2
        .value_kind:     hidden_remainder_x
      - .offset:         44
        .size:           2
        .value_kind:     hidden_remainder_y
      - .offset:         46
        .size:           2
        .value_kind:     hidden_remainder_z
      - .offset:         64
        .size:           8
        .value_kind:     hidden_global_offset_x
      - .offset:         72
        .size:           8
        .value_kind:     hidden_global_offset_y
      - .offset:         80
        .size:           8
        .value_kind:     hidden_global_offset_z
      - .offset:         88
        .size:           2
        .value_kind:     hidden_grid_dims
    .group_segment_fixed_size: 1024
    .kernarg_segment_align: 8
    .kernarg_segment_size: 280
    .language:       OpenCL C
    .language_version:
      - 2
      - 0
    .max_flat_workgroup_size: 256
    .name:           _ZN9rocsparseL25csrgemm_max_row_nnz_part1ILj256EliEEvT1_PKT0_PS1_
    .private_segment_fixed_size: 0
    .sgpr_count:     18
    .sgpr_spill_count: 0
    .symbol:         _ZN9rocsparseL25csrgemm_max_row_nnz_part1ILj256EliEEvT1_PKT0_PS1_.kd
    .uniform_work_group_size: 1
    .uses_dynamic_stack: false
    .vgpr_count:     8
    .vgpr_spill_count: 0
    .wavefront_size: 32
    .workgroup_processor_mode: 1
  - .args:
      - .offset:         0
        .size:           4
        .value_kind:     by_value
      - .actual_access:  read_only
        .address_space:  global
        .offset:         8
        .size:           8
        .value_kind:     global_buffer
      - .actual_access:  write_only
        .address_space:  global
        .offset:         16
        .size:           8
        .value_kind:     global_buffer
      - .actual_access:  write_only
        .address_space:  global
        .offset:         24
        .size:           8
        .value_kind:     global_buffer
      - .offset:         32
        .size:           4
        .value_kind:     by_value
      - .offset:         40
        .size:           4
        .value_kind:     hidden_block_count_x
      - .offset:         44
        .size:           4
        .value_kind:     hidden_block_count_y
      - .offset:         48
        .size:           4
        .value_kind:     hidden_block_count_z
      - .offset:         52
        .size:           2
        .value_kind:     hidden_group_size_x
      - .offset:         54
        .size:           2
        .value_kind:     hidden_group_size_y
      - .offset:         56
        .size:           2
        .value_kind:     hidden_group_size_z
      - .offset:         58
        .size:           2
        .value_kind:     hidden_remainder_x
      - .offset:         60
        .size:           2
        .value_kind:     hidden_remainder_y
      - .offset:         62
        .size:           2
        .value_kind:     hidden_remainder_z
      - .offset:         80
        .size:           8
        .value_kind:     hidden_global_offset_x
      - .offset:         88
        .size:           8
        .value_kind:     hidden_global_offset_y
      - .offset:         96
        .size:           8
        .value_kind:     hidden_global_offset_z
      - .offset:         104
        .size:           2
        .value_kind:     hidden_grid_dims
    .group_segment_fixed_size: 11264
    .kernarg_segment_align: 8
    .kernarg_segment_size: 296
    .language:       OpenCL C
    .language_version:
      - 2
      - 0
    .max_flat_workgroup_size: 256
    .name:           _ZN9rocsparseL26csrgemm_group_reduce_part2ILj256ELj11EfliEEvT3_PKT2_PS1_Pij
    .private_segment_fixed_size: 0
    .sgpr_count:     28
    .sgpr_spill_count: 0
    .symbol:         _ZN9rocsparseL26csrgemm_group_reduce_part2ILj256ELj11EfliEEvT3_PKT2_PS1_Pij.kd
    .uniform_work_group_size: 1
    .uses_dynamic_stack: false
    .vgpr_count:     24
    .vgpr_spill_count: 0
    .wavefront_size: 32
    .workgroup_processor_mode: 1
  - .args:
      - .offset:         0
        .size:           4
        .value_kind:     by_value
      - .offset:         4
        .size:           4
        .value_kind:     by_value
      - .actual_access:  read_only
        .address_space:  global
        .offset:         8
        .size:           8
        .value_kind:     global_buffer
      - .actual_access:  read_only
        .address_space:  global
        .offset:         16
        .size:           8
        .value_kind:     global_buffer
      - .offset:         24
        .size:           8
        .value_kind:     by_value
      - .actual_access:  read_only
        .address_space:  global
        .offset:         32
        .size:           8
        .value_kind:     global_buffer
      - .actual_access:  read_only
        .address_space:  global
        .offset:         40
        .size:           8
        .value_kind:     global_buffer
      - .actual_access:  read_only
        .address_space:  global
        .offset:         48
        .size:           8
        .value_kind:     global_buffer
      - .actual_access:  read_only
        .address_space:  global
        .offset:         56
        .size:           8
        .value_kind:     global_buffer
      - .actual_access:  read_only
        .address_space:  global
        .offset:         64
        .size:           8
        .value_kind:     global_buffer
      - .actual_access:  read_only
        .address_space:  global
        .offset:         72
        .size:           8
        .value_kind:     global_buffer
      - .offset:         80
        .size:           8
        .value_kind:     by_value
      - .actual_access:  read_only
        .address_space:  global
        .offset:         88
        .size:           8
        .value_kind:     global_buffer
      - .actual_access:  read_only
        .address_space:  global
        .offset:         96
        .size:           8
        .value_kind:     global_buffer
      - .actual_access:  read_only
        .address_space:  global
        .offset:         104
        .size:           8
        .value_kind:     global_buffer
      - .actual_access:  read_only
        .address_space:  global
        .offset:         112
        .size:           8
        .value_kind:     global_buffer
      - .actual_access:  write_only
        .address_space:  global
        .offset:         120
        .size:           8
        .value_kind:     global_buffer
      - .actual_access:  write_only
        .address_space:  global
        .offset:         128
        .size:           8
        .value_kind:     global_buffer
      - .offset:         136
        .size:           4
        .value_kind:     by_value
      - .offset:         140
        .size:           4
        .value_kind:     by_value
      - .offset:         144
        .size:           4
        .value_kind:     by_value
      - .offset:         148
        .size:           4
        .value_kind:     by_value
      - .offset:         152
        .size:           1
        .value_kind:     by_value
      - .offset:         153
        .size:           1
        .value_kind:     by_value
      - .offset:         154
        .size:           1
        .value_kind:     by_value
    .group_segment_fixed_size: 4096
    .kernarg_segment_align: 8
    .kernarg_segment_size: 156
    .language:       OpenCL C
    .language_version:
      - 2
      - 0
    .max_flat_workgroup_size: 256
    .name:           _ZN9rocsparseL23csrgemm_fill_wf_per_rowILj256ELj8ELj16ELj137ElifEEvT4_S1_PKS1_S3_NS_24const_host_device_scalarIT5_EEPKT3_S3_PKS5_S9_S3_SB_S6_S9_S3_SB_S9_PS1_PS5_21rocsparse_index_base_SE_SE_SE_bbb
    .private_segment_fixed_size: 0
    .sgpr_count:     46
    .sgpr_spill_count: 0
    .symbol:         _ZN9rocsparseL23csrgemm_fill_wf_per_rowILj256ELj8ELj16ELj137ElifEEvT4_S1_PKS1_S3_NS_24const_host_device_scalarIT5_EEPKT3_S3_PKS5_S9_S3_SB_S6_S9_S3_SB_S9_PS1_PS5_21rocsparse_index_base_SE_SE_SE_bbb.kd
    .uniform_work_group_size: 1
    .uses_dynamic_stack: false
    .vgpr_count:     23
    .vgpr_spill_count: 0
    .wavefront_size: 32
    .workgroup_processor_mode: 1
  - .args:
      - .offset:         0
        .size:           4
        .value_kind:     by_value
      - .offset:         4
        .size:           4
        .value_kind:     by_value
      - .actual_access:  read_only
        .address_space:  global
        .offset:         8
        .size:           8
        .value_kind:     global_buffer
      - .actual_access:  read_only
        .address_space:  global
        .offset:         16
        .size:           8
        .value_kind:     global_buffer
      - .offset:         24
        .size:           8
        .value_kind:     by_value
      - .actual_access:  read_only
        .address_space:  global
        .offset:         32
        .size:           8
        .value_kind:     global_buffer
      - .actual_access:  read_only
        .address_space:  global
        .offset:         40
        .size:           8
        .value_kind:     global_buffer
      - .actual_access:  read_only
        .address_space:  global
        .offset:         48
        .size:           8
        .value_kind:     global_buffer
      - .actual_access:  read_only
        .address_space:  global
        .offset:         56
        .size:           8
        .value_kind:     global_buffer
      - .actual_access:  read_only
        .address_space:  global
        .offset:         64
        .size:           8
        .value_kind:     global_buffer
      - .actual_access:  read_only
        .address_space:  global
        .offset:         72
        .size:           8
        .value_kind:     global_buffer
      - .offset:         80
        .size:           8
        .value_kind:     by_value
      - .actual_access:  read_only
        .address_space:  global
        .offset:         88
        .size:           8
        .value_kind:     global_buffer
      - .actual_access:  read_only
        .address_space:  global
        .offset:         96
        .size:           8
        .value_kind:     global_buffer
      - .actual_access:  read_only
        .address_space:  global
        .offset:         104
        .size:           8
        .value_kind:     global_buffer
      - .actual_access:  read_only
        .address_space:  global
        .offset:         112
        .size:           8
        .value_kind:     global_buffer
      - .actual_access:  write_only
        .address_space:  global
        .offset:         120
        .size:           8
        .value_kind:     global_buffer
      - .actual_access:  write_only
        .address_space:  global
        .offset:         128
        .size:           8
        .value_kind:     global_buffer
      - .offset:         136
        .size:           4
        .value_kind:     by_value
      - .offset:         140
        .size:           4
        .value_kind:     by_value
      - .offset:         144
        .size:           4
        .value_kind:     by_value
      - .offset:         148
        .size:           4
        .value_kind:     by_value
      - .offset:         152
        .size:           1
        .value_kind:     by_value
      - .offset:         153
        .size:           1
        .value_kind:     by_value
      - .offset:         154
        .size:           1
        .value_kind:     by_value
    .group_segment_fixed_size: 4096
    .kernarg_segment_align: 8
    .kernarg_segment_size: 156
    .language:       OpenCL C
    .language_version:
      - 2
      - 0
    .max_flat_workgroup_size: 256
    .name:           _ZN9rocsparseL23csrgemm_fill_wf_per_rowILj256ELj16ELj32ELj137ElifEEvT4_S1_PKS1_S3_NS_24const_host_device_scalarIT5_EEPKT3_S3_PKS5_S9_S3_SB_S6_S9_S3_SB_S9_PS1_PS5_21rocsparse_index_base_SE_SE_SE_bbb
    .private_segment_fixed_size: 0
    .sgpr_count:     46
    .sgpr_spill_count: 0
    .symbol:         _ZN9rocsparseL23csrgemm_fill_wf_per_rowILj256ELj16ELj32ELj137ElifEEvT4_S1_PKS1_S3_NS_24const_host_device_scalarIT5_EEPKT3_S3_PKS5_S9_S3_SB_S6_S9_S3_SB_S9_PS1_PS5_21rocsparse_index_base_SE_SE_SE_bbb.kd
    .uniform_work_group_size: 1
    .uses_dynamic_stack: false
    .vgpr_count:     27
    .vgpr_spill_count: 0
    .wavefront_size: 32
    .workgroup_processor_mode: 1
  - .args:
      - .offset:         0
        .size:           4
        .value_kind:     by_value
      - .actual_access:  read_only
        .address_space:  global
        .offset:         8
        .size:           8
        .value_kind:     global_buffer
      - .actual_access:  read_only
        .address_space:  global
        .offset:         16
        .size:           8
        .value_kind:     global_buffer
      - .offset:         24
        .size:           8
        .value_kind:     by_value
      - .actual_access:  read_only
        .address_space:  global
        .offset:         32
        .size:           8
        .value_kind:     global_buffer
      - .actual_access:  read_only
        .address_space:  global
        .offset:         40
        .size:           8
        .value_kind:     global_buffer
      - .actual_access:  read_only
        .address_space:  global
        .offset:         48
        .size:           8
        .value_kind:     global_buffer
      - .actual_access:  read_only
        .address_space:  global
        .offset:         56
        .size:           8
        .value_kind:     global_buffer
      - .actual_access:  read_only
        .address_space:  global
        .offset:         64
        .size:           8
        .value_kind:     global_buffer
      - .actual_access:  read_only
        .address_space:  global
        .offset:         72
        .size:           8
        .value_kind:     global_buffer
      - .offset:         80
        .size:           8
        .value_kind:     by_value
      - .actual_access:  read_only
        .address_space:  global
        .offset:         88
        .size:           8
        .value_kind:     global_buffer
      - .actual_access:  read_only
        .address_space:  global
        .offset:         96
        .size:           8
        .value_kind:     global_buffer
      - .actual_access:  read_only
        .address_space:  global
        .offset:         104
        .size:           8
        .value_kind:     global_buffer
      - .actual_access:  read_only
        .address_space:  global
        .offset:         112
        .size:           8
        .value_kind:     global_buffer
      - .actual_access:  write_only
        .address_space:  global
        .offset:         120
        .size:           8
        .value_kind:     global_buffer
      - .actual_access:  write_only
        .address_space:  global
        .offset:         128
        .size:           8
        .value_kind:     global_buffer
      - .offset:         136
        .size:           4
        .value_kind:     by_value
      - .offset:         140
        .size:           4
        .value_kind:     by_value
      - .offset:         144
        .size:           4
        .value_kind:     by_value
      - .offset:         148
        .size:           4
        .value_kind:     by_value
      - .offset:         152
        .size:           1
        .value_kind:     by_value
      - .offset:         153
        .size:           1
        .value_kind:     by_value
      - .offset:         154
        .size:           1
        .value_kind:     by_value
    .group_segment_fixed_size: 0
    .kernarg_segment_align: 8
    .kernarg_segment_size: 156
    .language:       OpenCL C
    .language_version:
      - 2
      - 0
    .max_flat_workgroup_size: 128
    .name:           _ZN9rocsparseL26csrgemm_fill_block_per_rowILj128ELj16ELj256ELj137ELj32ElifEEvT5_PKS1_S3_NS_24const_host_device_scalarIT6_EEPKT4_S3_PKS5_S9_S3_SB_S6_S9_S3_SB_S9_PS1_PS5_21rocsparse_index_base_SE_SE_SE_bbb
    .private_segment_fixed_size: 0
    .sgpr_count:     46
    .sgpr_spill_count: 0
    .symbol:         _ZN9rocsparseL26csrgemm_fill_block_per_rowILj128ELj16ELj256ELj137ELj32ElifEEvT5_PKS1_S3_NS_24const_host_device_scalarIT6_EEPKT4_S3_PKS5_S9_S3_SB_S6_S9_S3_SB_S9_PS1_PS5_21rocsparse_index_base_SE_SE_SE_bbb.kd
    .uniform_work_group_size: 1
    .uses_dynamic_stack: false
    .vgpr_count:     19
    .vgpr_spill_count: 0
    .wavefront_size: 32
    .workgroup_processor_mode: 1
  - .args:
      - .offset:         0
        .size:           4
        .value_kind:     by_value
      - .actual_access:  read_only
        .address_space:  global
        .offset:         8
        .size:           8
        .value_kind:     global_buffer
      - .actual_access:  read_only
        .address_space:  global
        .offset:         16
        .size:           8
        .value_kind:     global_buffer
      - .offset:         24
        .size:           8
        .value_kind:     by_value
      - .actual_access:  read_only
        .address_space:  global
        .offset:         32
        .size:           8
        .value_kind:     global_buffer
      - .actual_access:  read_only
        .address_space:  global
        .offset:         40
        .size:           8
        .value_kind:     global_buffer
      - .actual_access:  read_only
        .address_space:  global
        .offset:         48
        .size:           8
        .value_kind:     global_buffer
      - .actual_access:  read_only
        .address_space:  global
        .offset:         56
        .size:           8
        .value_kind:     global_buffer
      - .actual_access:  read_only
        .address_space:  global
        .offset:         64
        .size:           8
        .value_kind:     global_buffer
      - .actual_access:  read_only
        .address_space:  global
        .offset:         72
        .size:           8
        .value_kind:     global_buffer
      - .offset:         80
        .size:           8
        .value_kind:     by_value
      - .actual_access:  read_only
        .address_space:  global
        .offset:         88
        .size:           8
        .value_kind:     global_buffer
      - .actual_access:  read_only
        .address_space:  global
        .offset:         96
        .size:           8
        .value_kind:     global_buffer
      - .actual_access:  read_only
        .address_space:  global
        .offset:         104
        .size:           8
        .value_kind:     global_buffer
      - .actual_access:  read_only
        .address_space:  global
        .offset:         112
        .size:           8
        .value_kind:     global_buffer
      - .actual_access:  write_only
        .address_space:  global
        .offset:         120
        .size:           8
        .value_kind:     global_buffer
      - .actual_access:  write_only
        .address_space:  global
        .offset:         128
        .size:           8
        .value_kind:     global_buffer
      - .offset:         136
        .size:           4
        .value_kind:     by_value
      - .offset:         140
        .size:           4
        .value_kind:     by_value
      - .offset:         144
        .size:           4
        .value_kind:     by_value
      - .offset:         148
        .size:           4
        .value_kind:     by_value
      - .offset:         152
        .size:           1
        .value_kind:     by_value
      - .offset:         153
        .size:           1
        .value_kind:     by_value
      - .offset:         154
        .size:           1
        .value_kind:     by_value
    .group_segment_fixed_size: 0
    .kernarg_segment_align: 8
    .kernarg_segment_size: 156
    .language:       OpenCL C
    .language_version:
      - 2
      - 0
    .max_flat_workgroup_size: 128
    .name:           _ZN9rocsparseL26csrgemm_fill_block_per_rowILj128ELj16ELj256ELj137ELj64ElifEEvT5_PKS1_S3_NS_24const_host_device_scalarIT6_EEPKT4_S3_PKS5_S9_S3_SB_S6_S9_S3_SB_S9_PS1_PS5_21rocsparse_index_base_SE_SE_SE_bbb
    .private_segment_fixed_size: 0
    .sgpr_count:     46
    .sgpr_spill_count: 0
    .symbol:         _ZN9rocsparseL26csrgemm_fill_block_per_rowILj128ELj16ELj256ELj137ELj64ElifEEvT5_PKS1_S3_NS_24const_host_device_scalarIT6_EEPKT4_S3_PKS5_S9_S3_SB_S6_S9_S3_SB_S9_PS1_PS5_21rocsparse_index_base_SE_SE_SE_bbb.kd
    .uniform_work_group_size: 1
    .uses_dynamic_stack: false
    .vgpr_count:     20
    .vgpr_spill_count: 0
    .wavefront_size: 32
    .workgroup_processor_mode: 1
  - .args:
      - .offset:         0
        .size:           4
        .value_kind:     by_value
      - .actual_access:  read_only
        .address_space:  global
        .offset:         8
        .size:           8
        .value_kind:     global_buffer
      - .actual_access:  read_only
        .address_space:  global
        .offset:         16
        .size:           8
        .value_kind:     global_buffer
      - .offset:         24
        .size:           8
        .value_kind:     by_value
      - .actual_access:  read_only
        .address_space:  global
        .offset:         32
        .size:           8
        .value_kind:     global_buffer
      - .actual_access:  read_only
        .address_space:  global
        .offset:         40
        .size:           8
        .value_kind:     global_buffer
      - .actual_access:  read_only
        .address_space:  global
        .offset:         48
        .size:           8
        .value_kind:     global_buffer
      - .actual_access:  read_only
        .address_space:  global
        .offset:         56
        .size:           8
        .value_kind:     global_buffer
      - .actual_access:  read_only
        .address_space:  global
        .offset:         64
        .size:           8
        .value_kind:     global_buffer
      - .actual_access:  read_only
        .address_space:  global
        .offset:         72
        .size:           8
        .value_kind:     global_buffer
      - .offset:         80
        .size:           8
        .value_kind:     by_value
      - .actual_access:  read_only
        .address_space:  global
        .offset:         88
        .size:           8
        .value_kind:     global_buffer
      - .actual_access:  read_only
        .address_space:  global
        .offset:         96
        .size:           8
        .value_kind:     global_buffer
      - .actual_access:  read_only
        .address_space:  global
        .offset:         104
        .size:           8
        .value_kind:     global_buffer
      - .actual_access:  read_only
        .address_space:  global
        .offset:         112
        .size:           8
        .value_kind:     global_buffer
      - .actual_access:  write_only
        .address_space:  global
        .offset:         120
        .size:           8
        .value_kind:     global_buffer
      - .actual_access:  write_only
        .address_space:  global
        .offset:         128
        .size:           8
        .value_kind:     global_buffer
      - .offset:         136
        .size:           4
        .value_kind:     by_value
      - .offset:         140
        .size:           4
        .value_kind:     by_value
      - .offset:         144
        .size:           4
        .value_kind:     by_value
      - .offset:         148
        .size:           4
        .value_kind:     by_value
      - .offset:         152
        .size:           1
        .value_kind:     by_value
      - .offset:         153
        .size:           1
        .value_kind:     by_value
      - .offset:         154
        .size:           1
        .value_kind:     by_value
    .group_segment_fixed_size: 0
    .kernarg_segment_align: 8
    .kernarg_segment_size: 156
    .language:       OpenCL C
    .language_version:
      - 2
      - 0
    .max_flat_workgroup_size: 256
    .name:           _ZN9rocsparseL26csrgemm_fill_block_per_rowILj256ELj32ELj512ELj137ELj32ElifEEvT5_PKS1_S3_NS_24const_host_device_scalarIT6_EEPKT4_S3_PKS5_S9_S3_SB_S6_S9_S3_SB_S9_PS1_PS5_21rocsparse_index_base_SE_SE_SE_bbb
    .private_segment_fixed_size: 0
    .sgpr_count:     46
    .sgpr_spill_count: 0
    .symbol:         _ZN9rocsparseL26csrgemm_fill_block_per_rowILj256ELj32ELj512ELj137ELj32ElifEEvT5_PKS1_S3_NS_24const_host_device_scalarIT6_EEPKT4_S3_PKS5_S9_S3_SB_S6_S9_S3_SB_S9_PS1_PS5_21rocsparse_index_base_SE_SE_SE_bbb.kd
    .uniform_work_group_size: 1
    .uses_dynamic_stack: false
    .vgpr_count:     20
    .vgpr_spill_count: 0
    .wavefront_size: 32
    .workgroup_processor_mode: 1
  - .args:
      - .offset:         0
        .size:           4
        .value_kind:     by_value
      - .actual_access:  read_only
        .address_space:  global
        .offset:         8
        .size:           8
        .value_kind:     global_buffer
      - .actual_access:  read_only
        .address_space:  global
        .offset:         16
        .size:           8
        .value_kind:     global_buffer
      - .offset:         24
        .size:           8
        .value_kind:     by_value
      - .actual_access:  read_only
        .address_space:  global
        .offset:         32
        .size:           8
        .value_kind:     global_buffer
      - .actual_access:  read_only
        .address_space:  global
        .offset:         40
        .size:           8
        .value_kind:     global_buffer
      - .actual_access:  read_only
        .address_space:  global
        .offset:         48
        .size:           8
        .value_kind:     global_buffer
      - .actual_access:  read_only
        .address_space:  global
        .offset:         56
        .size:           8
        .value_kind:     global_buffer
      - .actual_access:  read_only
        .address_space:  global
        .offset:         64
        .size:           8
        .value_kind:     global_buffer
      - .actual_access:  read_only
        .address_space:  global
        .offset:         72
        .size:           8
        .value_kind:     global_buffer
      - .offset:         80
        .size:           8
        .value_kind:     by_value
      - .actual_access:  read_only
        .address_space:  global
        .offset:         88
        .size:           8
        .value_kind:     global_buffer
      - .actual_access:  read_only
        .address_space:  global
        .offset:         96
        .size:           8
        .value_kind:     global_buffer
      - .actual_access:  read_only
        .address_space:  global
        .offset:         104
        .size:           8
        .value_kind:     global_buffer
      - .actual_access:  read_only
        .address_space:  global
        .offset:         112
        .size:           8
        .value_kind:     global_buffer
      - .actual_access:  write_only
        .address_space:  global
        .offset:         120
        .size:           8
        .value_kind:     global_buffer
      - .actual_access:  write_only
        .address_space:  global
        .offset:         128
        .size:           8
        .value_kind:     global_buffer
      - .offset:         136
        .size:           4
        .value_kind:     by_value
      - .offset:         140
        .size:           4
        .value_kind:     by_value
      - .offset:         144
        .size:           4
        .value_kind:     by_value
      - .offset:         148
        .size:           4
        .value_kind:     by_value
      - .offset:         152
        .size:           1
        .value_kind:     by_value
      - .offset:         153
        .size:           1
        .value_kind:     by_value
      - .offset:         154
        .size:           1
        .value_kind:     by_value
    .group_segment_fixed_size: 0
    .kernarg_segment_align: 8
    .kernarg_segment_size: 156
    .language:       OpenCL C
    .language_version:
      - 2
      - 0
    .max_flat_workgroup_size: 256
    .name:           _ZN9rocsparseL26csrgemm_fill_block_per_rowILj256ELj32ELj512ELj137ELj64ElifEEvT5_PKS1_S3_NS_24const_host_device_scalarIT6_EEPKT4_S3_PKS5_S9_S3_SB_S6_S9_S3_SB_S9_PS1_PS5_21rocsparse_index_base_SE_SE_SE_bbb
    .private_segment_fixed_size: 0
    .sgpr_count:     46
    .sgpr_spill_count: 0
    .symbol:         _ZN9rocsparseL26csrgemm_fill_block_per_rowILj256ELj32ELj512ELj137ELj64ElifEEvT5_PKS1_S3_NS_24const_host_device_scalarIT6_EEPKT4_S3_PKS5_S9_S3_SB_S6_S9_S3_SB_S9_PS1_PS5_21rocsparse_index_base_SE_SE_SE_bbb.kd
    .uniform_work_group_size: 1
    .uses_dynamic_stack: false
    .vgpr_count:     19
    .vgpr_spill_count: 0
    .wavefront_size: 32
    .workgroup_processor_mode: 1
  - .args:
      - .offset:         0
        .size:           4
        .value_kind:     by_value
      - .actual_access:  read_only
        .address_space:  global
        .offset:         8
        .size:           8
        .value_kind:     global_buffer
      - .actual_access:  read_only
        .address_space:  global
        .offset:         16
        .size:           8
        .value_kind:     global_buffer
      - .offset:         24
        .size:           8
        .value_kind:     by_value
      - .actual_access:  read_only
        .address_space:  global
        .offset:         32
        .size:           8
        .value_kind:     global_buffer
      - .actual_access:  read_only
        .address_space:  global
        .offset:         40
        .size:           8
        .value_kind:     global_buffer
      - .actual_access:  read_only
        .address_space:  global
        .offset:         48
        .size:           8
        .value_kind:     global_buffer
      - .actual_access:  read_only
        .address_space:  global
        .offset:         56
        .size:           8
        .value_kind:     global_buffer
      - .actual_access:  read_only
        .address_space:  global
        .offset:         64
        .size:           8
        .value_kind:     global_buffer
      - .actual_access:  read_only
        .address_space:  global
        .offset:         72
        .size:           8
        .value_kind:     global_buffer
      - .offset:         80
        .size:           8
        .value_kind:     by_value
      - .actual_access:  read_only
        .address_space:  global
        .offset:         88
        .size:           8
        .value_kind:     global_buffer
      - .actual_access:  read_only
        .address_space:  global
        .offset:         96
        .size:           8
        .value_kind:     global_buffer
      - .actual_access:  read_only
        .address_space:  global
        .offset:         104
        .size:           8
        .value_kind:     global_buffer
      - .actual_access:  read_only
        .address_space:  global
        .offset:         112
        .size:           8
        .value_kind:     global_buffer
      - .actual_access:  write_only
        .address_space:  global
        .offset:         120
        .size:           8
        .value_kind:     global_buffer
      - .actual_access:  write_only
        .address_space:  global
        .offset:         128
        .size:           8
        .value_kind:     global_buffer
      - .offset:         136
        .size:           4
        .value_kind:     by_value
      - .offset:         140
        .size:           4
        .value_kind:     by_value
      - .offset:         144
        .size:           4
        .value_kind:     by_value
      - .offset:         148
        .size:           4
        .value_kind:     by_value
      - .offset:         152
        .size:           1
        .value_kind:     by_value
      - .offset:         153
        .size:           1
        .value_kind:     by_value
      - .offset:         154
        .size:           1
        .value_kind:     by_value
    .group_segment_fixed_size: 0
    .kernarg_segment_align: 8
    .kernarg_segment_size: 156
    .language:       OpenCL C
    .language_version:
      - 2
      - 0
    .max_flat_workgroup_size: 512
    .name:           _ZN9rocsparseL26csrgemm_fill_block_per_rowILj512ELj32ELj1024ELj137ELj32ElifEEvT5_PKS1_S3_NS_24const_host_device_scalarIT6_EEPKT4_S3_PKS5_S9_S3_SB_S6_S9_S3_SB_S9_PS1_PS5_21rocsparse_index_base_SE_SE_SE_bbb
    .private_segment_fixed_size: 0
    .sgpr_count:     46
    .sgpr_spill_count: 0
    .symbol:         _ZN9rocsparseL26csrgemm_fill_block_per_rowILj512ELj32ELj1024ELj137ELj32ElifEEvT5_PKS1_S3_NS_24const_host_device_scalarIT6_EEPKT4_S3_PKS5_S9_S3_SB_S6_S9_S3_SB_S9_PS1_PS5_21rocsparse_index_base_SE_SE_SE_bbb.kd
    .uniform_work_group_size: 1
    .uses_dynamic_stack: false
    .vgpr_count:     20
    .vgpr_spill_count: 0
    .wavefront_size: 32
    .workgroup_processor_mode: 1
  - .args:
      - .offset:         0
        .size:           4
        .value_kind:     by_value
      - .actual_access:  read_only
        .address_space:  global
        .offset:         8
        .size:           8
        .value_kind:     global_buffer
      - .actual_access:  read_only
        .address_space:  global
        .offset:         16
        .size:           8
        .value_kind:     global_buffer
      - .offset:         24
        .size:           8
        .value_kind:     by_value
      - .actual_access:  read_only
        .address_space:  global
        .offset:         32
        .size:           8
        .value_kind:     global_buffer
      - .actual_access:  read_only
        .address_space:  global
        .offset:         40
        .size:           8
        .value_kind:     global_buffer
      - .actual_access:  read_only
        .address_space:  global
        .offset:         48
        .size:           8
        .value_kind:     global_buffer
      - .actual_access:  read_only
        .address_space:  global
        .offset:         56
        .size:           8
        .value_kind:     global_buffer
      - .actual_access:  read_only
        .address_space:  global
        .offset:         64
        .size:           8
        .value_kind:     global_buffer
      - .actual_access:  read_only
        .address_space:  global
        .offset:         72
        .size:           8
        .value_kind:     global_buffer
      - .offset:         80
        .size:           8
        .value_kind:     by_value
      - .actual_access:  read_only
        .address_space:  global
        .offset:         88
        .size:           8
        .value_kind:     global_buffer
      - .actual_access:  read_only
        .address_space:  global
        .offset:         96
        .size:           8
        .value_kind:     global_buffer
      - .actual_access:  read_only
        .address_space:  global
        .offset:         104
        .size:           8
        .value_kind:     global_buffer
      - .actual_access:  read_only
        .address_space:  global
        .offset:         112
        .size:           8
        .value_kind:     global_buffer
      - .actual_access:  write_only
        .address_space:  global
        .offset:         120
        .size:           8
        .value_kind:     global_buffer
      - .actual_access:  write_only
        .address_space:  global
        .offset:         128
        .size:           8
        .value_kind:     global_buffer
      - .offset:         136
        .size:           4
        .value_kind:     by_value
      - .offset:         140
        .size:           4
        .value_kind:     by_value
      - .offset:         144
        .size:           4
        .value_kind:     by_value
      - .offset:         148
        .size:           4
        .value_kind:     by_value
      - .offset:         152
        .size:           1
        .value_kind:     by_value
      - .offset:         153
        .size:           1
        .value_kind:     by_value
      - .offset:         154
        .size:           1
        .value_kind:     by_value
    .group_segment_fixed_size: 0
    .kernarg_segment_align: 8
    .kernarg_segment_size: 156
    .language:       OpenCL C
    .language_version:
      - 2
      - 0
    .max_flat_workgroup_size: 512
    .name:           _ZN9rocsparseL26csrgemm_fill_block_per_rowILj512ELj32ELj1024ELj137ELj64ElifEEvT5_PKS1_S3_NS_24const_host_device_scalarIT6_EEPKT4_S3_PKS5_S9_S3_SB_S6_S9_S3_SB_S9_PS1_PS5_21rocsparse_index_base_SE_SE_SE_bbb
    .private_segment_fixed_size: 0
    .sgpr_count:     46
    .sgpr_spill_count: 0
    .symbol:         _ZN9rocsparseL26csrgemm_fill_block_per_rowILj512ELj32ELj1024ELj137ELj64ElifEEvT5_PKS1_S3_NS_24const_host_device_scalarIT6_EEPKT4_S3_PKS5_S9_S3_SB_S6_S9_S3_SB_S9_PS1_PS5_21rocsparse_index_base_SE_SE_SE_bbb.kd
    .uniform_work_group_size: 1
    .uses_dynamic_stack: false
    .vgpr_count:     19
    .vgpr_spill_count: 0
    .wavefront_size: 32
    .workgroup_processor_mode: 1
  - .args:
      - .offset:         0
        .size:           4
        .value_kind:     by_value
      - .actual_access:  read_only
        .address_space:  global
        .offset:         8
        .size:           8
        .value_kind:     global_buffer
      - .actual_access:  read_only
        .address_space:  global
        .offset:         16
        .size:           8
        .value_kind:     global_buffer
      - .offset:         24
        .size:           8
        .value_kind:     by_value
      - .actual_access:  read_only
        .address_space:  global
        .offset:         32
        .size:           8
        .value_kind:     global_buffer
      - .actual_access:  read_only
        .address_space:  global
        .offset:         40
        .size:           8
        .value_kind:     global_buffer
      - .actual_access:  read_only
        .address_space:  global
        .offset:         48
        .size:           8
        .value_kind:     global_buffer
      - .actual_access:  read_only
        .address_space:  global
        .offset:         56
        .size:           8
        .value_kind:     global_buffer
      - .actual_access:  read_only
        .address_space:  global
        .offset:         64
        .size:           8
        .value_kind:     global_buffer
      - .actual_access:  read_only
        .address_space:  global
        .offset:         72
        .size:           8
        .value_kind:     global_buffer
      - .offset:         80
        .size:           8
        .value_kind:     by_value
      - .actual_access:  read_only
        .address_space:  global
        .offset:         88
        .size:           8
        .value_kind:     global_buffer
      - .actual_access:  read_only
        .address_space:  global
        .offset:         96
        .size:           8
        .value_kind:     global_buffer
      - .actual_access:  read_only
        .address_space:  global
        .offset:         104
        .size:           8
        .value_kind:     global_buffer
      - .actual_access:  read_only
        .address_space:  global
        .offset:         112
        .size:           8
        .value_kind:     global_buffer
      - .actual_access:  write_only
        .address_space:  global
        .offset:         120
        .size:           8
        .value_kind:     global_buffer
      - .actual_access:  write_only
        .address_space:  global
        .offset:         128
        .size:           8
        .value_kind:     global_buffer
      - .offset:         136
        .size:           4
        .value_kind:     by_value
      - .offset:         140
        .size:           4
        .value_kind:     by_value
      - .offset:         144
        .size:           4
        .value_kind:     by_value
      - .offset:         148
        .size:           4
        .value_kind:     by_value
      - .offset:         152
        .size:           1
        .value_kind:     by_value
      - .offset:         153
        .size:           1
        .value_kind:     by_value
      - .offset:         154
        .size:           1
        .value_kind:     by_value
    .group_segment_fixed_size: 0
    .kernarg_segment_align: 8
    .kernarg_segment_size: 156
    .language:       OpenCL C
    .language_version:
      - 2
      - 0
    .max_flat_workgroup_size: 1024
    .name:           _ZN9rocsparseL26csrgemm_fill_block_per_rowILj1024ELj32ELj2048ELj137ELj32ElifEEvT5_PKS1_S3_NS_24const_host_device_scalarIT6_EEPKT4_S3_PKS5_S9_S3_SB_S6_S9_S3_SB_S9_PS1_PS5_21rocsparse_index_base_SE_SE_SE_bbb
    .private_segment_fixed_size: 0
    .sgpr_count:     54
    .sgpr_spill_count: 0
    .symbol:         _ZN9rocsparseL26csrgemm_fill_block_per_rowILj1024ELj32ELj2048ELj137ELj32ElifEEvT5_PKS1_S3_NS_24const_host_device_scalarIT6_EEPKT4_S3_PKS5_S9_S3_SB_S6_S9_S3_SB_S9_PS1_PS5_21rocsparse_index_base_SE_SE_SE_bbb.kd
    .uniform_work_group_size: 1
    .uses_dynamic_stack: false
    .vgpr_count:     20
    .vgpr_spill_count: 0
    .wavefront_size: 32
    .workgroup_processor_mode: 1
  - .args:
      - .offset:         0
        .size:           4
        .value_kind:     by_value
      - .actual_access:  read_only
        .address_space:  global
        .offset:         8
        .size:           8
        .value_kind:     global_buffer
      - .actual_access:  read_only
        .address_space:  global
        .offset:         16
        .size:           8
        .value_kind:     global_buffer
      - .offset:         24
        .size:           8
        .value_kind:     by_value
      - .actual_access:  read_only
        .address_space:  global
        .offset:         32
        .size:           8
        .value_kind:     global_buffer
      - .actual_access:  read_only
        .address_space:  global
        .offset:         40
        .size:           8
        .value_kind:     global_buffer
      - .actual_access:  read_only
        .address_space:  global
        .offset:         48
        .size:           8
        .value_kind:     global_buffer
      - .actual_access:  read_only
        .address_space:  global
        .offset:         56
        .size:           8
        .value_kind:     global_buffer
      - .actual_access:  read_only
        .address_space:  global
        .offset:         64
        .size:           8
        .value_kind:     global_buffer
      - .actual_access:  read_only
        .address_space:  global
        .offset:         72
        .size:           8
        .value_kind:     global_buffer
      - .offset:         80
        .size:           8
        .value_kind:     by_value
      - .actual_access:  read_only
        .address_space:  global
        .offset:         88
        .size:           8
        .value_kind:     global_buffer
      - .actual_access:  read_only
        .address_space:  global
        .offset:         96
        .size:           8
        .value_kind:     global_buffer
      - .actual_access:  read_only
        .address_space:  global
        .offset:         104
        .size:           8
        .value_kind:     global_buffer
      - .actual_access:  read_only
        .address_space:  global
        .offset:         112
        .size:           8
        .value_kind:     global_buffer
      - .actual_access:  write_only
        .address_space:  global
        .offset:         120
        .size:           8
        .value_kind:     global_buffer
      - .actual_access:  write_only
        .address_space:  global
        .offset:         128
        .size:           8
        .value_kind:     global_buffer
      - .offset:         136
        .size:           4
        .value_kind:     by_value
      - .offset:         140
        .size:           4
        .value_kind:     by_value
      - .offset:         144
        .size:           4
        .value_kind:     by_value
      - .offset:         148
        .size:           4
        .value_kind:     by_value
      - .offset:         152
        .size:           1
        .value_kind:     by_value
      - .offset:         153
        .size:           1
        .value_kind:     by_value
      - .offset:         154
        .size:           1
        .value_kind:     by_value
    .group_segment_fixed_size: 0
    .kernarg_segment_align: 8
    .kernarg_segment_size: 156
    .language:       OpenCL C
    .language_version:
      - 2
      - 0
    .max_flat_workgroup_size: 1024
    .name:           _ZN9rocsparseL26csrgemm_fill_block_per_rowILj1024ELj32ELj2048ELj137ELj64ElifEEvT5_PKS1_S3_NS_24const_host_device_scalarIT6_EEPKT4_S3_PKS5_S9_S3_SB_S6_S9_S3_SB_S9_PS1_PS5_21rocsparse_index_base_SE_SE_SE_bbb
    .private_segment_fixed_size: 0
    .sgpr_count:     46
    .sgpr_spill_count: 0
    .symbol:         _ZN9rocsparseL26csrgemm_fill_block_per_rowILj1024ELj32ELj2048ELj137ELj64ElifEEvT5_PKS1_S3_NS_24const_host_device_scalarIT6_EEPKT4_S3_PKS5_S9_S3_SB_S6_S9_S3_SB_S9_PS1_PS5_21rocsparse_index_base_SE_SE_SE_bbb.kd
    .uniform_work_group_size: 1
    .uses_dynamic_stack: false
    .vgpr_count:     19
    .vgpr_spill_count: 0
    .wavefront_size: 32
    .workgroup_processor_mode: 1
  - .args:
      - .offset:         0
        .size:           4
        .value_kind:     by_value
      - .actual_access:  read_only
        .address_space:  global
        .offset:         8
        .size:           8
        .value_kind:     global_buffer
      - .actual_access:  read_only
        .address_space:  global
        .offset:         16
        .size:           8
        .value_kind:     global_buffer
      - .offset:         24
        .size:           8
        .value_kind:     by_value
      - .actual_access:  read_only
        .address_space:  global
        .offset:         32
        .size:           8
        .value_kind:     global_buffer
      - .actual_access:  read_only
        .address_space:  global
        .offset:         40
        .size:           8
        .value_kind:     global_buffer
      - .actual_access:  read_only
        .address_space:  global
        .offset:         48
        .size:           8
        .value_kind:     global_buffer
      - .actual_access:  read_only
        .address_space:  global
        .offset:         56
        .size:           8
        .value_kind:     global_buffer
      - .actual_access:  read_only
        .address_space:  global
        .offset:         64
        .size:           8
        .value_kind:     global_buffer
      - .actual_access:  read_only
        .address_space:  global
        .offset:         72
        .size:           8
        .value_kind:     global_buffer
      - .offset:         80
        .size:           8
        .value_kind:     by_value
      - .actual_access:  read_only
        .address_space:  global
        .offset:         88
        .size:           8
        .value_kind:     global_buffer
      - .actual_access:  read_only
        .address_space:  global
        .offset:         96
        .size:           8
        .value_kind:     global_buffer
      - .actual_access:  read_only
        .address_space:  global
        .offset:         104
        .size:           8
        .value_kind:     global_buffer
      - .actual_access:  read_only
        .address_space:  global
        .offset:         112
        .size:           8
        .value_kind:     global_buffer
      - .actual_access:  write_only
        .address_space:  global
        .offset:         120
        .size:           8
        .value_kind:     global_buffer
      - .actual_access:  write_only
        .address_space:  global
        .offset:         128
        .size:           8
        .value_kind:     global_buffer
      - .offset:         136
        .size:           4
        .value_kind:     by_value
      - .offset:         140
        .size:           4
        .value_kind:     by_value
      - .offset:         144
        .size:           4
        .value_kind:     by_value
      - .offset:         148
        .size:           4
        .value_kind:     by_value
      - .offset:         152
        .size:           1
        .value_kind:     by_value
      - .offset:         153
        .size:           1
        .value_kind:     by_value
      - .offset:         154
        .size:           1
        .value_kind:     by_value
    .group_segment_fixed_size: 0
    .kernarg_segment_align: 8
    .kernarg_segment_size: 156
    .language:       OpenCL C
    .language_version:
      - 2
      - 0
    .max_flat_workgroup_size: 1024
    .name:           _ZN9rocsparseL26csrgemm_fill_block_per_rowILj1024ELj64ELj4096ELj137ELj32ElifEEvT5_PKS1_S3_NS_24const_host_device_scalarIT6_EEPKT4_S3_PKS5_S9_S3_SB_S6_S9_S3_SB_S9_PS1_PS5_21rocsparse_index_base_SE_SE_SE_bbb
    .private_segment_fixed_size: 0
    .sgpr_count:     54
    .sgpr_spill_count: 0
    .symbol:         _ZN9rocsparseL26csrgemm_fill_block_per_rowILj1024ELj64ELj4096ELj137ELj32ElifEEvT5_PKS1_S3_NS_24const_host_device_scalarIT6_EEPKT4_S3_PKS5_S9_S3_SB_S6_S9_S3_SB_S9_PS1_PS5_21rocsparse_index_base_SE_SE_SE_bbb.kd
    .uniform_work_group_size: 1
    .uses_dynamic_stack: false
    .vgpr_count:     19
    .vgpr_spill_count: 0
    .wavefront_size: 32
    .workgroup_processor_mode: 1
  - .args:
      - .offset:         0
        .size:           4
        .value_kind:     by_value
      - .actual_access:  read_only
        .address_space:  global
        .offset:         8
        .size:           8
        .value_kind:     global_buffer
      - .actual_access:  read_only
        .address_space:  global
        .offset:         16
        .size:           8
        .value_kind:     global_buffer
      - .offset:         24
        .size:           8
        .value_kind:     by_value
      - .actual_access:  read_only
        .address_space:  global
        .offset:         32
        .size:           8
        .value_kind:     global_buffer
      - .actual_access:  read_only
        .address_space:  global
        .offset:         40
        .size:           8
        .value_kind:     global_buffer
      - .actual_access:  read_only
        .address_space:  global
        .offset:         48
        .size:           8
        .value_kind:     global_buffer
      - .actual_access:  read_only
        .address_space:  global
        .offset:         56
        .size:           8
        .value_kind:     global_buffer
      - .actual_access:  read_only
        .address_space:  global
        .offset:         64
        .size:           8
        .value_kind:     global_buffer
      - .actual_access:  read_only
        .address_space:  global
        .offset:         72
        .size:           8
        .value_kind:     global_buffer
      - .offset:         80
        .size:           8
        .value_kind:     by_value
      - .actual_access:  read_only
        .address_space:  global
        .offset:         88
        .size:           8
        .value_kind:     global_buffer
      - .actual_access:  read_only
        .address_space:  global
        .offset:         96
        .size:           8
        .value_kind:     global_buffer
      - .actual_access:  read_only
        .address_space:  global
        .offset:         104
        .size:           8
        .value_kind:     global_buffer
      - .actual_access:  read_only
        .address_space:  global
        .offset:         112
        .size:           8
        .value_kind:     global_buffer
      - .actual_access:  write_only
        .address_space:  global
        .offset:         120
        .size:           8
        .value_kind:     global_buffer
      - .actual_access:  write_only
        .address_space:  global
        .offset:         128
        .size:           8
        .value_kind:     global_buffer
      - .offset:         136
        .size:           4
        .value_kind:     by_value
      - .offset:         140
        .size:           4
        .value_kind:     by_value
      - .offset:         144
        .size:           4
        .value_kind:     by_value
      - .offset:         148
        .size:           4
        .value_kind:     by_value
      - .offset:         152
        .size:           1
        .value_kind:     by_value
      - .offset:         153
        .size:           1
        .value_kind:     by_value
      - .offset:         154
        .size:           1
        .value_kind:     by_value
    .group_segment_fixed_size: 0
    .kernarg_segment_align: 8
    .kernarg_segment_size: 156
    .language:       OpenCL C
    .language_version:
      - 2
      - 0
    .max_flat_workgroup_size: 1024
    .name:           _ZN9rocsparseL26csrgemm_fill_block_per_rowILj1024ELj64ELj4096ELj137ELj64ElifEEvT5_PKS1_S3_NS_24const_host_device_scalarIT6_EEPKT4_S3_PKS5_S9_S3_SB_S6_S9_S3_SB_S9_PS1_PS5_21rocsparse_index_base_SE_SE_SE_bbb
    .private_segment_fixed_size: 0
    .sgpr_count:     46
    .sgpr_spill_count: 0
    .symbol:         _ZN9rocsparseL26csrgemm_fill_block_per_rowILj1024ELj64ELj4096ELj137ELj64ElifEEvT5_PKS1_S3_NS_24const_host_device_scalarIT6_EEPKT4_S3_PKS5_S9_S3_SB_S6_S9_S3_SB_S9_PS1_PS5_21rocsparse_index_base_SE_SE_SE_bbb.kd
    .uniform_work_group_size: 1
    .uses_dynamic_stack: false
    .vgpr_count:     20
    .vgpr_spill_count: 0
    .wavefront_size: 32
    .workgroup_processor_mode: 1
  - .args:
      - .offset:         0
        .size:           4
        .value_kind:     by_value
      - .actual_access:  read_only
        .address_space:  global
        .offset:         8
        .size:           8
        .value_kind:     global_buffer
      - .actual_access:  read_only
        .address_space:  global
        .offset:         16
        .size:           8
        .value_kind:     global_buffer
      - .offset:         24
        .size:           8
        .value_kind:     by_value
      - .actual_access:  read_only
        .address_space:  global
        .offset:         32
        .size:           8
        .value_kind:     global_buffer
      - .actual_access:  read_only
        .address_space:  global
        .offset:         40
        .size:           8
        .value_kind:     global_buffer
      - .actual_access:  read_only
        .address_space:  global
        .offset:         48
        .size:           8
        .value_kind:     global_buffer
      - .actual_access:  read_only
        .address_space:  global
        .offset:         56
        .size:           8
        .value_kind:     global_buffer
      - .actual_access:  read_only
        .address_space:  global
        .offset:         64
        .size:           8
        .value_kind:     global_buffer
      - .actual_access:  read_only
        .address_space:  global
        .offset:         72
        .size:           8
        .value_kind:     global_buffer
      - .offset:         80
        .size:           8
        .value_kind:     by_value
      - .actual_access:  read_only
        .address_space:  global
        .offset:         88
        .size:           8
        .value_kind:     global_buffer
      - .actual_access:  read_only
        .address_space:  global
        .offset:         96
        .size:           8
        .value_kind:     global_buffer
      - .actual_access:  read_only
        .address_space:  global
        .offset:         104
        .size:           8
        .value_kind:     global_buffer
      - .actual_access:  read_only
        .address_space:  global
        .offset:         112
        .size:           8
        .value_kind:     global_buffer
      - .actual_access:  write_only
        .address_space:  global
        .offset:         120
        .size:           8
        .value_kind:     global_buffer
      - .actual_access:  write_only
        .address_space:  global
        .offset:         128
        .size:           8
        .value_kind:     global_buffer
      - .offset:         136
        .size:           4
        .value_kind:     by_value
      - .offset:         140
        .size:           4
        .value_kind:     by_value
      - .offset:         144
        .size:           4
        .value_kind:     by_value
      - .offset:         148
        .size:           4
        .value_kind:     by_value
      - .offset:         152
        .size:           1
        .value_kind:     by_value
      - .offset:         153
        .size:           1
        .value_kind:     by_value
      - .offset:         154
        .size:           1
        .value_kind:     by_value
    .group_segment_fixed_size: 0
    .kernarg_segment_align: 8
    .kernarg_segment_size: 156
    .language:       OpenCL C
    .language_version:
      - 2
      - 0
    .max_flat_workgroup_size: 1024
    .name:           _ZN9rocsparseL26csrgemm_fill_block_per_rowILj1024ELj64ELj8192ELj137ELj32ElifEEvT5_PKS1_S3_NS_24const_host_device_scalarIT6_EEPKT4_S3_PKS5_S9_S3_SB_S6_S9_S3_SB_S9_PS1_PS5_21rocsparse_index_base_SE_SE_SE_bbb
    .private_segment_fixed_size: 0
    .sgpr_count:     78
    .sgpr_spill_count: 0
    .symbol:         _ZN9rocsparseL26csrgemm_fill_block_per_rowILj1024ELj64ELj8192ELj137ELj32ElifEEvT5_PKS1_S3_NS_24const_host_device_scalarIT6_EEPKT4_S3_PKS5_S9_S3_SB_S6_S9_S3_SB_S9_PS1_PS5_21rocsparse_index_base_SE_SE_SE_bbb.kd
    .uniform_work_group_size: 1
    .uses_dynamic_stack: false
    .vgpr_count:     17
    .vgpr_spill_count: 0
    .wavefront_size: 32
    .workgroup_processor_mode: 1
  - .args:
      - .offset:         0
        .size:           4
        .value_kind:     by_value
      - .actual_access:  read_only
        .address_space:  global
        .offset:         8
        .size:           8
        .value_kind:     global_buffer
      - .actual_access:  read_only
        .address_space:  global
        .offset:         16
        .size:           8
        .value_kind:     global_buffer
      - .offset:         24
        .size:           8
        .value_kind:     by_value
      - .actual_access:  read_only
        .address_space:  global
        .offset:         32
        .size:           8
        .value_kind:     global_buffer
      - .actual_access:  read_only
        .address_space:  global
        .offset:         40
        .size:           8
        .value_kind:     global_buffer
      - .actual_access:  read_only
        .address_space:  global
        .offset:         48
        .size:           8
        .value_kind:     global_buffer
      - .actual_access:  read_only
        .address_space:  global
        .offset:         56
        .size:           8
        .value_kind:     global_buffer
      - .actual_access:  read_only
        .address_space:  global
        .offset:         64
        .size:           8
        .value_kind:     global_buffer
      - .actual_access:  read_only
        .address_space:  global
        .offset:         72
        .size:           8
        .value_kind:     global_buffer
      - .offset:         80
        .size:           8
        .value_kind:     by_value
      - .actual_access:  read_only
        .address_space:  global
        .offset:         88
        .size:           8
        .value_kind:     global_buffer
      - .actual_access:  read_only
        .address_space:  global
        .offset:         96
        .size:           8
        .value_kind:     global_buffer
      - .actual_access:  read_only
        .address_space:  global
        .offset:         104
        .size:           8
        .value_kind:     global_buffer
      - .actual_access:  read_only
        .address_space:  global
        .offset:         112
        .size:           8
        .value_kind:     global_buffer
      - .actual_access:  write_only
        .address_space:  global
        .offset:         120
        .size:           8
        .value_kind:     global_buffer
      - .actual_access:  write_only
        .address_space:  global
        .offset:         128
        .size:           8
        .value_kind:     global_buffer
      - .offset:         136
        .size:           4
        .value_kind:     by_value
      - .offset:         140
        .size:           4
        .value_kind:     by_value
      - .offset:         144
        .size:           4
        .value_kind:     by_value
      - .offset:         148
        .size:           4
        .value_kind:     by_value
      - .offset:         152
        .size:           1
        .value_kind:     by_value
      - .offset:         153
        .size:           1
        .value_kind:     by_value
      - .offset:         154
        .size:           1
        .value_kind:     by_value
    .group_segment_fixed_size: 0
    .kernarg_segment_align: 8
    .kernarg_segment_size: 156
    .language:       OpenCL C
    .language_version:
      - 2
      - 0
    .max_flat_workgroup_size: 1024
    .name:           _ZN9rocsparseL26csrgemm_fill_block_per_rowILj1024ELj64ELj8192ELj137ELj64ElifEEvT5_PKS1_S3_NS_24const_host_device_scalarIT6_EEPKT4_S3_PKS5_S9_S3_SB_S6_S9_S3_SB_S9_PS1_PS5_21rocsparse_index_base_SE_SE_SE_bbb
    .private_segment_fixed_size: 0
    .sgpr_count:     46
    .sgpr_spill_count: 0
    .symbol:         _ZN9rocsparseL26csrgemm_fill_block_per_rowILj1024ELj64ELj8192ELj137ELj64ElifEEvT5_PKS1_S3_NS_24const_host_device_scalarIT6_EEPKT4_S3_PKS5_S9_S3_SB_S6_S9_S3_SB_S9_PS1_PS5_21rocsparse_index_base_SE_SE_SE_bbb.kd
    .uniform_work_group_size: 1
    .uses_dynamic_stack: false
    .vgpr_count:     18
    .vgpr_spill_count: 0
    .wavefront_size: 32
    .workgroup_processor_mode: 1
  - .args:
      - .offset:         0
        .size:           4
        .value_kind:     by_value
      - .actual_access:  read_only
        .address_space:  global
        .offset:         8
        .size:           8
        .value_kind:     global_buffer
      - .actual_access:  read_only
        .address_space:  global
        .offset:         16
        .size:           8
        .value_kind:     global_buffer
      - .offset:         24
        .size:           8
        .value_kind:     by_value
      - .actual_access:  read_only
        .address_space:  global
        .offset:         32
        .size:           8
        .value_kind:     global_buffer
      - .actual_access:  read_only
        .address_space:  global
        .offset:         40
        .size:           8
        .value_kind:     global_buffer
      - .actual_access:  read_only
        .address_space:  global
        .offset:         48
        .size:           8
        .value_kind:     global_buffer
      - .actual_access:  read_only
        .address_space:  global
        .offset:         56
        .size:           8
        .value_kind:     global_buffer
      - .actual_access:  read_only
        .address_space:  global
        .offset:         64
        .size:           8
        .value_kind:     global_buffer
      - .actual_access:  read_only
        .address_space:  global
        .offset:         72
        .size:           8
        .value_kind:     global_buffer
      - .offset:         80
        .size:           8
        .value_kind:     by_value
      - .actual_access:  read_only
        .address_space:  global
        .offset:         88
        .size:           8
        .value_kind:     global_buffer
      - .actual_access:  read_only
        .address_space:  global
        .offset:         96
        .size:           8
        .value_kind:     global_buffer
      - .actual_access:  read_only
        .address_space:  global
        .offset:         104
        .size:           8
        .value_kind:     global_buffer
      - .actual_access:  read_only
        .address_space:  global
        .offset:         112
        .size:           8
        .value_kind:     global_buffer
      - .actual_access:  write_only
        .address_space:  global
        .offset:         120
        .size:           8
        .value_kind:     global_buffer
      - .actual_access:  write_only
        .address_space:  global
        .offset:         128
        .size:           8
        .value_kind:     global_buffer
      - .offset:         136
        .size:           4
        .value_kind:     by_value
      - .offset:         140
        .size:           4
        .value_kind:     by_value
      - .offset:         144
        .size:           4
        .value_kind:     by_value
      - .offset:         148
        .size:           4
        .value_kind:     by_value
      - .offset:         152
        .size:           1
        .value_kind:     by_value
      - .offset:         153
        .size:           1
        .value_kind:     by_value
      - .offset:         154
        .size:           1
        .value_kind:     by_value
    .group_segment_fixed_size: 0
    .kernarg_segment_align: 8
    .kernarg_segment_size: 156
    .language:       OpenCL C
    .language_version:
      - 2
      - 0
    .max_flat_workgroup_size: 1024
    .name:           _ZN9rocsparseL26csrgemm_fill_block_per_rowILj1024ELj64ELj16384ELj137ELj32ElifEEvT5_PKS1_S3_NS_24const_host_device_scalarIT6_EEPKT4_S3_PKS5_S9_S3_SB_S6_S9_S3_SB_S9_PS1_PS5_21rocsparse_index_base_SE_SE_SE_bbb
    .private_segment_fixed_size: 0
    .sgpr_count:     78
    .sgpr_spill_count: 0
    .symbol:         _ZN9rocsparseL26csrgemm_fill_block_per_rowILj1024ELj64ELj16384ELj137ELj32ElifEEvT5_PKS1_S3_NS_24const_host_device_scalarIT6_EEPKT4_S3_PKS5_S9_S3_SB_S6_S9_S3_SB_S9_PS1_PS5_21rocsparse_index_base_SE_SE_SE_bbb.kd
    .uniform_work_group_size: 1
    .uses_dynamic_stack: false
    .vgpr_count:     19
    .vgpr_spill_count: 0
    .wavefront_size: 32
    .workgroup_processor_mode: 1
  - .args:
      - .offset:         0
        .size:           4
        .value_kind:     by_value
      - .actual_access:  read_only
        .address_space:  global
        .offset:         8
        .size:           8
        .value_kind:     global_buffer
      - .actual_access:  read_only
        .address_space:  global
        .offset:         16
        .size:           8
        .value_kind:     global_buffer
      - .offset:         24
        .size:           8
        .value_kind:     by_value
      - .actual_access:  read_only
        .address_space:  global
        .offset:         32
        .size:           8
        .value_kind:     global_buffer
      - .actual_access:  read_only
        .address_space:  global
        .offset:         40
        .size:           8
        .value_kind:     global_buffer
      - .actual_access:  read_only
        .address_space:  global
        .offset:         48
        .size:           8
        .value_kind:     global_buffer
      - .actual_access:  read_only
        .address_space:  global
        .offset:         56
        .size:           8
        .value_kind:     global_buffer
      - .actual_access:  read_only
        .address_space:  global
        .offset:         64
        .size:           8
        .value_kind:     global_buffer
      - .actual_access:  read_only
        .address_space:  global
        .offset:         72
        .size:           8
        .value_kind:     global_buffer
      - .offset:         80
        .size:           8
        .value_kind:     by_value
      - .actual_access:  read_only
        .address_space:  global
        .offset:         88
        .size:           8
        .value_kind:     global_buffer
      - .actual_access:  read_only
        .address_space:  global
        .offset:         96
        .size:           8
        .value_kind:     global_buffer
      - .actual_access:  read_only
        .address_space:  global
        .offset:         104
        .size:           8
        .value_kind:     global_buffer
      - .actual_access:  read_only
        .address_space:  global
        .offset:         112
        .size:           8
        .value_kind:     global_buffer
      - .actual_access:  write_only
        .address_space:  global
        .offset:         120
        .size:           8
        .value_kind:     global_buffer
      - .actual_access:  write_only
        .address_space:  global
        .offset:         128
        .size:           8
        .value_kind:     global_buffer
      - .offset:         136
        .size:           4
        .value_kind:     by_value
      - .offset:         140
        .size:           4
        .value_kind:     by_value
      - .offset:         144
        .size:           4
        .value_kind:     by_value
      - .offset:         148
        .size:           4
        .value_kind:     by_value
      - .offset:         152
        .size:           1
        .value_kind:     by_value
      - .offset:         153
        .size:           1
        .value_kind:     by_value
      - .offset:         154
        .size:           1
        .value_kind:     by_value
    .group_segment_fixed_size: 0
    .kernarg_segment_align: 8
    .kernarg_segment_size: 156
    .language:       OpenCL C
    .language_version:
      - 2
      - 0
    .max_flat_workgroup_size: 1024
    .name:           _ZN9rocsparseL26csrgemm_fill_block_per_rowILj1024ELj64ELj16384ELj137ELj64ElifEEvT5_PKS1_S3_NS_24const_host_device_scalarIT6_EEPKT4_S3_PKS5_S9_S3_SB_S6_S9_S3_SB_S9_PS1_PS5_21rocsparse_index_base_SE_SE_SE_bbb
    .private_segment_fixed_size: 0
    .sgpr_count:     46
    .sgpr_spill_count: 0
    .symbol:         _ZN9rocsparseL26csrgemm_fill_block_per_rowILj1024ELj64ELj16384ELj137ELj64ElifEEvT5_PKS1_S3_NS_24const_host_device_scalarIT6_EEPKT4_S3_PKS5_S9_S3_SB_S6_S9_S3_SB_S9_PS1_PS5_21rocsparse_index_base_SE_SE_SE_bbb.kd
    .uniform_work_group_size: 1
    .uses_dynamic_stack: false
    .vgpr_count:     20
    .vgpr_spill_count: 0
    .wavefront_size: 32
    .workgroup_processor_mode: 1
  - .args:
      - .offset:         0
        .size:           4
        .value_kind:     by_value
      - .actual_access:  read_only
        .address_space:  global
        .offset:         8
        .size:           8
        .value_kind:     global_buffer
      - .actual_access:  read_only
        .address_space:  global
        .offset:         16
        .size:           8
        .value_kind:     global_buffer
      - .offset:         24
        .size:           8
        .value_kind:     by_value
      - .actual_access:  read_only
        .address_space:  global
        .offset:         32
        .size:           8
        .value_kind:     global_buffer
      - .actual_access:  read_only
        .address_space:  global
        .offset:         40
        .size:           8
        .value_kind:     global_buffer
      - .actual_access:  read_only
        .address_space:  global
        .offset:         48
        .size:           8
        .value_kind:     global_buffer
      - .actual_access:  read_only
        .address_space:  global
        .offset:         56
        .size:           8
        .value_kind:     global_buffer
      - .actual_access:  read_only
        .address_space:  global
        .offset:         64
        .size:           8
        .value_kind:     global_buffer
      - .actual_access:  read_only
        .address_space:  global
        .offset:         72
        .size:           8
        .value_kind:     global_buffer
      - .offset:         80
        .size:           8
        .value_kind:     by_value
      - .actual_access:  read_only
        .address_space:  global
        .offset:         88
        .size:           8
        .value_kind:     global_buffer
      - .actual_access:  read_only
        .address_space:  global
        .offset:         96
        .size:           8
        .value_kind:     global_buffer
      - .actual_access:  read_only
        .address_space:  global
        .offset:         104
        .size:           8
        .value_kind:     global_buffer
      - .actual_access:  read_only
        .address_space:  global
        .offset:         112
        .size:           8
        .value_kind:     global_buffer
      - .actual_access:  write_only
        .address_space:  global
        .offset:         120
        .size:           8
        .value_kind:     global_buffer
      - .actual_access:  write_only
        .address_space:  global
        .offset:         128
        .size:           8
        .value_kind:     global_buffer
      - .offset:         136
        .size:           4
        .value_kind:     by_value
      - .offset:         140
        .size:           4
        .value_kind:     by_value
      - .offset:         144
        .size:           4
        .value_kind:     by_value
      - .offset:         148
        .size:           4
        .value_kind:     by_value
      - .offset:         152
        .size:           1
        .value_kind:     by_value
      - .offset:         153
        .size:           1
        .value_kind:     by_value
      - .offset:         154
        .size:           1
        .value_kind:     by_value
    .group_segment_fixed_size: 0
    .kernarg_segment_align: 8
    .kernarg_segment_size: 156
    .language:       OpenCL C
    .language_version:
      - 2
      - 0
    .max_flat_workgroup_size: 1024
    .name:           _ZN9rocsparseL26csrgemm_fill_block_per_rowILj1024ELj64ELj32768ELj137ELj32ElifEEvT5_PKS1_S3_NS_24const_host_device_scalarIT6_EEPKT4_S3_PKS5_S9_S3_SB_S6_S9_S3_SB_S9_PS1_PS5_21rocsparse_index_base_SE_SE_SE_bbb
    .private_segment_fixed_size: 0
    .sgpr_count:     78
    .sgpr_spill_count: 0
    .symbol:         _ZN9rocsparseL26csrgemm_fill_block_per_rowILj1024ELj64ELj32768ELj137ELj32ElifEEvT5_PKS1_S3_NS_24const_host_device_scalarIT6_EEPKT4_S3_PKS5_S9_S3_SB_S6_S9_S3_SB_S9_PS1_PS5_21rocsparse_index_base_SE_SE_SE_bbb.kd
    .uniform_work_group_size: 1
    .uses_dynamic_stack: false
    .vgpr_count:     19
    .vgpr_spill_count: 0
    .wavefront_size: 32
    .workgroup_processor_mode: 1
  - .args:
      - .offset:         0
        .size:           4
        .value_kind:     by_value
      - .actual_access:  read_only
        .address_space:  global
        .offset:         8
        .size:           8
        .value_kind:     global_buffer
      - .actual_access:  read_only
        .address_space:  global
        .offset:         16
        .size:           8
        .value_kind:     global_buffer
      - .offset:         24
        .size:           8
        .value_kind:     by_value
      - .actual_access:  read_only
        .address_space:  global
        .offset:         32
        .size:           8
        .value_kind:     global_buffer
      - .actual_access:  read_only
        .address_space:  global
        .offset:         40
        .size:           8
        .value_kind:     global_buffer
      - .actual_access:  read_only
        .address_space:  global
        .offset:         48
        .size:           8
        .value_kind:     global_buffer
      - .actual_access:  read_only
        .address_space:  global
        .offset:         56
        .size:           8
        .value_kind:     global_buffer
      - .actual_access:  read_only
        .address_space:  global
        .offset:         64
        .size:           8
        .value_kind:     global_buffer
      - .actual_access:  read_only
        .address_space:  global
        .offset:         72
        .size:           8
        .value_kind:     global_buffer
      - .offset:         80
        .size:           8
        .value_kind:     by_value
      - .actual_access:  read_only
        .address_space:  global
        .offset:         88
        .size:           8
        .value_kind:     global_buffer
      - .actual_access:  read_only
        .address_space:  global
        .offset:         96
        .size:           8
        .value_kind:     global_buffer
      - .actual_access:  read_only
        .address_space:  global
        .offset:         104
        .size:           8
        .value_kind:     global_buffer
      - .actual_access:  read_only
        .address_space:  global
        .offset:         112
        .size:           8
        .value_kind:     global_buffer
      - .actual_access:  write_only
        .address_space:  global
        .offset:         120
        .size:           8
        .value_kind:     global_buffer
      - .actual_access:  write_only
        .address_space:  global
        .offset:         128
        .size:           8
        .value_kind:     global_buffer
      - .offset:         136
        .size:           4
        .value_kind:     by_value
      - .offset:         140
        .size:           4
        .value_kind:     by_value
      - .offset:         144
        .size:           4
        .value_kind:     by_value
      - .offset:         148
        .size:           4
        .value_kind:     by_value
      - .offset:         152
        .size:           1
        .value_kind:     by_value
      - .offset:         153
        .size:           1
        .value_kind:     by_value
      - .offset:         154
        .size:           1
        .value_kind:     by_value
    .group_segment_fixed_size: 0
    .kernarg_segment_align: 8
    .kernarg_segment_size: 156
    .language:       OpenCL C
    .language_version:
      - 2
      - 0
    .max_flat_workgroup_size: 1024
    .name:           _ZN9rocsparseL26csrgemm_fill_block_per_rowILj1024ELj64ELj32768ELj137ELj64ElifEEvT5_PKS1_S3_NS_24const_host_device_scalarIT6_EEPKT4_S3_PKS5_S9_S3_SB_S6_S9_S3_SB_S9_PS1_PS5_21rocsparse_index_base_SE_SE_SE_bbb
    .private_segment_fixed_size: 0
    .sgpr_count:     46
    .sgpr_spill_count: 0
    .symbol:         _ZN9rocsparseL26csrgemm_fill_block_per_rowILj1024ELj64ELj32768ELj137ELj64ElifEEvT5_PKS1_S3_NS_24const_host_device_scalarIT6_EEPKT4_S3_PKS5_S9_S3_SB_S6_S9_S3_SB_S9_PS1_PS5_21rocsparse_index_base_SE_SE_SE_bbb.kd
    .uniform_work_group_size: 1
    .uses_dynamic_stack: false
    .vgpr_count:     20
    .vgpr_spill_count: 0
    .wavefront_size: 32
    .workgroup_processor_mode: 1
  - .args:
      - .offset:         0
        .size:           4
        .value_kind:     by_value
      - .actual_access:  read_only
        .address_space:  global
        .offset:         8
        .size:           8
        .value_kind:     global_buffer
      - .actual_access:  read_only
        .address_space:  global
        .offset:         16
        .size:           8
        .value_kind:     global_buffer
      - .offset:         24
        .size:           8
        .value_kind:     by_value
      - .actual_access:  read_only
        .address_space:  global
        .offset:         32
        .size:           8
        .value_kind:     global_buffer
      - .actual_access:  read_only
        .address_space:  global
        .offset:         40
        .size:           8
        .value_kind:     global_buffer
      - .actual_access:  read_only
        .address_space:  global
        .offset:         48
        .size:           8
        .value_kind:     global_buffer
      - .actual_access:  read_only
        .address_space:  global
        .offset:         56
        .size:           8
        .value_kind:     global_buffer
      - .actual_access:  read_only
        .address_space:  global
        .offset:         64
        .size:           8
        .value_kind:     global_buffer
      - .actual_access:  read_only
        .address_space:  global
        .offset:         72
        .size:           8
        .value_kind:     global_buffer
      - .offset:         80
        .size:           8
        .value_kind:     by_value
      - .actual_access:  read_only
        .address_space:  global
        .offset:         88
        .size:           8
        .value_kind:     global_buffer
      - .actual_access:  read_only
        .address_space:  global
        .offset:         96
        .size:           8
        .value_kind:     global_buffer
      - .actual_access:  read_only
        .address_space:  global
        .offset:         104
        .size:           8
        .value_kind:     global_buffer
      - .actual_access:  read_only
        .address_space:  global
        .offset:         112
        .size:           8
        .value_kind:     global_buffer
      - .actual_access:  write_only
        .address_space:  global
        .offset:         120
        .size:           8
        .value_kind:     global_buffer
      - .actual_access:  write_only
        .address_space:  global
        .offset:         128
        .size:           8
        .value_kind:     global_buffer
      - .address_space:  global
        .offset:         136
        .size:           8
        .value_kind:     global_buffer
      - .offset:         144
        .size:           4
        .value_kind:     by_value
      - .offset:         148
        .size:           4
        .value_kind:     by_value
      - .offset:         152
        .size:           4
        .value_kind:     by_value
      - .offset:         156
        .size:           4
        .value_kind:     by_value
      - .offset:         160
        .size:           1
        .value_kind:     by_value
      - .offset:         161
        .size:           1
        .value_kind:     by_value
      - .offset:         162
        .size:           1
        .value_kind:     by_value
    .group_segment_fixed_size: 10244
    .kernarg_segment_align: 8
    .kernarg_segment_size: 164
    .language:       OpenCL C
    .language_version:
      - 2
      - 0
    .max_flat_workgroup_size: 512
    .name:           _ZN9rocsparseL36csrgemm_fill_block_per_row_multipassILj512ELj16ELj2048ELj32ElifEEvT4_PKS1_S3_NS_24const_host_device_scalarIT5_EEPKT3_S3_PKS5_S9_S3_SB_S6_S9_S3_SB_S9_PS1_PS5_PS7_21rocsparse_index_base_SF_SF_SF_bbb
    .private_segment_fixed_size: 0
    .sgpr_count:     67
    .sgpr_spill_count: 0
    .symbol:         _ZN9rocsparseL36csrgemm_fill_block_per_row_multipassILj512ELj16ELj2048ELj32ElifEEvT4_PKS1_S3_NS_24const_host_device_scalarIT5_EEPKT3_S3_PKS5_S9_S3_SB_S6_S9_S3_SB_S9_PS1_PS5_PS7_21rocsparse_index_base_SF_SF_SF_bbb.kd
    .uniform_work_group_size: 1
    .uses_dynamic_stack: false
    .vgpr_count:     43
    .vgpr_spill_count: 0
    .wavefront_size: 32
    .workgroup_processor_mode: 1
  - .args:
      - .offset:         0
        .size:           4
        .value_kind:     by_value
      - .actual_access:  read_only
        .address_space:  global
        .offset:         8
        .size:           8
        .value_kind:     global_buffer
      - .actual_access:  read_only
        .address_space:  global
        .offset:         16
        .size:           8
        .value_kind:     global_buffer
      - .offset:         24
        .size:           8
        .value_kind:     by_value
      - .actual_access:  read_only
        .address_space:  global
        .offset:         32
        .size:           8
        .value_kind:     global_buffer
      - .actual_access:  read_only
        .address_space:  global
        .offset:         40
        .size:           8
        .value_kind:     global_buffer
      - .actual_access:  read_only
        .address_space:  global
        .offset:         48
        .size:           8
        .value_kind:     global_buffer
      - .actual_access:  read_only
        .address_space:  global
        .offset:         56
        .size:           8
        .value_kind:     global_buffer
      - .actual_access:  read_only
        .address_space:  global
        .offset:         64
        .size:           8
        .value_kind:     global_buffer
      - .actual_access:  read_only
        .address_space:  global
        .offset:         72
        .size:           8
        .value_kind:     global_buffer
      - .offset:         80
        .size:           8
        .value_kind:     by_value
      - .actual_access:  read_only
        .address_space:  global
        .offset:         88
        .size:           8
        .value_kind:     global_buffer
      - .actual_access:  read_only
        .address_space:  global
        .offset:         96
        .size:           8
        .value_kind:     global_buffer
      - .actual_access:  read_only
        .address_space:  global
        .offset:         104
        .size:           8
        .value_kind:     global_buffer
      - .actual_access:  read_only
        .address_space:  global
        .offset:         112
        .size:           8
        .value_kind:     global_buffer
      - .actual_access:  write_only
        .address_space:  global
        .offset:         120
        .size:           8
        .value_kind:     global_buffer
      - .actual_access:  write_only
        .address_space:  global
        .offset:         128
        .size:           8
        .value_kind:     global_buffer
      - .address_space:  global
        .offset:         136
        .size:           8
        .value_kind:     global_buffer
      - .offset:         144
        .size:           4
        .value_kind:     by_value
      - .offset:         148
        .size:           4
        .value_kind:     by_value
      - .offset:         152
        .size:           4
        .value_kind:     by_value
      - .offset:         156
        .size:           4
        .value_kind:     by_value
      - .offset:         160
        .size:           1
        .value_kind:     by_value
      - .offset:         161
        .size:           1
        .value_kind:     by_value
      - .offset:         162
        .size:           1
        .value_kind:     by_value
    .group_segment_fixed_size: 10244
    .kernarg_segment_align: 8
    .kernarg_segment_size: 164
    .language:       OpenCL C
    .language_version:
      - 2
      - 0
    .max_flat_workgroup_size: 512
    .name:           _ZN9rocsparseL36csrgemm_fill_block_per_row_multipassILj512ELj16ELj2048ELj64ElifEEvT4_PKS1_S3_NS_24const_host_device_scalarIT5_EEPKT3_S3_PKS5_S9_S3_SB_S6_S9_S3_SB_S9_PS1_PS5_PS7_21rocsparse_index_base_SF_SF_SF_bbb
    .private_segment_fixed_size: 0
    .sgpr_count:     59
    .sgpr_spill_count: 0
    .symbol:         _ZN9rocsparseL36csrgemm_fill_block_per_row_multipassILj512ELj16ELj2048ELj64ElifEEvT4_PKS1_S3_NS_24const_host_device_scalarIT5_EEPKT3_S3_PKS5_S9_S3_SB_S6_S9_S3_SB_S9_PS1_PS5_PS7_21rocsparse_index_base_SF_SF_SF_bbb.kd
    .uniform_work_group_size: 1
    .uses_dynamic_stack: false
    .vgpr_count:     43
    .vgpr_spill_count: 0
    .wavefront_size: 32
    .workgroup_processor_mode: 1
  - .args:
      - .offset:         0
        .size:           4
        .value_kind:     by_value
      - .actual_access:  read_only
        .address_space:  global
        .offset:         8
        .size:           8
        .value_kind:     global_buffer
      - .actual_access:  write_only
        .address_space:  global
        .offset:         16
        .size:           8
        .value_kind:     global_buffer
      - .actual_access:  write_only
        .address_space:  global
        .offset:         24
        .size:           8
        .value_kind:     global_buffer
      - .offset:         32
        .size:           4
        .value_kind:     by_value
      - .offset:         40
        .size:           4
        .value_kind:     hidden_block_count_x
      - .offset:         44
        .size:           4
        .value_kind:     hidden_block_count_y
      - .offset:         48
        .size:           4
        .value_kind:     hidden_block_count_z
      - .offset:         52
        .size:           2
        .value_kind:     hidden_group_size_x
      - .offset:         54
        .size:           2
        .value_kind:     hidden_group_size_y
      - .offset:         56
        .size:           2
        .value_kind:     hidden_group_size_z
      - .offset:         58
        .size:           2
        .value_kind:     hidden_remainder_x
      - .offset:         60
        .size:           2
        .value_kind:     hidden_remainder_y
      - .offset:         62
        .size:           2
        .value_kind:     hidden_remainder_z
      - .offset:         80
        .size:           8
        .value_kind:     hidden_global_offset_x
      - .offset:         88
        .size:           8
        .value_kind:     hidden_global_offset_y
      - .offset:         96
        .size:           8
        .value_kind:     hidden_global_offset_z
      - .offset:         104
        .size:           2
        .value_kind:     hidden_grid_dims
    .group_segment_fixed_size: 11264
    .kernarg_segment_align: 8
    .kernarg_segment_size: 296
    .language:       OpenCL C
    .language_version:
      - 2
      - 0
    .max_flat_workgroup_size: 256
    .name:           _ZN9rocsparseL26csrgemm_group_reduce_part2ILj256ELj11EdliEEvT3_PKT2_PS1_Pij
    .private_segment_fixed_size: 0
    .sgpr_count:     28
    .sgpr_spill_count: 0
    .symbol:         _ZN9rocsparseL26csrgemm_group_reduce_part2ILj256ELj11EdliEEvT3_PKT2_PS1_Pij.kd
    .uniform_work_group_size: 1
    .uses_dynamic_stack: false
    .vgpr_count:     24
    .vgpr_spill_count: 0
    .wavefront_size: 32
    .workgroup_processor_mode: 1
  - .args:
      - .offset:         0
        .size:           4
        .value_kind:     by_value
      - .offset:         4
        .size:           4
        .value_kind:     by_value
      - .actual_access:  read_only
        .address_space:  global
        .offset:         8
        .size:           8
        .value_kind:     global_buffer
      - .actual_access:  read_only
        .address_space:  global
        .offset:         16
        .size:           8
        .value_kind:     global_buffer
      - .offset:         24
        .size:           8
        .value_kind:     by_value
      - .actual_access:  read_only
        .address_space:  global
        .offset:         32
        .size:           8
        .value_kind:     global_buffer
      - .actual_access:  read_only
        .address_space:  global
        .offset:         40
        .size:           8
        .value_kind:     global_buffer
      - .actual_access:  read_only
        .address_space:  global
        .offset:         48
        .size:           8
        .value_kind:     global_buffer
      - .actual_access:  read_only
        .address_space:  global
        .offset:         56
        .size:           8
        .value_kind:     global_buffer
      - .actual_access:  read_only
        .address_space:  global
        .offset:         64
        .size:           8
        .value_kind:     global_buffer
      - .actual_access:  read_only
        .address_space:  global
        .offset:         72
        .size:           8
        .value_kind:     global_buffer
      - .offset:         80
        .size:           8
        .value_kind:     by_value
      - .actual_access:  read_only
        .address_space:  global
        .offset:         88
        .size:           8
        .value_kind:     global_buffer
      - .actual_access:  read_only
        .address_space:  global
        .offset:         96
        .size:           8
        .value_kind:     global_buffer
      - .actual_access:  read_only
        .address_space:  global
        .offset:         104
        .size:           8
        .value_kind:     global_buffer
      - .actual_access:  read_only
        .address_space:  global
        .offset:         112
        .size:           8
        .value_kind:     global_buffer
      - .actual_access:  write_only
        .address_space:  global
        .offset:         120
        .size:           8
        .value_kind:     global_buffer
      - .actual_access:  write_only
        .address_space:  global
        .offset:         128
        .size:           8
        .value_kind:     global_buffer
      - .offset:         136
        .size:           4
        .value_kind:     by_value
      - .offset:         140
        .size:           4
        .value_kind:     by_value
      - .offset:         144
        .size:           4
        .value_kind:     by_value
      - .offset:         148
        .size:           4
        .value_kind:     by_value
      - .offset:         152
        .size:           1
        .value_kind:     by_value
      - .offset:         153
        .size:           1
        .value_kind:     by_value
      - .offset:         154
        .size:           1
        .value_kind:     by_value
    .group_segment_fixed_size: 6144
    .kernarg_segment_align: 8
    .kernarg_segment_size: 156
    .language:       OpenCL C
    .language_version:
      - 2
      - 0
    .max_flat_workgroup_size: 256
    .name:           _ZN9rocsparseL23csrgemm_fill_wf_per_rowILj256ELj8ELj16ELj137ElidEEvT4_S1_PKS1_S3_NS_24const_host_device_scalarIT5_EEPKT3_S3_PKS5_S9_S3_SB_S6_S9_S3_SB_S9_PS1_PS5_21rocsparse_index_base_SE_SE_SE_bbb
    .private_segment_fixed_size: 0
    .sgpr_count:     46
    .sgpr_spill_count: 0
    .symbol:         _ZN9rocsparseL23csrgemm_fill_wf_per_rowILj256ELj8ELj16ELj137ElidEEvT4_S1_PKS1_S3_NS_24const_host_device_scalarIT5_EEPKT3_S3_PKS5_S9_S3_SB_S6_S9_S3_SB_S9_PS1_PS5_21rocsparse_index_base_SE_SE_SE_bbb.kd
    .uniform_work_group_size: 1
    .uses_dynamic_stack: false
    .vgpr_count:     31
    .vgpr_spill_count: 0
    .wavefront_size: 32
    .workgroup_processor_mode: 1
  - .args:
      - .offset:         0
        .size:           4
        .value_kind:     by_value
      - .offset:         4
        .size:           4
        .value_kind:     by_value
      - .actual_access:  read_only
        .address_space:  global
        .offset:         8
        .size:           8
        .value_kind:     global_buffer
      - .actual_access:  read_only
        .address_space:  global
        .offset:         16
        .size:           8
        .value_kind:     global_buffer
      - .offset:         24
        .size:           8
        .value_kind:     by_value
      - .actual_access:  read_only
        .address_space:  global
        .offset:         32
        .size:           8
        .value_kind:     global_buffer
      - .actual_access:  read_only
        .address_space:  global
        .offset:         40
        .size:           8
        .value_kind:     global_buffer
      - .actual_access:  read_only
        .address_space:  global
        .offset:         48
        .size:           8
        .value_kind:     global_buffer
      - .actual_access:  read_only
        .address_space:  global
        .offset:         56
        .size:           8
        .value_kind:     global_buffer
      - .actual_access:  read_only
        .address_space:  global
        .offset:         64
        .size:           8
        .value_kind:     global_buffer
      - .actual_access:  read_only
        .address_space:  global
        .offset:         72
        .size:           8
        .value_kind:     global_buffer
      - .offset:         80
        .size:           8
        .value_kind:     by_value
      - .actual_access:  read_only
        .address_space:  global
        .offset:         88
        .size:           8
        .value_kind:     global_buffer
      - .actual_access:  read_only
        .address_space:  global
        .offset:         96
        .size:           8
        .value_kind:     global_buffer
      - .actual_access:  read_only
        .address_space:  global
        .offset:         104
        .size:           8
        .value_kind:     global_buffer
      - .actual_access:  read_only
        .address_space:  global
        .offset:         112
        .size:           8
        .value_kind:     global_buffer
      - .actual_access:  write_only
        .address_space:  global
        .offset:         120
        .size:           8
        .value_kind:     global_buffer
      - .actual_access:  write_only
        .address_space:  global
        .offset:         128
        .size:           8
        .value_kind:     global_buffer
      - .offset:         136
        .size:           4
        .value_kind:     by_value
      - .offset:         140
        .size:           4
        .value_kind:     by_value
      - .offset:         144
        .size:           4
        .value_kind:     by_value
      - .offset:         148
        .size:           4
        .value_kind:     by_value
      - .offset:         152
        .size:           1
        .value_kind:     by_value
      - .offset:         153
        .size:           1
        .value_kind:     by_value
      - .offset:         154
        .size:           1
        .value_kind:     by_value
    .group_segment_fixed_size: 6144
    .kernarg_segment_align: 8
    .kernarg_segment_size: 156
    .language:       OpenCL C
    .language_version:
      - 2
      - 0
    .max_flat_workgroup_size: 256
    .name:           _ZN9rocsparseL23csrgemm_fill_wf_per_rowILj256ELj16ELj32ELj137ElidEEvT4_S1_PKS1_S3_NS_24const_host_device_scalarIT5_EEPKT3_S3_PKS5_S9_S3_SB_S6_S9_S3_SB_S9_PS1_PS5_21rocsparse_index_base_SE_SE_SE_bbb
    .private_segment_fixed_size: 0
    .sgpr_count:     46
    .sgpr_spill_count: 0
    .symbol:         _ZN9rocsparseL23csrgemm_fill_wf_per_rowILj256ELj16ELj32ELj137ElidEEvT4_S1_PKS1_S3_NS_24const_host_device_scalarIT5_EEPKT3_S3_PKS5_S9_S3_SB_S6_S9_S3_SB_S9_PS1_PS5_21rocsparse_index_base_SE_SE_SE_bbb.kd
    .uniform_work_group_size: 1
    .uses_dynamic_stack: false
    .vgpr_count:     31
    .vgpr_spill_count: 0
    .wavefront_size: 32
    .workgroup_processor_mode: 1
  - .args:
      - .offset:         0
        .size:           4
        .value_kind:     by_value
      - .actual_access:  read_only
        .address_space:  global
        .offset:         8
        .size:           8
        .value_kind:     global_buffer
      - .actual_access:  read_only
        .address_space:  global
        .offset:         16
        .size:           8
        .value_kind:     global_buffer
      - .offset:         24
        .size:           8
        .value_kind:     by_value
      - .actual_access:  read_only
        .address_space:  global
        .offset:         32
        .size:           8
        .value_kind:     global_buffer
      - .actual_access:  read_only
        .address_space:  global
        .offset:         40
        .size:           8
        .value_kind:     global_buffer
      - .actual_access:  read_only
        .address_space:  global
        .offset:         48
        .size:           8
        .value_kind:     global_buffer
      - .actual_access:  read_only
        .address_space:  global
        .offset:         56
        .size:           8
        .value_kind:     global_buffer
      - .actual_access:  read_only
        .address_space:  global
        .offset:         64
        .size:           8
        .value_kind:     global_buffer
      - .actual_access:  read_only
        .address_space:  global
        .offset:         72
        .size:           8
        .value_kind:     global_buffer
      - .offset:         80
        .size:           8
        .value_kind:     by_value
      - .actual_access:  read_only
        .address_space:  global
        .offset:         88
        .size:           8
        .value_kind:     global_buffer
      - .actual_access:  read_only
        .address_space:  global
        .offset:         96
        .size:           8
        .value_kind:     global_buffer
      - .actual_access:  read_only
        .address_space:  global
        .offset:         104
        .size:           8
        .value_kind:     global_buffer
      - .actual_access:  read_only
        .address_space:  global
        .offset:         112
        .size:           8
        .value_kind:     global_buffer
      - .actual_access:  write_only
        .address_space:  global
        .offset:         120
        .size:           8
        .value_kind:     global_buffer
      - .actual_access:  write_only
        .address_space:  global
        .offset:         128
        .size:           8
        .value_kind:     global_buffer
      - .offset:         136
        .size:           4
        .value_kind:     by_value
      - .offset:         140
        .size:           4
        .value_kind:     by_value
      - .offset:         144
        .size:           4
        .value_kind:     by_value
      - .offset:         148
        .size:           4
        .value_kind:     by_value
      - .offset:         152
        .size:           1
        .value_kind:     by_value
      - .offset:         153
        .size:           1
        .value_kind:     by_value
      - .offset:         154
        .size:           1
        .value_kind:     by_value
    .group_segment_fixed_size: 0
    .kernarg_segment_align: 8
    .kernarg_segment_size: 156
    .language:       OpenCL C
    .language_version:
      - 2
      - 0
    .max_flat_workgroup_size: 128
    .name:           _ZN9rocsparseL26csrgemm_fill_block_per_rowILj128ELj16ELj256ELj137ELj32ElidEEvT5_PKS1_S3_NS_24const_host_device_scalarIT6_EEPKT4_S3_PKS5_S9_S3_SB_S6_S9_S3_SB_S9_PS1_PS5_21rocsparse_index_base_SE_SE_SE_bbb
    .private_segment_fixed_size: 0
    .sgpr_count:     46
    .sgpr_spill_count: 0
    .symbol:         _ZN9rocsparseL26csrgemm_fill_block_per_rowILj128ELj16ELj256ELj137ELj32ElidEEvT5_PKS1_S3_NS_24const_host_device_scalarIT6_EEPKT4_S3_PKS5_S9_S3_SB_S6_S9_S3_SB_S9_PS1_PS5_21rocsparse_index_base_SE_SE_SE_bbb.kd
    .uniform_work_group_size: 1
    .uses_dynamic_stack: false
    .vgpr_count:     27
    .vgpr_spill_count: 0
    .wavefront_size: 32
    .workgroup_processor_mode: 1
  - .args:
      - .offset:         0
        .size:           4
        .value_kind:     by_value
      - .actual_access:  read_only
        .address_space:  global
        .offset:         8
        .size:           8
        .value_kind:     global_buffer
      - .actual_access:  read_only
        .address_space:  global
        .offset:         16
        .size:           8
        .value_kind:     global_buffer
      - .offset:         24
        .size:           8
        .value_kind:     by_value
      - .actual_access:  read_only
        .address_space:  global
        .offset:         32
        .size:           8
        .value_kind:     global_buffer
      - .actual_access:  read_only
        .address_space:  global
        .offset:         40
        .size:           8
        .value_kind:     global_buffer
      - .actual_access:  read_only
        .address_space:  global
        .offset:         48
        .size:           8
        .value_kind:     global_buffer
      - .actual_access:  read_only
        .address_space:  global
        .offset:         56
        .size:           8
        .value_kind:     global_buffer
      - .actual_access:  read_only
        .address_space:  global
        .offset:         64
        .size:           8
        .value_kind:     global_buffer
      - .actual_access:  read_only
        .address_space:  global
        .offset:         72
        .size:           8
        .value_kind:     global_buffer
      - .offset:         80
        .size:           8
        .value_kind:     by_value
      - .actual_access:  read_only
        .address_space:  global
        .offset:         88
        .size:           8
        .value_kind:     global_buffer
      - .actual_access:  read_only
        .address_space:  global
        .offset:         96
        .size:           8
        .value_kind:     global_buffer
      - .actual_access:  read_only
        .address_space:  global
        .offset:         104
        .size:           8
        .value_kind:     global_buffer
      - .actual_access:  read_only
        .address_space:  global
        .offset:         112
        .size:           8
        .value_kind:     global_buffer
      - .actual_access:  write_only
        .address_space:  global
        .offset:         120
        .size:           8
        .value_kind:     global_buffer
      - .actual_access:  write_only
        .address_space:  global
        .offset:         128
        .size:           8
        .value_kind:     global_buffer
      - .offset:         136
        .size:           4
        .value_kind:     by_value
      - .offset:         140
        .size:           4
        .value_kind:     by_value
      - .offset:         144
        .size:           4
        .value_kind:     by_value
      - .offset:         148
        .size:           4
        .value_kind:     by_value
      - .offset:         152
        .size:           1
        .value_kind:     by_value
      - .offset:         153
        .size:           1
        .value_kind:     by_value
      - .offset:         154
        .size:           1
        .value_kind:     by_value
    .group_segment_fixed_size: 0
    .kernarg_segment_align: 8
    .kernarg_segment_size: 156
    .language:       OpenCL C
    .language_version:
      - 2
      - 0
    .max_flat_workgroup_size: 128
    .name:           _ZN9rocsparseL26csrgemm_fill_block_per_rowILj128ELj16ELj256ELj137ELj64ElidEEvT5_PKS1_S3_NS_24const_host_device_scalarIT6_EEPKT4_S3_PKS5_S9_S3_SB_S6_S9_S3_SB_S9_PS1_PS5_21rocsparse_index_base_SE_SE_SE_bbb
    .private_segment_fixed_size: 0
    .sgpr_count:     46
    .sgpr_spill_count: 0
    .symbol:         _ZN9rocsparseL26csrgemm_fill_block_per_rowILj128ELj16ELj256ELj137ELj64ElidEEvT5_PKS1_S3_NS_24const_host_device_scalarIT6_EEPKT4_S3_PKS5_S9_S3_SB_S6_S9_S3_SB_S9_PS1_PS5_21rocsparse_index_base_SE_SE_SE_bbb.kd
    .uniform_work_group_size: 1
    .uses_dynamic_stack: false
    .vgpr_count:     28
    .vgpr_spill_count: 0
    .wavefront_size: 32
    .workgroup_processor_mode: 1
  - .args:
      - .offset:         0
        .size:           4
        .value_kind:     by_value
      - .actual_access:  read_only
        .address_space:  global
        .offset:         8
        .size:           8
        .value_kind:     global_buffer
      - .actual_access:  read_only
        .address_space:  global
        .offset:         16
        .size:           8
        .value_kind:     global_buffer
      - .offset:         24
        .size:           8
        .value_kind:     by_value
      - .actual_access:  read_only
        .address_space:  global
        .offset:         32
        .size:           8
        .value_kind:     global_buffer
      - .actual_access:  read_only
        .address_space:  global
        .offset:         40
        .size:           8
        .value_kind:     global_buffer
      - .actual_access:  read_only
        .address_space:  global
        .offset:         48
        .size:           8
        .value_kind:     global_buffer
      - .actual_access:  read_only
        .address_space:  global
        .offset:         56
        .size:           8
        .value_kind:     global_buffer
      - .actual_access:  read_only
        .address_space:  global
        .offset:         64
        .size:           8
        .value_kind:     global_buffer
      - .actual_access:  read_only
        .address_space:  global
        .offset:         72
        .size:           8
        .value_kind:     global_buffer
      - .offset:         80
        .size:           8
        .value_kind:     by_value
      - .actual_access:  read_only
        .address_space:  global
        .offset:         88
        .size:           8
        .value_kind:     global_buffer
      - .actual_access:  read_only
        .address_space:  global
        .offset:         96
        .size:           8
        .value_kind:     global_buffer
      - .actual_access:  read_only
        .address_space:  global
        .offset:         104
        .size:           8
        .value_kind:     global_buffer
      - .actual_access:  read_only
        .address_space:  global
        .offset:         112
        .size:           8
        .value_kind:     global_buffer
      - .actual_access:  write_only
        .address_space:  global
        .offset:         120
        .size:           8
        .value_kind:     global_buffer
      - .actual_access:  write_only
        .address_space:  global
        .offset:         128
        .size:           8
        .value_kind:     global_buffer
      - .offset:         136
        .size:           4
        .value_kind:     by_value
      - .offset:         140
        .size:           4
        .value_kind:     by_value
      - .offset:         144
        .size:           4
        .value_kind:     by_value
      - .offset:         148
        .size:           4
        .value_kind:     by_value
      - .offset:         152
        .size:           1
        .value_kind:     by_value
      - .offset:         153
        .size:           1
        .value_kind:     by_value
      - .offset:         154
        .size:           1
        .value_kind:     by_value
    .group_segment_fixed_size: 0
    .kernarg_segment_align: 8
    .kernarg_segment_size: 156
    .language:       OpenCL C
    .language_version:
      - 2
      - 0
    .max_flat_workgroup_size: 256
    .name:           _ZN9rocsparseL26csrgemm_fill_block_per_rowILj256ELj32ELj512ELj137ELj32ElidEEvT5_PKS1_S3_NS_24const_host_device_scalarIT6_EEPKT4_S3_PKS5_S9_S3_SB_S6_S9_S3_SB_S9_PS1_PS5_21rocsparse_index_base_SE_SE_SE_bbb
    .private_segment_fixed_size: 0
    .sgpr_count:     46
    .sgpr_spill_count: 0
    .symbol:         _ZN9rocsparseL26csrgemm_fill_block_per_rowILj256ELj32ELj512ELj137ELj32ElidEEvT5_PKS1_S3_NS_24const_host_device_scalarIT6_EEPKT4_S3_PKS5_S9_S3_SB_S6_S9_S3_SB_S9_PS1_PS5_21rocsparse_index_base_SE_SE_SE_bbb.kd
    .uniform_work_group_size: 1
    .uses_dynamic_stack: false
    .vgpr_count:     28
    .vgpr_spill_count: 0
    .wavefront_size: 32
    .workgroup_processor_mode: 1
  - .args:
      - .offset:         0
        .size:           4
        .value_kind:     by_value
      - .actual_access:  read_only
        .address_space:  global
        .offset:         8
        .size:           8
        .value_kind:     global_buffer
      - .actual_access:  read_only
        .address_space:  global
        .offset:         16
        .size:           8
        .value_kind:     global_buffer
      - .offset:         24
        .size:           8
        .value_kind:     by_value
      - .actual_access:  read_only
        .address_space:  global
        .offset:         32
        .size:           8
        .value_kind:     global_buffer
      - .actual_access:  read_only
        .address_space:  global
        .offset:         40
        .size:           8
        .value_kind:     global_buffer
      - .actual_access:  read_only
        .address_space:  global
        .offset:         48
        .size:           8
        .value_kind:     global_buffer
      - .actual_access:  read_only
        .address_space:  global
        .offset:         56
        .size:           8
        .value_kind:     global_buffer
      - .actual_access:  read_only
        .address_space:  global
        .offset:         64
        .size:           8
        .value_kind:     global_buffer
      - .actual_access:  read_only
        .address_space:  global
        .offset:         72
        .size:           8
        .value_kind:     global_buffer
      - .offset:         80
        .size:           8
        .value_kind:     by_value
      - .actual_access:  read_only
        .address_space:  global
        .offset:         88
        .size:           8
        .value_kind:     global_buffer
      - .actual_access:  read_only
        .address_space:  global
        .offset:         96
        .size:           8
        .value_kind:     global_buffer
      - .actual_access:  read_only
        .address_space:  global
        .offset:         104
        .size:           8
        .value_kind:     global_buffer
      - .actual_access:  read_only
        .address_space:  global
        .offset:         112
        .size:           8
        .value_kind:     global_buffer
      - .actual_access:  write_only
        .address_space:  global
        .offset:         120
        .size:           8
        .value_kind:     global_buffer
      - .actual_access:  write_only
        .address_space:  global
        .offset:         128
        .size:           8
        .value_kind:     global_buffer
      - .offset:         136
        .size:           4
        .value_kind:     by_value
      - .offset:         140
        .size:           4
        .value_kind:     by_value
      - .offset:         144
        .size:           4
        .value_kind:     by_value
      - .offset:         148
        .size:           4
        .value_kind:     by_value
      - .offset:         152
        .size:           1
        .value_kind:     by_value
      - .offset:         153
        .size:           1
        .value_kind:     by_value
      - .offset:         154
        .size:           1
        .value_kind:     by_value
    .group_segment_fixed_size: 0
    .kernarg_segment_align: 8
    .kernarg_segment_size: 156
    .language:       OpenCL C
    .language_version:
      - 2
      - 0
    .max_flat_workgroup_size: 256
    .name:           _ZN9rocsparseL26csrgemm_fill_block_per_rowILj256ELj32ELj512ELj137ELj64ElidEEvT5_PKS1_S3_NS_24const_host_device_scalarIT6_EEPKT4_S3_PKS5_S9_S3_SB_S6_S9_S3_SB_S9_PS1_PS5_21rocsparse_index_base_SE_SE_SE_bbb
    .private_segment_fixed_size: 0
    .sgpr_count:     46
    .sgpr_spill_count: 0
    .symbol:         _ZN9rocsparseL26csrgemm_fill_block_per_rowILj256ELj32ELj512ELj137ELj64ElidEEvT5_PKS1_S3_NS_24const_host_device_scalarIT6_EEPKT4_S3_PKS5_S9_S3_SB_S6_S9_S3_SB_S9_PS1_PS5_21rocsparse_index_base_SE_SE_SE_bbb.kd
    .uniform_work_group_size: 1
    .uses_dynamic_stack: false
    .vgpr_count:     27
    .vgpr_spill_count: 0
    .wavefront_size: 32
    .workgroup_processor_mode: 1
  - .args:
      - .offset:         0
        .size:           4
        .value_kind:     by_value
      - .actual_access:  read_only
        .address_space:  global
        .offset:         8
        .size:           8
        .value_kind:     global_buffer
      - .actual_access:  read_only
        .address_space:  global
        .offset:         16
        .size:           8
        .value_kind:     global_buffer
      - .offset:         24
        .size:           8
        .value_kind:     by_value
      - .actual_access:  read_only
        .address_space:  global
        .offset:         32
        .size:           8
        .value_kind:     global_buffer
      - .actual_access:  read_only
        .address_space:  global
        .offset:         40
        .size:           8
        .value_kind:     global_buffer
      - .actual_access:  read_only
        .address_space:  global
        .offset:         48
        .size:           8
        .value_kind:     global_buffer
      - .actual_access:  read_only
        .address_space:  global
        .offset:         56
        .size:           8
        .value_kind:     global_buffer
      - .actual_access:  read_only
        .address_space:  global
        .offset:         64
        .size:           8
        .value_kind:     global_buffer
      - .actual_access:  read_only
        .address_space:  global
        .offset:         72
        .size:           8
        .value_kind:     global_buffer
      - .offset:         80
        .size:           8
        .value_kind:     by_value
      - .actual_access:  read_only
        .address_space:  global
        .offset:         88
        .size:           8
        .value_kind:     global_buffer
      - .actual_access:  read_only
        .address_space:  global
        .offset:         96
        .size:           8
        .value_kind:     global_buffer
      - .actual_access:  read_only
        .address_space:  global
        .offset:         104
        .size:           8
        .value_kind:     global_buffer
      - .actual_access:  read_only
        .address_space:  global
        .offset:         112
        .size:           8
        .value_kind:     global_buffer
      - .actual_access:  write_only
        .address_space:  global
        .offset:         120
        .size:           8
        .value_kind:     global_buffer
      - .actual_access:  write_only
        .address_space:  global
        .offset:         128
        .size:           8
        .value_kind:     global_buffer
      - .offset:         136
        .size:           4
        .value_kind:     by_value
      - .offset:         140
        .size:           4
        .value_kind:     by_value
      - .offset:         144
        .size:           4
        .value_kind:     by_value
      - .offset:         148
        .size:           4
        .value_kind:     by_value
      - .offset:         152
        .size:           1
        .value_kind:     by_value
      - .offset:         153
        .size:           1
        .value_kind:     by_value
      - .offset:         154
        .size:           1
        .value_kind:     by_value
    .group_segment_fixed_size: 0
    .kernarg_segment_align: 8
    .kernarg_segment_size: 156
    .language:       OpenCL C
    .language_version:
      - 2
      - 0
    .max_flat_workgroup_size: 512
    .name:           _ZN9rocsparseL26csrgemm_fill_block_per_rowILj512ELj32ELj1024ELj137ELj32ElidEEvT5_PKS1_S3_NS_24const_host_device_scalarIT6_EEPKT4_S3_PKS5_S9_S3_SB_S6_S9_S3_SB_S9_PS1_PS5_21rocsparse_index_base_SE_SE_SE_bbb
    .private_segment_fixed_size: 0
    .sgpr_count:     46
    .sgpr_spill_count: 0
    .symbol:         _ZN9rocsparseL26csrgemm_fill_block_per_rowILj512ELj32ELj1024ELj137ELj32ElidEEvT5_PKS1_S3_NS_24const_host_device_scalarIT6_EEPKT4_S3_PKS5_S9_S3_SB_S6_S9_S3_SB_S9_PS1_PS5_21rocsparse_index_base_SE_SE_SE_bbb.kd
    .uniform_work_group_size: 1
    .uses_dynamic_stack: false
    .vgpr_count:     28
    .vgpr_spill_count: 0
    .wavefront_size: 32
    .workgroup_processor_mode: 1
  - .args:
      - .offset:         0
        .size:           4
        .value_kind:     by_value
      - .actual_access:  read_only
        .address_space:  global
        .offset:         8
        .size:           8
        .value_kind:     global_buffer
      - .actual_access:  read_only
        .address_space:  global
        .offset:         16
        .size:           8
        .value_kind:     global_buffer
      - .offset:         24
        .size:           8
        .value_kind:     by_value
      - .actual_access:  read_only
        .address_space:  global
        .offset:         32
        .size:           8
        .value_kind:     global_buffer
      - .actual_access:  read_only
        .address_space:  global
        .offset:         40
        .size:           8
        .value_kind:     global_buffer
      - .actual_access:  read_only
        .address_space:  global
        .offset:         48
        .size:           8
        .value_kind:     global_buffer
      - .actual_access:  read_only
        .address_space:  global
        .offset:         56
        .size:           8
        .value_kind:     global_buffer
      - .actual_access:  read_only
        .address_space:  global
        .offset:         64
        .size:           8
        .value_kind:     global_buffer
      - .actual_access:  read_only
        .address_space:  global
        .offset:         72
        .size:           8
        .value_kind:     global_buffer
      - .offset:         80
        .size:           8
        .value_kind:     by_value
      - .actual_access:  read_only
        .address_space:  global
        .offset:         88
        .size:           8
        .value_kind:     global_buffer
      - .actual_access:  read_only
        .address_space:  global
        .offset:         96
        .size:           8
        .value_kind:     global_buffer
      - .actual_access:  read_only
        .address_space:  global
        .offset:         104
        .size:           8
        .value_kind:     global_buffer
      - .actual_access:  read_only
        .address_space:  global
        .offset:         112
        .size:           8
        .value_kind:     global_buffer
      - .actual_access:  write_only
        .address_space:  global
        .offset:         120
        .size:           8
        .value_kind:     global_buffer
      - .actual_access:  write_only
        .address_space:  global
        .offset:         128
        .size:           8
        .value_kind:     global_buffer
      - .offset:         136
        .size:           4
        .value_kind:     by_value
      - .offset:         140
        .size:           4
        .value_kind:     by_value
      - .offset:         144
        .size:           4
        .value_kind:     by_value
      - .offset:         148
        .size:           4
        .value_kind:     by_value
      - .offset:         152
        .size:           1
        .value_kind:     by_value
      - .offset:         153
        .size:           1
        .value_kind:     by_value
      - .offset:         154
        .size:           1
        .value_kind:     by_value
    .group_segment_fixed_size: 0
    .kernarg_segment_align: 8
    .kernarg_segment_size: 156
    .language:       OpenCL C
    .language_version:
      - 2
      - 0
    .max_flat_workgroup_size: 512
    .name:           _ZN9rocsparseL26csrgemm_fill_block_per_rowILj512ELj32ELj1024ELj137ELj64ElidEEvT5_PKS1_S3_NS_24const_host_device_scalarIT6_EEPKT4_S3_PKS5_S9_S3_SB_S6_S9_S3_SB_S9_PS1_PS5_21rocsparse_index_base_SE_SE_SE_bbb
    .private_segment_fixed_size: 0
    .sgpr_count:     46
    .sgpr_spill_count: 0
    .symbol:         _ZN9rocsparseL26csrgemm_fill_block_per_rowILj512ELj32ELj1024ELj137ELj64ElidEEvT5_PKS1_S3_NS_24const_host_device_scalarIT6_EEPKT4_S3_PKS5_S9_S3_SB_S6_S9_S3_SB_S9_PS1_PS5_21rocsparse_index_base_SE_SE_SE_bbb.kd
    .uniform_work_group_size: 1
    .uses_dynamic_stack: false
    .vgpr_count:     27
    .vgpr_spill_count: 0
    .wavefront_size: 32
    .workgroup_processor_mode: 1
  - .args:
      - .offset:         0
        .size:           4
        .value_kind:     by_value
      - .actual_access:  read_only
        .address_space:  global
        .offset:         8
        .size:           8
        .value_kind:     global_buffer
      - .actual_access:  read_only
        .address_space:  global
        .offset:         16
        .size:           8
        .value_kind:     global_buffer
      - .offset:         24
        .size:           8
        .value_kind:     by_value
      - .actual_access:  read_only
        .address_space:  global
        .offset:         32
        .size:           8
        .value_kind:     global_buffer
      - .actual_access:  read_only
        .address_space:  global
        .offset:         40
        .size:           8
        .value_kind:     global_buffer
      - .actual_access:  read_only
        .address_space:  global
        .offset:         48
        .size:           8
        .value_kind:     global_buffer
      - .actual_access:  read_only
        .address_space:  global
        .offset:         56
        .size:           8
        .value_kind:     global_buffer
      - .actual_access:  read_only
        .address_space:  global
        .offset:         64
        .size:           8
        .value_kind:     global_buffer
      - .actual_access:  read_only
        .address_space:  global
        .offset:         72
        .size:           8
        .value_kind:     global_buffer
      - .offset:         80
        .size:           8
        .value_kind:     by_value
      - .actual_access:  read_only
        .address_space:  global
        .offset:         88
        .size:           8
        .value_kind:     global_buffer
      - .actual_access:  read_only
        .address_space:  global
        .offset:         96
        .size:           8
        .value_kind:     global_buffer
      - .actual_access:  read_only
        .address_space:  global
        .offset:         104
        .size:           8
        .value_kind:     global_buffer
      - .actual_access:  read_only
        .address_space:  global
        .offset:         112
        .size:           8
        .value_kind:     global_buffer
      - .actual_access:  write_only
        .address_space:  global
        .offset:         120
        .size:           8
        .value_kind:     global_buffer
      - .actual_access:  write_only
        .address_space:  global
        .offset:         128
        .size:           8
        .value_kind:     global_buffer
      - .offset:         136
        .size:           4
        .value_kind:     by_value
      - .offset:         140
        .size:           4
        .value_kind:     by_value
      - .offset:         144
        .size:           4
        .value_kind:     by_value
      - .offset:         148
        .size:           4
        .value_kind:     by_value
      - .offset:         152
        .size:           1
        .value_kind:     by_value
      - .offset:         153
        .size:           1
        .value_kind:     by_value
      - .offset:         154
        .size:           1
        .value_kind:     by_value
    .group_segment_fixed_size: 0
    .kernarg_segment_align: 8
    .kernarg_segment_size: 156
    .language:       OpenCL C
    .language_version:
      - 2
      - 0
    .max_flat_workgroup_size: 1024
    .name:           _ZN9rocsparseL26csrgemm_fill_block_per_rowILj1024ELj32ELj2048ELj137ELj32ElidEEvT5_PKS1_S3_NS_24const_host_device_scalarIT6_EEPKT4_S3_PKS5_S9_S3_SB_S6_S9_S3_SB_S9_PS1_PS5_21rocsparse_index_base_SE_SE_SE_bbb
    .private_segment_fixed_size: 0
    .sgpr_count:     54
    .sgpr_spill_count: 0
    .symbol:         _ZN9rocsparseL26csrgemm_fill_block_per_rowILj1024ELj32ELj2048ELj137ELj32ElidEEvT5_PKS1_S3_NS_24const_host_device_scalarIT6_EEPKT4_S3_PKS5_S9_S3_SB_S6_S9_S3_SB_S9_PS1_PS5_21rocsparse_index_base_SE_SE_SE_bbb.kd
    .uniform_work_group_size: 1
    .uses_dynamic_stack: false
    .vgpr_count:     28
    .vgpr_spill_count: 0
    .wavefront_size: 32
    .workgroup_processor_mode: 1
  - .args:
      - .offset:         0
        .size:           4
        .value_kind:     by_value
      - .actual_access:  read_only
        .address_space:  global
        .offset:         8
        .size:           8
        .value_kind:     global_buffer
      - .actual_access:  read_only
        .address_space:  global
        .offset:         16
        .size:           8
        .value_kind:     global_buffer
      - .offset:         24
        .size:           8
        .value_kind:     by_value
      - .actual_access:  read_only
        .address_space:  global
        .offset:         32
        .size:           8
        .value_kind:     global_buffer
      - .actual_access:  read_only
        .address_space:  global
        .offset:         40
        .size:           8
        .value_kind:     global_buffer
      - .actual_access:  read_only
        .address_space:  global
        .offset:         48
        .size:           8
        .value_kind:     global_buffer
      - .actual_access:  read_only
        .address_space:  global
        .offset:         56
        .size:           8
        .value_kind:     global_buffer
      - .actual_access:  read_only
        .address_space:  global
        .offset:         64
        .size:           8
        .value_kind:     global_buffer
      - .actual_access:  read_only
        .address_space:  global
        .offset:         72
        .size:           8
        .value_kind:     global_buffer
      - .offset:         80
        .size:           8
        .value_kind:     by_value
      - .actual_access:  read_only
        .address_space:  global
        .offset:         88
        .size:           8
        .value_kind:     global_buffer
      - .actual_access:  read_only
        .address_space:  global
        .offset:         96
        .size:           8
        .value_kind:     global_buffer
      - .actual_access:  read_only
        .address_space:  global
        .offset:         104
        .size:           8
        .value_kind:     global_buffer
      - .actual_access:  read_only
        .address_space:  global
        .offset:         112
        .size:           8
        .value_kind:     global_buffer
      - .actual_access:  write_only
        .address_space:  global
        .offset:         120
        .size:           8
        .value_kind:     global_buffer
      - .actual_access:  write_only
        .address_space:  global
        .offset:         128
        .size:           8
        .value_kind:     global_buffer
      - .offset:         136
        .size:           4
        .value_kind:     by_value
      - .offset:         140
        .size:           4
        .value_kind:     by_value
      - .offset:         144
        .size:           4
        .value_kind:     by_value
      - .offset:         148
        .size:           4
        .value_kind:     by_value
      - .offset:         152
        .size:           1
        .value_kind:     by_value
      - .offset:         153
        .size:           1
        .value_kind:     by_value
      - .offset:         154
        .size:           1
        .value_kind:     by_value
    .group_segment_fixed_size: 0
    .kernarg_segment_align: 8
    .kernarg_segment_size: 156
    .language:       OpenCL C
    .language_version:
      - 2
      - 0
    .max_flat_workgroup_size: 1024
    .name:           _ZN9rocsparseL26csrgemm_fill_block_per_rowILj1024ELj32ELj2048ELj137ELj64ElidEEvT5_PKS1_S3_NS_24const_host_device_scalarIT6_EEPKT4_S3_PKS5_S9_S3_SB_S6_S9_S3_SB_S9_PS1_PS5_21rocsparse_index_base_SE_SE_SE_bbb
    .private_segment_fixed_size: 0
    .sgpr_count:     46
    .sgpr_spill_count: 0
    .symbol:         _ZN9rocsparseL26csrgemm_fill_block_per_rowILj1024ELj32ELj2048ELj137ELj64ElidEEvT5_PKS1_S3_NS_24const_host_device_scalarIT6_EEPKT4_S3_PKS5_S9_S3_SB_S6_S9_S3_SB_S9_PS1_PS5_21rocsparse_index_base_SE_SE_SE_bbb.kd
    .uniform_work_group_size: 1
    .uses_dynamic_stack: false
    .vgpr_count:     27
    .vgpr_spill_count: 0
    .wavefront_size: 32
    .workgroup_processor_mode: 1
  - .args:
      - .offset:         0
        .size:           4
        .value_kind:     by_value
      - .actual_access:  read_only
        .address_space:  global
        .offset:         8
        .size:           8
        .value_kind:     global_buffer
      - .actual_access:  read_only
        .address_space:  global
        .offset:         16
        .size:           8
        .value_kind:     global_buffer
      - .offset:         24
        .size:           8
        .value_kind:     by_value
      - .actual_access:  read_only
        .address_space:  global
        .offset:         32
        .size:           8
        .value_kind:     global_buffer
      - .actual_access:  read_only
        .address_space:  global
        .offset:         40
        .size:           8
        .value_kind:     global_buffer
      - .actual_access:  read_only
        .address_space:  global
        .offset:         48
        .size:           8
        .value_kind:     global_buffer
      - .actual_access:  read_only
        .address_space:  global
        .offset:         56
        .size:           8
        .value_kind:     global_buffer
      - .actual_access:  read_only
        .address_space:  global
        .offset:         64
        .size:           8
        .value_kind:     global_buffer
      - .actual_access:  read_only
        .address_space:  global
        .offset:         72
        .size:           8
        .value_kind:     global_buffer
      - .offset:         80
        .size:           8
        .value_kind:     by_value
      - .actual_access:  read_only
        .address_space:  global
        .offset:         88
        .size:           8
        .value_kind:     global_buffer
      - .actual_access:  read_only
        .address_space:  global
        .offset:         96
        .size:           8
        .value_kind:     global_buffer
      - .actual_access:  read_only
        .address_space:  global
        .offset:         104
        .size:           8
        .value_kind:     global_buffer
      - .actual_access:  read_only
        .address_space:  global
        .offset:         112
        .size:           8
        .value_kind:     global_buffer
      - .actual_access:  write_only
        .address_space:  global
        .offset:         120
        .size:           8
        .value_kind:     global_buffer
      - .actual_access:  write_only
        .address_space:  global
        .offset:         128
        .size:           8
        .value_kind:     global_buffer
      - .offset:         136
        .size:           4
        .value_kind:     by_value
      - .offset:         140
        .size:           4
        .value_kind:     by_value
      - .offset:         144
        .size:           4
        .value_kind:     by_value
      - .offset:         148
        .size:           4
        .value_kind:     by_value
      - .offset:         152
        .size:           1
        .value_kind:     by_value
      - .offset:         153
        .size:           1
        .value_kind:     by_value
      - .offset:         154
        .size:           1
        .value_kind:     by_value
    .group_segment_fixed_size: 0
    .kernarg_segment_align: 8
    .kernarg_segment_size: 156
    .language:       OpenCL C
    .language_version:
      - 2
      - 0
    .max_flat_workgroup_size: 1024
    .name:           _ZN9rocsparseL26csrgemm_fill_block_per_rowILj1024ELj64ELj4096ELj137ELj32ElidEEvT5_PKS1_S3_NS_24const_host_device_scalarIT6_EEPKT4_S3_PKS5_S9_S3_SB_S6_S9_S3_SB_S9_PS1_PS5_21rocsparse_index_base_SE_SE_SE_bbb
    .private_segment_fixed_size: 0
    .sgpr_count:     54
    .sgpr_spill_count: 0
    .symbol:         _ZN9rocsparseL26csrgemm_fill_block_per_rowILj1024ELj64ELj4096ELj137ELj32ElidEEvT5_PKS1_S3_NS_24const_host_device_scalarIT6_EEPKT4_S3_PKS5_S9_S3_SB_S6_S9_S3_SB_S9_PS1_PS5_21rocsparse_index_base_SE_SE_SE_bbb.kd
    .uniform_work_group_size: 1
    .uses_dynamic_stack: false
    .vgpr_count:     27
    .vgpr_spill_count: 0
    .wavefront_size: 32
    .workgroup_processor_mode: 1
  - .args:
      - .offset:         0
        .size:           4
        .value_kind:     by_value
      - .actual_access:  read_only
        .address_space:  global
        .offset:         8
        .size:           8
        .value_kind:     global_buffer
      - .actual_access:  read_only
        .address_space:  global
        .offset:         16
        .size:           8
        .value_kind:     global_buffer
      - .offset:         24
        .size:           8
        .value_kind:     by_value
      - .actual_access:  read_only
        .address_space:  global
        .offset:         32
        .size:           8
        .value_kind:     global_buffer
      - .actual_access:  read_only
        .address_space:  global
        .offset:         40
        .size:           8
        .value_kind:     global_buffer
      - .actual_access:  read_only
        .address_space:  global
        .offset:         48
        .size:           8
        .value_kind:     global_buffer
      - .actual_access:  read_only
        .address_space:  global
        .offset:         56
        .size:           8
        .value_kind:     global_buffer
      - .actual_access:  read_only
        .address_space:  global
        .offset:         64
        .size:           8
        .value_kind:     global_buffer
      - .actual_access:  read_only
        .address_space:  global
        .offset:         72
        .size:           8
        .value_kind:     global_buffer
      - .offset:         80
        .size:           8
        .value_kind:     by_value
      - .actual_access:  read_only
        .address_space:  global
        .offset:         88
        .size:           8
        .value_kind:     global_buffer
      - .actual_access:  read_only
        .address_space:  global
        .offset:         96
        .size:           8
        .value_kind:     global_buffer
      - .actual_access:  read_only
        .address_space:  global
        .offset:         104
        .size:           8
        .value_kind:     global_buffer
      - .actual_access:  read_only
        .address_space:  global
        .offset:         112
        .size:           8
        .value_kind:     global_buffer
      - .actual_access:  write_only
        .address_space:  global
        .offset:         120
        .size:           8
        .value_kind:     global_buffer
      - .actual_access:  write_only
        .address_space:  global
        .offset:         128
        .size:           8
        .value_kind:     global_buffer
      - .offset:         136
        .size:           4
        .value_kind:     by_value
      - .offset:         140
        .size:           4
        .value_kind:     by_value
      - .offset:         144
        .size:           4
        .value_kind:     by_value
      - .offset:         148
        .size:           4
        .value_kind:     by_value
      - .offset:         152
        .size:           1
        .value_kind:     by_value
      - .offset:         153
        .size:           1
        .value_kind:     by_value
      - .offset:         154
        .size:           1
        .value_kind:     by_value
    .group_segment_fixed_size: 0
    .kernarg_segment_align: 8
    .kernarg_segment_size: 156
    .language:       OpenCL C
    .language_version:
      - 2
      - 0
    .max_flat_workgroup_size: 1024
    .name:           _ZN9rocsparseL26csrgemm_fill_block_per_rowILj1024ELj64ELj4096ELj137ELj64ElidEEvT5_PKS1_S3_NS_24const_host_device_scalarIT6_EEPKT4_S3_PKS5_S9_S3_SB_S6_S9_S3_SB_S9_PS1_PS5_21rocsparse_index_base_SE_SE_SE_bbb
    .private_segment_fixed_size: 0
    .sgpr_count:     46
    .sgpr_spill_count: 0
    .symbol:         _ZN9rocsparseL26csrgemm_fill_block_per_rowILj1024ELj64ELj4096ELj137ELj64ElidEEvT5_PKS1_S3_NS_24const_host_device_scalarIT6_EEPKT4_S3_PKS5_S9_S3_SB_S6_S9_S3_SB_S9_PS1_PS5_21rocsparse_index_base_SE_SE_SE_bbb.kd
    .uniform_work_group_size: 1
    .uses_dynamic_stack: false
    .vgpr_count:     28
    .vgpr_spill_count: 0
    .wavefront_size: 32
    .workgroup_processor_mode: 1
  - .args:
      - .offset:         0
        .size:           4
        .value_kind:     by_value
      - .actual_access:  read_only
        .address_space:  global
        .offset:         8
        .size:           8
        .value_kind:     global_buffer
      - .actual_access:  read_only
        .address_space:  global
        .offset:         16
        .size:           8
        .value_kind:     global_buffer
      - .offset:         24
        .size:           8
        .value_kind:     by_value
      - .actual_access:  read_only
        .address_space:  global
        .offset:         32
        .size:           8
        .value_kind:     global_buffer
      - .actual_access:  read_only
        .address_space:  global
        .offset:         40
        .size:           8
        .value_kind:     global_buffer
      - .actual_access:  read_only
        .address_space:  global
        .offset:         48
        .size:           8
        .value_kind:     global_buffer
      - .actual_access:  read_only
        .address_space:  global
        .offset:         56
        .size:           8
        .value_kind:     global_buffer
      - .actual_access:  read_only
        .address_space:  global
        .offset:         64
        .size:           8
        .value_kind:     global_buffer
      - .actual_access:  read_only
        .address_space:  global
        .offset:         72
        .size:           8
        .value_kind:     global_buffer
      - .offset:         80
        .size:           8
        .value_kind:     by_value
      - .actual_access:  read_only
        .address_space:  global
        .offset:         88
        .size:           8
        .value_kind:     global_buffer
      - .actual_access:  read_only
        .address_space:  global
        .offset:         96
        .size:           8
        .value_kind:     global_buffer
      - .actual_access:  read_only
        .address_space:  global
        .offset:         104
        .size:           8
        .value_kind:     global_buffer
      - .actual_access:  read_only
        .address_space:  global
        .offset:         112
        .size:           8
        .value_kind:     global_buffer
      - .actual_access:  write_only
        .address_space:  global
        .offset:         120
        .size:           8
        .value_kind:     global_buffer
      - .actual_access:  write_only
        .address_space:  global
        .offset:         128
        .size:           8
        .value_kind:     global_buffer
      - .offset:         136
        .size:           4
        .value_kind:     by_value
      - .offset:         140
        .size:           4
        .value_kind:     by_value
      - .offset:         144
        .size:           4
        .value_kind:     by_value
      - .offset:         148
        .size:           4
        .value_kind:     by_value
      - .offset:         152
        .size:           1
        .value_kind:     by_value
      - .offset:         153
        .size:           1
        .value_kind:     by_value
      - .offset:         154
        .size:           1
        .value_kind:     by_value
    .group_segment_fixed_size: 0
    .kernarg_segment_align: 8
    .kernarg_segment_size: 156
    .language:       OpenCL C
    .language_version:
      - 2
      - 0
    .max_flat_workgroup_size: 1024
    .name:           _ZN9rocsparseL26csrgemm_fill_block_per_rowILj1024ELj64ELj8192ELj137ELj32ElidEEvT5_PKS1_S3_NS_24const_host_device_scalarIT6_EEPKT4_S3_PKS5_S9_S3_SB_S6_S9_S3_SB_S9_PS1_PS5_21rocsparse_index_base_SE_SE_SE_bbb
    .private_segment_fixed_size: 0
    .sgpr_count:     78
    .sgpr_spill_count: 0
    .symbol:         _ZN9rocsparseL26csrgemm_fill_block_per_rowILj1024ELj64ELj8192ELj137ELj32ElidEEvT5_PKS1_S3_NS_24const_host_device_scalarIT6_EEPKT4_S3_PKS5_S9_S3_SB_S6_S9_S3_SB_S9_PS1_PS5_21rocsparse_index_base_SE_SE_SE_bbb.kd
    .uniform_work_group_size: 1
    .uses_dynamic_stack: false
    .vgpr_count:     26
    .vgpr_spill_count: 0
    .wavefront_size: 32
    .workgroup_processor_mode: 1
  - .args:
      - .offset:         0
        .size:           4
        .value_kind:     by_value
      - .actual_access:  read_only
        .address_space:  global
        .offset:         8
        .size:           8
        .value_kind:     global_buffer
      - .actual_access:  read_only
        .address_space:  global
        .offset:         16
        .size:           8
        .value_kind:     global_buffer
      - .offset:         24
        .size:           8
        .value_kind:     by_value
      - .actual_access:  read_only
        .address_space:  global
        .offset:         32
        .size:           8
        .value_kind:     global_buffer
      - .actual_access:  read_only
        .address_space:  global
        .offset:         40
        .size:           8
        .value_kind:     global_buffer
      - .actual_access:  read_only
        .address_space:  global
        .offset:         48
        .size:           8
        .value_kind:     global_buffer
      - .actual_access:  read_only
        .address_space:  global
        .offset:         56
        .size:           8
        .value_kind:     global_buffer
      - .actual_access:  read_only
        .address_space:  global
        .offset:         64
        .size:           8
        .value_kind:     global_buffer
      - .actual_access:  read_only
        .address_space:  global
        .offset:         72
        .size:           8
        .value_kind:     global_buffer
      - .offset:         80
        .size:           8
        .value_kind:     by_value
      - .actual_access:  read_only
        .address_space:  global
        .offset:         88
        .size:           8
        .value_kind:     global_buffer
      - .actual_access:  read_only
        .address_space:  global
        .offset:         96
        .size:           8
        .value_kind:     global_buffer
      - .actual_access:  read_only
        .address_space:  global
        .offset:         104
        .size:           8
        .value_kind:     global_buffer
      - .actual_access:  read_only
        .address_space:  global
        .offset:         112
        .size:           8
        .value_kind:     global_buffer
      - .actual_access:  write_only
        .address_space:  global
        .offset:         120
        .size:           8
        .value_kind:     global_buffer
      - .actual_access:  write_only
        .address_space:  global
        .offset:         128
        .size:           8
        .value_kind:     global_buffer
      - .offset:         136
        .size:           4
        .value_kind:     by_value
      - .offset:         140
        .size:           4
        .value_kind:     by_value
      - .offset:         144
        .size:           4
        .value_kind:     by_value
      - .offset:         148
        .size:           4
        .value_kind:     by_value
      - .offset:         152
        .size:           1
        .value_kind:     by_value
      - .offset:         153
        .size:           1
        .value_kind:     by_value
      - .offset:         154
        .size:           1
        .value_kind:     by_value
    .group_segment_fixed_size: 0
    .kernarg_segment_align: 8
    .kernarg_segment_size: 156
    .language:       OpenCL C
    .language_version:
      - 2
      - 0
    .max_flat_workgroup_size: 1024
    .name:           _ZN9rocsparseL26csrgemm_fill_block_per_rowILj1024ELj64ELj8192ELj137ELj64ElidEEvT5_PKS1_S3_NS_24const_host_device_scalarIT6_EEPKT4_S3_PKS5_S9_S3_SB_S6_S9_S3_SB_S9_PS1_PS5_21rocsparse_index_base_SE_SE_SE_bbb
    .private_segment_fixed_size: 0
    .sgpr_count:     46
    .sgpr_spill_count: 0
    .symbol:         _ZN9rocsparseL26csrgemm_fill_block_per_rowILj1024ELj64ELj8192ELj137ELj64ElidEEvT5_PKS1_S3_NS_24const_host_device_scalarIT6_EEPKT4_S3_PKS5_S9_S3_SB_S6_S9_S3_SB_S9_PS1_PS5_21rocsparse_index_base_SE_SE_SE_bbb.kd
    .uniform_work_group_size: 1
    .uses_dynamic_stack: false
    .vgpr_count:     27
    .vgpr_spill_count: 0
    .wavefront_size: 32
    .workgroup_processor_mode: 1
  - .args:
      - .offset:         0
        .size:           4
        .value_kind:     by_value
      - .actual_access:  read_only
        .address_space:  global
        .offset:         8
        .size:           8
        .value_kind:     global_buffer
      - .actual_access:  read_only
        .address_space:  global
        .offset:         16
        .size:           8
        .value_kind:     global_buffer
      - .offset:         24
        .size:           8
        .value_kind:     by_value
      - .actual_access:  read_only
        .address_space:  global
        .offset:         32
        .size:           8
        .value_kind:     global_buffer
      - .actual_access:  read_only
        .address_space:  global
        .offset:         40
        .size:           8
        .value_kind:     global_buffer
      - .actual_access:  read_only
        .address_space:  global
        .offset:         48
        .size:           8
        .value_kind:     global_buffer
      - .actual_access:  read_only
        .address_space:  global
        .offset:         56
        .size:           8
        .value_kind:     global_buffer
      - .actual_access:  read_only
        .address_space:  global
        .offset:         64
        .size:           8
        .value_kind:     global_buffer
      - .actual_access:  read_only
        .address_space:  global
        .offset:         72
        .size:           8
        .value_kind:     global_buffer
      - .offset:         80
        .size:           8
        .value_kind:     by_value
      - .actual_access:  read_only
        .address_space:  global
        .offset:         88
        .size:           8
        .value_kind:     global_buffer
      - .actual_access:  read_only
        .address_space:  global
        .offset:         96
        .size:           8
        .value_kind:     global_buffer
      - .actual_access:  read_only
        .address_space:  global
        .offset:         104
        .size:           8
        .value_kind:     global_buffer
      - .actual_access:  read_only
        .address_space:  global
        .offset:         112
        .size:           8
        .value_kind:     global_buffer
      - .actual_access:  write_only
        .address_space:  global
        .offset:         120
        .size:           8
        .value_kind:     global_buffer
      - .actual_access:  write_only
        .address_space:  global
        .offset:         128
        .size:           8
        .value_kind:     global_buffer
      - .offset:         136
        .size:           4
        .value_kind:     by_value
      - .offset:         140
        .size:           4
        .value_kind:     by_value
      - .offset:         144
        .size:           4
        .value_kind:     by_value
      - .offset:         148
        .size:           4
        .value_kind:     by_value
      - .offset:         152
        .size:           1
        .value_kind:     by_value
      - .offset:         153
        .size:           1
        .value_kind:     by_value
      - .offset:         154
        .size:           1
        .value_kind:     by_value
    .group_segment_fixed_size: 0
    .kernarg_segment_align: 8
    .kernarg_segment_size: 156
    .language:       OpenCL C
    .language_version:
      - 2
      - 0
    .max_flat_workgroup_size: 1024
    .name:           _ZN9rocsparseL26csrgemm_fill_block_per_rowILj1024ELj64ELj16384ELj137ELj32ElidEEvT5_PKS1_S3_NS_24const_host_device_scalarIT6_EEPKT4_S3_PKS5_S9_S3_SB_S6_S9_S3_SB_S9_PS1_PS5_21rocsparse_index_base_SE_SE_SE_bbb
    .private_segment_fixed_size: 0
    .sgpr_count:     78
    .sgpr_spill_count: 0
    .symbol:         _ZN9rocsparseL26csrgemm_fill_block_per_rowILj1024ELj64ELj16384ELj137ELj32ElidEEvT5_PKS1_S3_NS_24const_host_device_scalarIT6_EEPKT4_S3_PKS5_S9_S3_SB_S6_S9_S3_SB_S9_PS1_PS5_21rocsparse_index_base_SE_SE_SE_bbb.kd
    .uniform_work_group_size: 1
    .uses_dynamic_stack: false
    .vgpr_count:     27
    .vgpr_spill_count: 0
    .wavefront_size: 32
    .workgroup_processor_mode: 1
  - .args:
      - .offset:         0
        .size:           4
        .value_kind:     by_value
      - .actual_access:  read_only
        .address_space:  global
        .offset:         8
        .size:           8
        .value_kind:     global_buffer
      - .actual_access:  read_only
        .address_space:  global
        .offset:         16
        .size:           8
        .value_kind:     global_buffer
      - .offset:         24
        .size:           8
        .value_kind:     by_value
      - .actual_access:  read_only
        .address_space:  global
        .offset:         32
        .size:           8
        .value_kind:     global_buffer
      - .actual_access:  read_only
        .address_space:  global
        .offset:         40
        .size:           8
        .value_kind:     global_buffer
      - .actual_access:  read_only
        .address_space:  global
        .offset:         48
        .size:           8
        .value_kind:     global_buffer
      - .actual_access:  read_only
        .address_space:  global
        .offset:         56
        .size:           8
        .value_kind:     global_buffer
      - .actual_access:  read_only
        .address_space:  global
        .offset:         64
        .size:           8
        .value_kind:     global_buffer
      - .actual_access:  read_only
        .address_space:  global
        .offset:         72
        .size:           8
        .value_kind:     global_buffer
      - .offset:         80
        .size:           8
        .value_kind:     by_value
      - .actual_access:  read_only
        .address_space:  global
        .offset:         88
        .size:           8
        .value_kind:     global_buffer
      - .actual_access:  read_only
        .address_space:  global
        .offset:         96
        .size:           8
        .value_kind:     global_buffer
      - .actual_access:  read_only
        .address_space:  global
        .offset:         104
        .size:           8
        .value_kind:     global_buffer
      - .actual_access:  read_only
        .address_space:  global
        .offset:         112
        .size:           8
        .value_kind:     global_buffer
      - .actual_access:  write_only
        .address_space:  global
        .offset:         120
        .size:           8
        .value_kind:     global_buffer
      - .actual_access:  write_only
        .address_space:  global
        .offset:         128
        .size:           8
        .value_kind:     global_buffer
      - .offset:         136
        .size:           4
        .value_kind:     by_value
      - .offset:         140
        .size:           4
        .value_kind:     by_value
      - .offset:         144
        .size:           4
        .value_kind:     by_value
      - .offset:         148
        .size:           4
        .value_kind:     by_value
      - .offset:         152
        .size:           1
        .value_kind:     by_value
      - .offset:         153
        .size:           1
        .value_kind:     by_value
      - .offset:         154
        .size:           1
        .value_kind:     by_value
    .group_segment_fixed_size: 0
    .kernarg_segment_align: 8
    .kernarg_segment_size: 156
    .language:       OpenCL C
    .language_version:
      - 2
      - 0
    .max_flat_workgroup_size: 1024
    .name:           _ZN9rocsparseL26csrgemm_fill_block_per_rowILj1024ELj64ELj16384ELj137ELj64ElidEEvT5_PKS1_S3_NS_24const_host_device_scalarIT6_EEPKT4_S3_PKS5_S9_S3_SB_S6_S9_S3_SB_S9_PS1_PS5_21rocsparse_index_base_SE_SE_SE_bbb
    .private_segment_fixed_size: 0
    .sgpr_count:     46
    .sgpr_spill_count: 0
    .symbol:         _ZN9rocsparseL26csrgemm_fill_block_per_rowILj1024ELj64ELj16384ELj137ELj64ElidEEvT5_PKS1_S3_NS_24const_host_device_scalarIT6_EEPKT4_S3_PKS5_S9_S3_SB_S6_S9_S3_SB_S9_PS1_PS5_21rocsparse_index_base_SE_SE_SE_bbb.kd
    .uniform_work_group_size: 1
    .uses_dynamic_stack: false
    .vgpr_count:     28
    .vgpr_spill_count: 0
    .wavefront_size: 32
    .workgroup_processor_mode: 1
  - .args:
      - .offset:         0
        .size:           4
        .value_kind:     by_value
      - .actual_access:  read_only
        .address_space:  global
        .offset:         8
        .size:           8
        .value_kind:     global_buffer
      - .actual_access:  read_only
        .address_space:  global
        .offset:         16
        .size:           8
        .value_kind:     global_buffer
      - .offset:         24
        .size:           8
        .value_kind:     by_value
      - .actual_access:  read_only
        .address_space:  global
        .offset:         32
        .size:           8
        .value_kind:     global_buffer
      - .actual_access:  read_only
        .address_space:  global
        .offset:         40
        .size:           8
        .value_kind:     global_buffer
      - .actual_access:  read_only
        .address_space:  global
        .offset:         48
        .size:           8
        .value_kind:     global_buffer
      - .actual_access:  read_only
        .address_space:  global
        .offset:         56
        .size:           8
        .value_kind:     global_buffer
      - .actual_access:  read_only
        .address_space:  global
        .offset:         64
        .size:           8
        .value_kind:     global_buffer
      - .actual_access:  read_only
        .address_space:  global
        .offset:         72
        .size:           8
        .value_kind:     global_buffer
      - .offset:         80
        .size:           8
        .value_kind:     by_value
      - .actual_access:  read_only
        .address_space:  global
        .offset:         88
        .size:           8
        .value_kind:     global_buffer
      - .actual_access:  read_only
        .address_space:  global
        .offset:         96
        .size:           8
        .value_kind:     global_buffer
      - .actual_access:  read_only
        .address_space:  global
        .offset:         104
        .size:           8
        .value_kind:     global_buffer
      - .actual_access:  read_only
        .address_space:  global
        .offset:         112
        .size:           8
        .value_kind:     global_buffer
      - .actual_access:  write_only
        .address_space:  global
        .offset:         120
        .size:           8
        .value_kind:     global_buffer
      - .actual_access:  write_only
        .address_space:  global
        .offset:         128
        .size:           8
        .value_kind:     global_buffer
      - .offset:         136
        .size:           4
        .value_kind:     by_value
      - .offset:         140
        .size:           4
        .value_kind:     by_value
      - .offset:         144
        .size:           4
        .value_kind:     by_value
      - .offset:         148
        .size:           4
        .value_kind:     by_value
      - .offset:         152
        .size:           1
        .value_kind:     by_value
      - .offset:         153
        .size:           1
        .value_kind:     by_value
      - .offset:         154
        .size:           1
        .value_kind:     by_value
    .group_segment_fixed_size: 0
    .kernarg_segment_align: 8
    .kernarg_segment_size: 156
    .language:       OpenCL C
    .language_version:
      - 2
      - 0
    .max_flat_workgroup_size: 1024
    .name:           _ZN9rocsparseL26csrgemm_fill_block_per_rowILj1024ELj64ELj32768ELj137ELj32ElidEEvT5_PKS1_S3_NS_24const_host_device_scalarIT6_EEPKT4_S3_PKS5_S9_S3_SB_S6_S9_S3_SB_S9_PS1_PS5_21rocsparse_index_base_SE_SE_SE_bbb
    .private_segment_fixed_size: 0
    .sgpr_count:     78
    .sgpr_spill_count: 0
    .symbol:         _ZN9rocsparseL26csrgemm_fill_block_per_rowILj1024ELj64ELj32768ELj137ELj32ElidEEvT5_PKS1_S3_NS_24const_host_device_scalarIT6_EEPKT4_S3_PKS5_S9_S3_SB_S6_S9_S3_SB_S9_PS1_PS5_21rocsparse_index_base_SE_SE_SE_bbb.kd
    .uniform_work_group_size: 1
    .uses_dynamic_stack: false
    .vgpr_count:     27
    .vgpr_spill_count: 0
    .wavefront_size: 32
    .workgroup_processor_mode: 1
  - .args:
      - .offset:         0
        .size:           4
        .value_kind:     by_value
      - .actual_access:  read_only
        .address_space:  global
        .offset:         8
        .size:           8
        .value_kind:     global_buffer
      - .actual_access:  read_only
        .address_space:  global
        .offset:         16
        .size:           8
        .value_kind:     global_buffer
      - .offset:         24
        .size:           8
        .value_kind:     by_value
      - .actual_access:  read_only
        .address_space:  global
        .offset:         32
        .size:           8
        .value_kind:     global_buffer
      - .actual_access:  read_only
        .address_space:  global
        .offset:         40
        .size:           8
        .value_kind:     global_buffer
      - .actual_access:  read_only
        .address_space:  global
        .offset:         48
        .size:           8
        .value_kind:     global_buffer
      - .actual_access:  read_only
        .address_space:  global
        .offset:         56
        .size:           8
        .value_kind:     global_buffer
      - .actual_access:  read_only
        .address_space:  global
        .offset:         64
        .size:           8
        .value_kind:     global_buffer
      - .actual_access:  read_only
        .address_space:  global
        .offset:         72
        .size:           8
        .value_kind:     global_buffer
      - .offset:         80
        .size:           8
        .value_kind:     by_value
      - .actual_access:  read_only
        .address_space:  global
        .offset:         88
        .size:           8
        .value_kind:     global_buffer
      - .actual_access:  read_only
        .address_space:  global
        .offset:         96
        .size:           8
        .value_kind:     global_buffer
      - .actual_access:  read_only
        .address_space:  global
        .offset:         104
        .size:           8
        .value_kind:     global_buffer
      - .actual_access:  read_only
        .address_space:  global
        .offset:         112
        .size:           8
        .value_kind:     global_buffer
      - .actual_access:  write_only
        .address_space:  global
        .offset:         120
        .size:           8
        .value_kind:     global_buffer
      - .actual_access:  write_only
        .address_space:  global
        .offset:         128
        .size:           8
        .value_kind:     global_buffer
      - .offset:         136
        .size:           4
        .value_kind:     by_value
      - .offset:         140
        .size:           4
        .value_kind:     by_value
      - .offset:         144
        .size:           4
        .value_kind:     by_value
      - .offset:         148
        .size:           4
        .value_kind:     by_value
      - .offset:         152
        .size:           1
        .value_kind:     by_value
      - .offset:         153
        .size:           1
        .value_kind:     by_value
      - .offset:         154
        .size:           1
        .value_kind:     by_value
    .group_segment_fixed_size: 0
    .kernarg_segment_align: 8
    .kernarg_segment_size: 156
    .language:       OpenCL C
    .language_version:
      - 2
      - 0
    .max_flat_workgroup_size: 1024
    .name:           _ZN9rocsparseL26csrgemm_fill_block_per_rowILj1024ELj64ELj32768ELj137ELj64ElidEEvT5_PKS1_S3_NS_24const_host_device_scalarIT6_EEPKT4_S3_PKS5_S9_S3_SB_S6_S9_S3_SB_S9_PS1_PS5_21rocsparse_index_base_SE_SE_SE_bbb
    .private_segment_fixed_size: 0
    .sgpr_count:     46
    .sgpr_spill_count: 0
    .symbol:         _ZN9rocsparseL26csrgemm_fill_block_per_rowILj1024ELj64ELj32768ELj137ELj64ElidEEvT5_PKS1_S3_NS_24const_host_device_scalarIT6_EEPKT4_S3_PKS5_S9_S3_SB_S6_S9_S3_SB_S9_PS1_PS5_21rocsparse_index_base_SE_SE_SE_bbb.kd
    .uniform_work_group_size: 1
    .uses_dynamic_stack: false
    .vgpr_count:     28
    .vgpr_spill_count: 0
    .wavefront_size: 32
    .workgroup_processor_mode: 1
  - .args:
      - .offset:         0
        .size:           4
        .value_kind:     by_value
      - .actual_access:  read_only
        .address_space:  global
        .offset:         8
        .size:           8
        .value_kind:     global_buffer
      - .actual_access:  read_only
        .address_space:  global
        .offset:         16
        .size:           8
        .value_kind:     global_buffer
      - .offset:         24
        .size:           8
        .value_kind:     by_value
      - .actual_access:  read_only
        .address_space:  global
        .offset:         32
        .size:           8
        .value_kind:     global_buffer
      - .actual_access:  read_only
        .address_space:  global
        .offset:         40
        .size:           8
        .value_kind:     global_buffer
      - .actual_access:  read_only
        .address_space:  global
        .offset:         48
        .size:           8
        .value_kind:     global_buffer
      - .actual_access:  read_only
        .address_space:  global
        .offset:         56
        .size:           8
        .value_kind:     global_buffer
      - .actual_access:  read_only
        .address_space:  global
        .offset:         64
        .size:           8
        .value_kind:     global_buffer
      - .actual_access:  read_only
        .address_space:  global
        .offset:         72
        .size:           8
        .value_kind:     global_buffer
      - .offset:         80
        .size:           8
        .value_kind:     by_value
      - .actual_access:  read_only
        .address_space:  global
        .offset:         88
        .size:           8
        .value_kind:     global_buffer
      - .actual_access:  read_only
        .address_space:  global
        .offset:         96
        .size:           8
        .value_kind:     global_buffer
      - .actual_access:  read_only
        .address_space:  global
        .offset:         104
        .size:           8
        .value_kind:     global_buffer
      - .actual_access:  read_only
        .address_space:  global
        .offset:         112
        .size:           8
        .value_kind:     global_buffer
      - .actual_access:  write_only
        .address_space:  global
        .offset:         120
        .size:           8
        .value_kind:     global_buffer
      - .actual_access:  write_only
        .address_space:  global
        .offset:         128
        .size:           8
        .value_kind:     global_buffer
      - .address_space:  global
        .offset:         136
        .size:           8
        .value_kind:     global_buffer
      - .offset:         144
        .size:           4
        .value_kind:     by_value
      - .offset:         148
        .size:           4
        .value_kind:     by_value
      - .offset:         152
        .size:           4
        .value_kind:     by_value
      - .offset:         156
        .size:           4
        .value_kind:     by_value
      - .offset:         160
        .size:           1
        .value_kind:     by_value
      - .offset:         161
        .size:           1
        .value_kind:     by_value
      - .offset:         162
        .size:           1
        .value_kind:     by_value
    .group_segment_fixed_size: 18440
    .kernarg_segment_align: 8
    .kernarg_segment_size: 164
    .language:       OpenCL C
    .language_version:
      - 2
      - 0
    .max_flat_workgroup_size: 512
    .name:           _ZN9rocsparseL36csrgemm_fill_block_per_row_multipassILj512ELj16ELj2048ELj32ElidEEvT4_PKS1_S3_NS_24const_host_device_scalarIT5_EEPKT3_S3_PKS5_S9_S3_SB_S6_S9_S3_SB_S9_PS1_PS5_PS7_21rocsparse_index_base_SF_SF_SF_bbb
    .private_segment_fixed_size: 0
    .sgpr_count:     67
    .sgpr_spill_count: 0
    .symbol:         _ZN9rocsparseL36csrgemm_fill_block_per_row_multipassILj512ELj16ELj2048ELj32ElidEEvT4_PKS1_S3_NS_24const_host_device_scalarIT5_EEPKT3_S3_PKS5_S9_S3_SB_S6_S9_S3_SB_S9_PS1_PS5_PS7_21rocsparse_index_base_SF_SF_SF_bbb.kd
    .uniform_work_group_size: 1
    .uses_dynamic_stack: false
    .vgpr_count:     46
    .vgpr_spill_count: 0
    .wavefront_size: 32
    .workgroup_processor_mode: 1
  - .args:
      - .offset:         0
        .size:           4
        .value_kind:     by_value
      - .actual_access:  read_only
        .address_space:  global
        .offset:         8
        .size:           8
        .value_kind:     global_buffer
      - .actual_access:  read_only
        .address_space:  global
        .offset:         16
        .size:           8
        .value_kind:     global_buffer
      - .offset:         24
        .size:           8
        .value_kind:     by_value
      - .actual_access:  read_only
        .address_space:  global
        .offset:         32
        .size:           8
        .value_kind:     global_buffer
      - .actual_access:  read_only
        .address_space:  global
        .offset:         40
        .size:           8
        .value_kind:     global_buffer
      - .actual_access:  read_only
        .address_space:  global
        .offset:         48
        .size:           8
        .value_kind:     global_buffer
      - .actual_access:  read_only
        .address_space:  global
        .offset:         56
        .size:           8
        .value_kind:     global_buffer
      - .actual_access:  read_only
        .address_space:  global
        .offset:         64
        .size:           8
        .value_kind:     global_buffer
      - .actual_access:  read_only
        .address_space:  global
        .offset:         72
        .size:           8
        .value_kind:     global_buffer
      - .offset:         80
        .size:           8
        .value_kind:     by_value
      - .actual_access:  read_only
        .address_space:  global
        .offset:         88
        .size:           8
        .value_kind:     global_buffer
      - .actual_access:  read_only
        .address_space:  global
        .offset:         96
        .size:           8
        .value_kind:     global_buffer
      - .actual_access:  read_only
        .address_space:  global
        .offset:         104
        .size:           8
        .value_kind:     global_buffer
      - .actual_access:  read_only
        .address_space:  global
        .offset:         112
        .size:           8
        .value_kind:     global_buffer
      - .actual_access:  write_only
        .address_space:  global
        .offset:         120
        .size:           8
        .value_kind:     global_buffer
      - .actual_access:  write_only
        .address_space:  global
        .offset:         128
        .size:           8
        .value_kind:     global_buffer
      - .address_space:  global
        .offset:         136
        .size:           8
        .value_kind:     global_buffer
      - .offset:         144
        .size:           4
        .value_kind:     by_value
      - .offset:         148
        .size:           4
        .value_kind:     by_value
      - .offset:         152
        .size:           4
        .value_kind:     by_value
      - .offset:         156
        .size:           4
        .value_kind:     by_value
      - .offset:         160
        .size:           1
        .value_kind:     by_value
      - .offset:         161
        .size:           1
        .value_kind:     by_value
      - .offset:         162
        .size:           1
        .value_kind:     by_value
    .group_segment_fixed_size: 18440
    .kernarg_segment_align: 8
    .kernarg_segment_size: 164
    .language:       OpenCL C
    .language_version:
      - 2
      - 0
    .max_flat_workgroup_size: 512
    .name:           _ZN9rocsparseL36csrgemm_fill_block_per_row_multipassILj512ELj16ELj2048ELj64ElidEEvT4_PKS1_S3_NS_24const_host_device_scalarIT5_EEPKT3_S3_PKS5_S9_S3_SB_S6_S9_S3_SB_S9_PS1_PS5_PS7_21rocsparse_index_base_SF_SF_SF_bbb
    .private_segment_fixed_size: 0
    .sgpr_count:     59
    .sgpr_spill_count: 0
    .symbol:         _ZN9rocsparseL36csrgemm_fill_block_per_row_multipassILj512ELj16ELj2048ELj64ElidEEvT4_PKS1_S3_NS_24const_host_device_scalarIT5_EEPKT3_S3_PKS5_S9_S3_SB_S6_S9_S3_SB_S9_PS1_PS5_PS7_21rocsparse_index_base_SF_SF_SF_bbb.kd
    .uniform_work_group_size: 1
    .uses_dynamic_stack: false
    .vgpr_count:     46
    .vgpr_spill_count: 0
    .wavefront_size: 32
    .workgroup_processor_mode: 1
  - .args:
      - .offset:         0
        .size:           4
        .value_kind:     by_value
      - .actual_access:  read_only
        .address_space:  global
        .offset:         8
        .size:           8
        .value_kind:     global_buffer
      - .actual_access:  write_only
        .address_space:  global
        .offset:         16
        .size:           8
        .value_kind:     global_buffer
      - .actual_access:  write_only
        .address_space:  global
        .offset:         24
        .size:           8
        .value_kind:     global_buffer
      - .offset:         32
        .size:           4
        .value_kind:     by_value
      - .offset:         40
        .size:           4
        .value_kind:     hidden_block_count_x
      - .offset:         44
        .size:           4
        .value_kind:     hidden_block_count_y
      - .offset:         48
        .size:           4
        .value_kind:     hidden_block_count_z
      - .offset:         52
        .size:           2
        .value_kind:     hidden_group_size_x
      - .offset:         54
        .size:           2
        .value_kind:     hidden_group_size_y
      - .offset:         56
        .size:           2
        .value_kind:     hidden_group_size_z
      - .offset:         58
        .size:           2
        .value_kind:     hidden_remainder_x
      - .offset:         60
        .size:           2
        .value_kind:     hidden_remainder_y
      - .offset:         62
        .size:           2
        .value_kind:     hidden_remainder_z
      - .offset:         80
        .size:           8
        .value_kind:     hidden_global_offset_x
      - .offset:         88
        .size:           8
        .value_kind:     hidden_global_offset_y
      - .offset:         96
        .size:           8
        .value_kind:     hidden_global_offset_z
      - .offset:         104
        .size:           2
        .value_kind:     hidden_grid_dims
    .group_segment_fixed_size: 11264
    .kernarg_segment_align: 8
    .kernarg_segment_size: 296
    .language:       OpenCL C
    .language_version:
      - 2
      - 0
    .max_flat_workgroup_size: 256
    .name:           _ZN9rocsparseL26csrgemm_group_reduce_part2ILj256ELj11E21rocsparse_complex_numIfEliEEvT3_PKT2_PS3_Pij
    .private_segment_fixed_size: 0
    .sgpr_count:     28
    .sgpr_spill_count: 0
    .symbol:         _ZN9rocsparseL26csrgemm_group_reduce_part2ILj256ELj11E21rocsparse_complex_numIfEliEEvT3_PKT2_PS3_Pij.kd
    .uniform_work_group_size: 1
    .uses_dynamic_stack: false
    .vgpr_count:     24
    .vgpr_spill_count: 0
    .wavefront_size: 32
    .workgroup_processor_mode: 1
  - .args:
      - .offset:         0
        .size:           4
        .value_kind:     by_value
      - .offset:         4
        .size:           4
        .value_kind:     by_value
      - .actual_access:  read_only
        .address_space:  global
        .offset:         8
        .size:           8
        .value_kind:     global_buffer
      - .actual_access:  read_only
        .address_space:  global
        .offset:         16
        .size:           8
        .value_kind:     global_buffer
      - .offset:         24
        .size:           8
        .value_kind:     by_value
      - .actual_access:  read_only
        .address_space:  global
        .offset:         32
        .size:           8
        .value_kind:     global_buffer
      - .actual_access:  read_only
        .address_space:  global
        .offset:         40
        .size:           8
        .value_kind:     global_buffer
      - .actual_access:  read_only
        .address_space:  global
        .offset:         48
        .size:           8
        .value_kind:     global_buffer
      - .actual_access:  read_only
        .address_space:  global
        .offset:         56
        .size:           8
        .value_kind:     global_buffer
      - .actual_access:  read_only
        .address_space:  global
        .offset:         64
        .size:           8
        .value_kind:     global_buffer
      - .actual_access:  read_only
        .address_space:  global
        .offset:         72
        .size:           8
        .value_kind:     global_buffer
      - .offset:         80
        .size:           8
        .value_kind:     by_value
      - .actual_access:  read_only
        .address_space:  global
        .offset:         88
        .size:           8
        .value_kind:     global_buffer
      - .actual_access:  read_only
        .address_space:  global
        .offset:         96
        .size:           8
        .value_kind:     global_buffer
      - .actual_access:  read_only
        .address_space:  global
        .offset:         104
        .size:           8
        .value_kind:     global_buffer
      - .actual_access:  read_only
        .address_space:  global
        .offset:         112
        .size:           8
        .value_kind:     global_buffer
      - .actual_access:  write_only
        .address_space:  global
        .offset:         120
        .size:           8
        .value_kind:     global_buffer
      - .actual_access:  write_only
        .address_space:  global
        .offset:         128
        .size:           8
        .value_kind:     global_buffer
      - .offset:         136
        .size:           4
        .value_kind:     by_value
      - .offset:         140
        .size:           4
        .value_kind:     by_value
      - .offset:         144
        .size:           4
        .value_kind:     by_value
      - .offset:         148
        .size:           4
        .value_kind:     by_value
      - .offset:         152
        .size:           1
        .value_kind:     by_value
      - .offset:         153
        .size:           1
        .value_kind:     by_value
      - .offset:         154
        .size:           1
        .value_kind:     by_value
    .group_segment_fixed_size: 6144
    .kernarg_segment_align: 8
    .kernarg_segment_size: 156
    .language:       OpenCL C
    .language_version:
      - 2
      - 0
    .max_flat_workgroup_size: 256
    .name:           _ZN9rocsparseL23csrgemm_fill_wf_per_rowILj256ELj8ELj16ELj137Eli21rocsparse_complex_numIfEEEvT4_S3_PKS3_S5_NS_24const_host_device_scalarIT5_EEPKT3_S5_PKS7_SB_S5_SD_S8_SB_S5_SD_SB_PS3_PS7_21rocsparse_index_base_SG_SG_SG_bbb
    .private_segment_fixed_size: 0
    .sgpr_count:     46
    .sgpr_spill_count: 0
    .symbol:         _ZN9rocsparseL23csrgemm_fill_wf_per_rowILj256ELj8ELj16ELj137Eli21rocsparse_complex_numIfEEEvT4_S3_PKS3_S5_NS_24const_host_device_scalarIT5_EEPKT3_S5_PKS7_SB_S5_SD_S8_SB_S5_SD_SB_PS3_PS7_21rocsparse_index_base_SG_SG_SG_bbb.kd
    .uniform_work_group_size: 1
    .uses_dynamic_stack: false
    .vgpr_count:     26
    .vgpr_spill_count: 0
    .wavefront_size: 32
    .workgroup_processor_mode: 1
  - .args:
      - .offset:         0
        .size:           4
        .value_kind:     by_value
      - .offset:         4
        .size:           4
        .value_kind:     by_value
      - .actual_access:  read_only
        .address_space:  global
        .offset:         8
        .size:           8
        .value_kind:     global_buffer
      - .actual_access:  read_only
        .address_space:  global
        .offset:         16
        .size:           8
        .value_kind:     global_buffer
      - .offset:         24
        .size:           8
        .value_kind:     by_value
      - .actual_access:  read_only
        .address_space:  global
        .offset:         32
        .size:           8
        .value_kind:     global_buffer
      - .actual_access:  read_only
        .address_space:  global
        .offset:         40
        .size:           8
        .value_kind:     global_buffer
      - .actual_access:  read_only
        .address_space:  global
        .offset:         48
        .size:           8
        .value_kind:     global_buffer
      - .actual_access:  read_only
        .address_space:  global
        .offset:         56
        .size:           8
        .value_kind:     global_buffer
      - .actual_access:  read_only
        .address_space:  global
        .offset:         64
        .size:           8
        .value_kind:     global_buffer
      - .actual_access:  read_only
        .address_space:  global
        .offset:         72
        .size:           8
        .value_kind:     global_buffer
      - .offset:         80
        .size:           8
        .value_kind:     by_value
      - .actual_access:  read_only
        .address_space:  global
        .offset:         88
        .size:           8
        .value_kind:     global_buffer
      - .actual_access:  read_only
        .address_space:  global
        .offset:         96
        .size:           8
        .value_kind:     global_buffer
      - .actual_access:  read_only
        .address_space:  global
        .offset:         104
        .size:           8
        .value_kind:     global_buffer
      - .actual_access:  read_only
        .address_space:  global
        .offset:         112
        .size:           8
        .value_kind:     global_buffer
      - .actual_access:  write_only
        .address_space:  global
        .offset:         120
        .size:           8
        .value_kind:     global_buffer
      - .actual_access:  write_only
        .address_space:  global
        .offset:         128
        .size:           8
        .value_kind:     global_buffer
      - .offset:         136
        .size:           4
        .value_kind:     by_value
      - .offset:         140
        .size:           4
        .value_kind:     by_value
      - .offset:         144
        .size:           4
        .value_kind:     by_value
      - .offset:         148
        .size:           4
        .value_kind:     by_value
      - .offset:         152
        .size:           1
        .value_kind:     by_value
      - .offset:         153
        .size:           1
        .value_kind:     by_value
      - .offset:         154
        .size:           1
        .value_kind:     by_value
    .group_segment_fixed_size: 6144
    .kernarg_segment_align: 8
    .kernarg_segment_size: 156
    .language:       OpenCL C
    .language_version:
      - 2
      - 0
    .max_flat_workgroup_size: 256
    .name:           _ZN9rocsparseL23csrgemm_fill_wf_per_rowILj256ELj16ELj32ELj137Eli21rocsparse_complex_numIfEEEvT4_S3_PKS3_S5_NS_24const_host_device_scalarIT5_EEPKT3_S5_PKS7_SB_S5_SD_S8_SB_S5_SD_SB_PS3_PS7_21rocsparse_index_base_SG_SG_SG_bbb
    .private_segment_fixed_size: 0
    .sgpr_count:     46
    .sgpr_spill_count: 0
    .symbol:         _ZN9rocsparseL23csrgemm_fill_wf_per_rowILj256ELj16ELj32ELj137Eli21rocsparse_complex_numIfEEEvT4_S3_PKS3_S5_NS_24const_host_device_scalarIT5_EEPKT3_S5_PKS7_SB_S5_SD_S8_SB_S5_SD_SB_PS3_PS7_21rocsparse_index_base_SG_SG_SG_bbb.kd
    .uniform_work_group_size: 1
    .uses_dynamic_stack: false
    .vgpr_count:     30
    .vgpr_spill_count: 0
    .wavefront_size: 32
    .workgroup_processor_mode: 1
  - .args:
      - .offset:         0
        .size:           4
        .value_kind:     by_value
      - .actual_access:  read_only
        .address_space:  global
        .offset:         8
        .size:           8
        .value_kind:     global_buffer
      - .actual_access:  read_only
        .address_space:  global
        .offset:         16
        .size:           8
        .value_kind:     global_buffer
      - .offset:         24
        .size:           8
        .value_kind:     by_value
      - .actual_access:  read_only
        .address_space:  global
        .offset:         32
        .size:           8
        .value_kind:     global_buffer
      - .actual_access:  read_only
        .address_space:  global
        .offset:         40
        .size:           8
        .value_kind:     global_buffer
      - .actual_access:  read_only
        .address_space:  global
        .offset:         48
        .size:           8
        .value_kind:     global_buffer
      - .actual_access:  read_only
        .address_space:  global
        .offset:         56
        .size:           8
        .value_kind:     global_buffer
      - .actual_access:  read_only
        .address_space:  global
        .offset:         64
        .size:           8
        .value_kind:     global_buffer
      - .actual_access:  read_only
        .address_space:  global
        .offset:         72
        .size:           8
        .value_kind:     global_buffer
      - .offset:         80
        .size:           8
        .value_kind:     by_value
      - .actual_access:  read_only
        .address_space:  global
        .offset:         88
        .size:           8
        .value_kind:     global_buffer
      - .actual_access:  read_only
        .address_space:  global
        .offset:         96
        .size:           8
        .value_kind:     global_buffer
      - .actual_access:  read_only
        .address_space:  global
        .offset:         104
        .size:           8
        .value_kind:     global_buffer
      - .actual_access:  read_only
        .address_space:  global
        .offset:         112
        .size:           8
        .value_kind:     global_buffer
      - .actual_access:  write_only
        .address_space:  global
        .offset:         120
        .size:           8
        .value_kind:     global_buffer
      - .actual_access:  write_only
        .address_space:  global
        .offset:         128
        .size:           8
        .value_kind:     global_buffer
      - .offset:         136
        .size:           4
        .value_kind:     by_value
      - .offset:         140
        .size:           4
        .value_kind:     by_value
      - .offset:         144
        .size:           4
        .value_kind:     by_value
      - .offset:         148
        .size:           4
        .value_kind:     by_value
      - .offset:         152
        .size:           1
        .value_kind:     by_value
      - .offset:         153
        .size:           1
        .value_kind:     by_value
      - .offset:         154
        .size:           1
        .value_kind:     by_value
    .group_segment_fixed_size: 0
    .kernarg_segment_align: 8
    .kernarg_segment_size: 156
    .language:       OpenCL C
    .language_version:
      - 2
      - 0
    .max_flat_workgroup_size: 128
    .name:           _ZN9rocsparseL26csrgemm_fill_block_per_rowILj128ELj16ELj256ELj137ELj32Eli21rocsparse_complex_numIfEEEvT5_PKS3_S5_NS_24const_host_device_scalarIT6_EEPKT4_S5_PKS7_SB_S5_SD_S8_SB_S5_SD_SB_PS3_PS7_21rocsparse_index_base_SG_SG_SG_bbb
    .private_segment_fixed_size: 0
    .sgpr_count:     50
    .sgpr_spill_count: 0
    .symbol:         _ZN9rocsparseL26csrgemm_fill_block_per_rowILj128ELj16ELj256ELj137ELj32Eli21rocsparse_complex_numIfEEEvT5_PKS3_S5_NS_24const_host_device_scalarIT6_EEPKT4_S5_PKS7_SB_S5_SD_S8_SB_S5_SD_SB_PS3_PS7_21rocsparse_index_base_SG_SG_SG_bbb.kd
    .uniform_work_group_size: 1
    .uses_dynamic_stack: false
    .vgpr_count:     20
    .vgpr_spill_count: 0
    .wavefront_size: 32
    .workgroup_processor_mode: 1
  - .args:
      - .offset:         0
        .size:           4
        .value_kind:     by_value
      - .actual_access:  read_only
        .address_space:  global
        .offset:         8
        .size:           8
        .value_kind:     global_buffer
      - .actual_access:  read_only
        .address_space:  global
        .offset:         16
        .size:           8
        .value_kind:     global_buffer
      - .offset:         24
        .size:           8
        .value_kind:     by_value
      - .actual_access:  read_only
        .address_space:  global
        .offset:         32
        .size:           8
        .value_kind:     global_buffer
      - .actual_access:  read_only
        .address_space:  global
        .offset:         40
        .size:           8
        .value_kind:     global_buffer
      - .actual_access:  read_only
        .address_space:  global
        .offset:         48
        .size:           8
        .value_kind:     global_buffer
      - .actual_access:  read_only
        .address_space:  global
        .offset:         56
        .size:           8
        .value_kind:     global_buffer
      - .actual_access:  read_only
        .address_space:  global
        .offset:         64
        .size:           8
        .value_kind:     global_buffer
      - .actual_access:  read_only
        .address_space:  global
        .offset:         72
        .size:           8
        .value_kind:     global_buffer
      - .offset:         80
        .size:           8
        .value_kind:     by_value
      - .actual_access:  read_only
        .address_space:  global
        .offset:         88
        .size:           8
        .value_kind:     global_buffer
      - .actual_access:  read_only
        .address_space:  global
        .offset:         96
        .size:           8
        .value_kind:     global_buffer
      - .actual_access:  read_only
        .address_space:  global
        .offset:         104
        .size:           8
        .value_kind:     global_buffer
      - .actual_access:  read_only
        .address_space:  global
        .offset:         112
        .size:           8
        .value_kind:     global_buffer
      - .actual_access:  write_only
        .address_space:  global
        .offset:         120
        .size:           8
        .value_kind:     global_buffer
      - .actual_access:  write_only
        .address_space:  global
        .offset:         128
        .size:           8
        .value_kind:     global_buffer
      - .offset:         136
        .size:           4
        .value_kind:     by_value
      - .offset:         140
        .size:           4
        .value_kind:     by_value
      - .offset:         144
        .size:           4
        .value_kind:     by_value
      - .offset:         148
        .size:           4
        .value_kind:     by_value
      - .offset:         152
        .size:           1
        .value_kind:     by_value
      - .offset:         153
        .size:           1
        .value_kind:     by_value
      - .offset:         154
        .size:           1
        .value_kind:     by_value
    .group_segment_fixed_size: 0
    .kernarg_segment_align: 8
    .kernarg_segment_size: 156
    .language:       OpenCL C
    .language_version:
      - 2
      - 0
    .max_flat_workgroup_size: 128
    .name:           _ZN9rocsparseL26csrgemm_fill_block_per_rowILj128ELj16ELj256ELj137ELj64Eli21rocsparse_complex_numIfEEEvT5_PKS3_S5_NS_24const_host_device_scalarIT6_EEPKT4_S5_PKS7_SB_S5_SD_S8_SB_S5_SD_SB_PS3_PS7_21rocsparse_index_base_SG_SG_SG_bbb
    .private_segment_fixed_size: 0
    .sgpr_count:     50
    .sgpr_spill_count: 0
    .symbol:         _ZN9rocsparseL26csrgemm_fill_block_per_rowILj128ELj16ELj256ELj137ELj64Eli21rocsparse_complex_numIfEEEvT5_PKS3_S5_NS_24const_host_device_scalarIT6_EEPKT4_S5_PKS7_SB_S5_SD_S8_SB_S5_SD_SB_PS3_PS7_21rocsparse_index_base_SG_SG_SG_bbb.kd
    .uniform_work_group_size: 1
    .uses_dynamic_stack: false
    .vgpr_count:     21
    .vgpr_spill_count: 0
    .wavefront_size: 32
    .workgroup_processor_mode: 1
  - .args:
      - .offset:         0
        .size:           4
        .value_kind:     by_value
      - .actual_access:  read_only
        .address_space:  global
        .offset:         8
        .size:           8
        .value_kind:     global_buffer
      - .actual_access:  read_only
        .address_space:  global
        .offset:         16
        .size:           8
        .value_kind:     global_buffer
      - .offset:         24
        .size:           8
        .value_kind:     by_value
      - .actual_access:  read_only
        .address_space:  global
        .offset:         32
        .size:           8
        .value_kind:     global_buffer
      - .actual_access:  read_only
        .address_space:  global
        .offset:         40
        .size:           8
        .value_kind:     global_buffer
      - .actual_access:  read_only
        .address_space:  global
        .offset:         48
        .size:           8
        .value_kind:     global_buffer
      - .actual_access:  read_only
        .address_space:  global
        .offset:         56
        .size:           8
        .value_kind:     global_buffer
      - .actual_access:  read_only
        .address_space:  global
        .offset:         64
        .size:           8
        .value_kind:     global_buffer
      - .actual_access:  read_only
        .address_space:  global
        .offset:         72
        .size:           8
        .value_kind:     global_buffer
      - .offset:         80
        .size:           8
        .value_kind:     by_value
      - .actual_access:  read_only
        .address_space:  global
        .offset:         88
        .size:           8
        .value_kind:     global_buffer
      - .actual_access:  read_only
        .address_space:  global
        .offset:         96
        .size:           8
        .value_kind:     global_buffer
      - .actual_access:  read_only
        .address_space:  global
        .offset:         104
        .size:           8
        .value_kind:     global_buffer
      - .actual_access:  read_only
        .address_space:  global
        .offset:         112
        .size:           8
        .value_kind:     global_buffer
      - .actual_access:  write_only
        .address_space:  global
        .offset:         120
        .size:           8
        .value_kind:     global_buffer
      - .actual_access:  write_only
        .address_space:  global
        .offset:         128
        .size:           8
        .value_kind:     global_buffer
      - .offset:         136
        .size:           4
        .value_kind:     by_value
      - .offset:         140
        .size:           4
        .value_kind:     by_value
      - .offset:         144
        .size:           4
        .value_kind:     by_value
      - .offset:         148
        .size:           4
        .value_kind:     by_value
      - .offset:         152
        .size:           1
        .value_kind:     by_value
      - .offset:         153
        .size:           1
        .value_kind:     by_value
      - .offset:         154
        .size:           1
        .value_kind:     by_value
    .group_segment_fixed_size: 0
    .kernarg_segment_align: 8
    .kernarg_segment_size: 156
    .language:       OpenCL C
    .language_version:
      - 2
      - 0
    .max_flat_workgroup_size: 256
    .name:           _ZN9rocsparseL26csrgemm_fill_block_per_rowILj256ELj32ELj512ELj137ELj32Eli21rocsparse_complex_numIfEEEvT5_PKS3_S5_NS_24const_host_device_scalarIT6_EEPKT4_S5_PKS7_SB_S5_SD_S8_SB_S5_SD_SB_PS3_PS7_21rocsparse_index_base_SG_SG_SG_bbb
    .private_segment_fixed_size: 0
    .sgpr_count:     50
    .sgpr_spill_count: 0
    .symbol:         _ZN9rocsparseL26csrgemm_fill_block_per_rowILj256ELj32ELj512ELj137ELj32Eli21rocsparse_complex_numIfEEEvT5_PKS3_S5_NS_24const_host_device_scalarIT6_EEPKT4_S5_PKS7_SB_S5_SD_S8_SB_S5_SD_SB_PS3_PS7_21rocsparse_index_base_SG_SG_SG_bbb.kd
    .uniform_work_group_size: 1
    .uses_dynamic_stack: false
    .vgpr_count:     21
    .vgpr_spill_count: 0
    .wavefront_size: 32
    .workgroup_processor_mode: 1
  - .args:
      - .offset:         0
        .size:           4
        .value_kind:     by_value
      - .actual_access:  read_only
        .address_space:  global
        .offset:         8
        .size:           8
        .value_kind:     global_buffer
      - .actual_access:  read_only
        .address_space:  global
        .offset:         16
        .size:           8
        .value_kind:     global_buffer
      - .offset:         24
        .size:           8
        .value_kind:     by_value
      - .actual_access:  read_only
        .address_space:  global
        .offset:         32
        .size:           8
        .value_kind:     global_buffer
      - .actual_access:  read_only
        .address_space:  global
        .offset:         40
        .size:           8
        .value_kind:     global_buffer
      - .actual_access:  read_only
        .address_space:  global
        .offset:         48
        .size:           8
        .value_kind:     global_buffer
      - .actual_access:  read_only
        .address_space:  global
        .offset:         56
        .size:           8
        .value_kind:     global_buffer
      - .actual_access:  read_only
        .address_space:  global
        .offset:         64
        .size:           8
        .value_kind:     global_buffer
      - .actual_access:  read_only
        .address_space:  global
        .offset:         72
        .size:           8
        .value_kind:     global_buffer
      - .offset:         80
        .size:           8
        .value_kind:     by_value
      - .actual_access:  read_only
        .address_space:  global
        .offset:         88
        .size:           8
        .value_kind:     global_buffer
      - .actual_access:  read_only
        .address_space:  global
        .offset:         96
        .size:           8
        .value_kind:     global_buffer
      - .actual_access:  read_only
        .address_space:  global
        .offset:         104
        .size:           8
        .value_kind:     global_buffer
      - .actual_access:  read_only
        .address_space:  global
        .offset:         112
        .size:           8
        .value_kind:     global_buffer
      - .actual_access:  write_only
        .address_space:  global
        .offset:         120
        .size:           8
        .value_kind:     global_buffer
      - .actual_access:  write_only
        .address_space:  global
        .offset:         128
        .size:           8
        .value_kind:     global_buffer
      - .offset:         136
        .size:           4
        .value_kind:     by_value
      - .offset:         140
        .size:           4
        .value_kind:     by_value
      - .offset:         144
        .size:           4
        .value_kind:     by_value
      - .offset:         148
        .size:           4
        .value_kind:     by_value
      - .offset:         152
        .size:           1
        .value_kind:     by_value
      - .offset:         153
        .size:           1
        .value_kind:     by_value
      - .offset:         154
        .size:           1
        .value_kind:     by_value
    .group_segment_fixed_size: 0
    .kernarg_segment_align: 8
    .kernarg_segment_size: 156
    .language:       OpenCL C
    .language_version:
      - 2
      - 0
    .max_flat_workgroup_size: 256
    .name:           _ZN9rocsparseL26csrgemm_fill_block_per_rowILj256ELj32ELj512ELj137ELj64Eli21rocsparse_complex_numIfEEEvT5_PKS3_S5_NS_24const_host_device_scalarIT6_EEPKT4_S5_PKS7_SB_S5_SD_S8_SB_S5_SD_SB_PS3_PS7_21rocsparse_index_base_SG_SG_SG_bbb
    .private_segment_fixed_size: 0
    .sgpr_count:     50
    .sgpr_spill_count: 0
    .symbol:         _ZN9rocsparseL26csrgemm_fill_block_per_rowILj256ELj32ELj512ELj137ELj64Eli21rocsparse_complex_numIfEEEvT5_PKS3_S5_NS_24const_host_device_scalarIT6_EEPKT4_S5_PKS7_SB_S5_SD_S8_SB_S5_SD_SB_PS3_PS7_21rocsparse_index_base_SG_SG_SG_bbb.kd
    .uniform_work_group_size: 1
    .uses_dynamic_stack: false
    .vgpr_count:     20
    .vgpr_spill_count: 0
    .wavefront_size: 32
    .workgroup_processor_mode: 1
  - .args:
      - .offset:         0
        .size:           4
        .value_kind:     by_value
      - .actual_access:  read_only
        .address_space:  global
        .offset:         8
        .size:           8
        .value_kind:     global_buffer
      - .actual_access:  read_only
        .address_space:  global
        .offset:         16
        .size:           8
        .value_kind:     global_buffer
      - .offset:         24
        .size:           8
        .value_kind:     by_value
      - .actual_access:  read_only
        .address_space:  global
        .offset:         32
        .size:           8
        .value_kind:     global_buffer
      - .actual_access:  read_only
        .address_space:  global
        .offset:         40
        .size:           8
        .value_kind:     global_buffer
      - .actual_access:  read_only
        .address_space:  global
        .offset:         48
        .size:           8
        .value_kind:     global_buffer
      - .actual_access:  read_only
        .address_space:  global
        .offset:         56
        .size:           8
        .value_kind:     global_buffer
      - .actual_access:  read_only
        .address_space:  global
        .offset:         64
        .size:           8
        .value_kind:     global_buffer
      - .actual_access:  read_only
        .address_space:  global
        .offset:         72
        .size:           8
        .value_kind:     global_buffer
      - .offset:         80
        .size:           8
        .value_kind:     by_value
      - .actual_access:  read_only
        .address_space:  global
        .offset:         88
        .size:           8
        .value_kind:     global_buffer
      - .actual_access:  read_only
        .address_space:  global
        .offset:         96
        .size:           8
        .value_kind:     global_buffer
      - .actual_access:  read_only
        .address_space:  global
        .offset:         104
        .size:           8
        .value_kind:     global_buffer
      - .actual_access:  read_only
        .address_space:  global
        .offset:         112
        .size:           8
        .value_kind:     global_buffer
      - .actual_access:  write_only
        .address_space:  global
        .offset:         120
        .size:           8
        .value_kind:     global_buffer
      - .actual_access:  write_only
        .address_space:  global
        .offset:         128
        .size:           8
        .value_kind:     global_buffer
      - .offset:         136
        .size:           4
        .value_kind:     by_value
      - .offset:         140
        .size:           4
        .value_kind:     by_value
      - .offset:         144
        .size:           4
        .value_kind:     by_value
      - .offset:         148
        .size:           4
        .value_kind:     by_value
      - .offset:         152
        .size:           1
        .value_kind:     by_value
      - .offset:         153
        .size:           1
        .value_kind:     by_value
      - .offset:         154
        .size:           1
        .value_kind:     by_value
    .group_segment_fixed_size: 0
    .kernarg_segment_align: 8
    .kernarg_segment_size: 156
    .language:       OpenCL C
    .language_version:
      - 2
      - 0
    .max_flat_workgroup_size: 512
    .name:           _ZN9rocsparseL26csrgemm_fill_block_per_rowILj512ELj32ELj1024ELj137ELj32Eli21rocsparse_complex_numIfEEEvT5_PKS3_S5_NS_24const_host_device_scalarIT6_EEPKT4_S5_PKS7_SB_S5_SD_S8_SB_S5_SD_SB_PS3_PS7_21rocsparse_index_base_SG_SG_SG_bbb
    .private_segment_fixed_size: 0
    .sgpr_count:     50
    .sgpr_spill_count: 0
    .symbol:         _ZN9rocsparseL26csrgemm_fill_block_per_rowILj512ELj32ELj1024ELj137ELj32Eli21rocsparse_complex_numIfEEEvT5_PKS3_S5_NS_24const_host_device_scalarIT6_EEPKT4_S5_PKS7_SB_S5_SD_S8_SB_S5_SD_SB_PS3_PS7_21rocsparse_index_base_SG_SG_SG_bbb.kd
    .uniform_work_group_size: 1
    .uses_dynamic_stack: false
    .vgpr_count:     21
    .vgpr_spill_count: 0
    .wavefront_size: 32
    .workgroup_processor_mode: 1
  - .args:
      - .offset:         0
        .size:           4
        .value_kind:     by_value
      - .actual_access:  read_only
        .address_space:  global
        .offset:         8
        .size:           8
        .value_kind:     global_buffer
      - .actual_access:  read_only
        .address_space:  global
        .offset:         16
        .size:           8
        .value_kind:     global_buffer
      - .offset:         24
        .size:           8
        .value_kind:     by_value
      - .actual_access:  read_only
        .address_space:  global
        .offset:         32
        .size:           8
        .value_kind:     global_buffer
      - .actual_access:  read_only
        .address_space:  global
        .offset:         40
        .size:           8
        .value_kind:     global_buffer
      - .actual_access:  read_only
        .address_space:  global
        .offset:         48
        .size:           8
        .value_kind:     global_buffer
      - .actual_access:  read_only
        .address_space:  global
        .offset:         56
        .size:           8
        .value_kind:     global_buffer
      - .actual_access:  read_only
        .address_space:  global
        .offset:         64
        .size:           8
        .value_kind:     global_buffer
      - .actual_access:  read_only
        .address_space:  global
        .offset:         72
        .size:           8
        .value_kind:     global_buffer
      - .offset:         80
        .size:           8
        .value_kind:     by_value
      - .actual_access:  read_only
        .address_space:  global
        .offset:         88
        .size:           8
        .value_kind:     global_buffer
      - .actual_access:  read_only
        .address_space:  global
        .offset:         96
        .size:           8
        .value_kind:     global_buffer
      - .actual_access:  read_only
        .address_space:  global
        .offset:         104
        .size:           8
        .value_kind:     global_buffer
      - .actual_access:  read_only
        .address_space:  global
        .offset:         112
        .size:           8
        .value_kind:     global_buffer
      - .actual_access:  write_only
        .address_space:  global
        .offset:         120
        .size:           8
        .value_kind:     global_buffer
      - .actual_access:  write_only
        .address_space:  global
        .offset:         128
        .size:           8
        .value_kind:     global_buffer
      - .offset:         136
        .size:           4
        .value_kind:     by_value
      - .offset:         140
        .size:           4
        .value_kind:     by_value
      - .offset:         144
        .size:           4
        .value_kind:     by_value
      - .offset:         148
        .size:           4
        .value_kind:     by_value
      - .offset:         152
        .size:           1
        .value_kind:     by_value
      - .offset:         153
        .size:           1
        .value_kind:     by_value
      - .offset:         154
        .size:           1
        .value_kind:     by_value
    .group_segment_fixed_size: 0
    .kernarg_segment_align: 8
    .kernarg_segment_size: 156
    .language:       OpenCL C
    .language_version:
      - 2
      - 0
    .max_flat_workgroup_size: 512
    .name:           _ZN9rocsparseL26csrgemm_fill_block_per_rowILj512ELj32ELj1024ELj137ELj64Eli21rocsparse_complex_numIfEEEvT5_PKS3_S5_NS_24const_host_device_scalarIT6_EEPKT4_S5_PKS7_SB_S5_SD_S8_SB_S5_SD_SB_PS3_PS7_21rocsparse_index_base_SG_SG_SG_bbb
    .private_segment_fixed_size: 0
    .sgpr_count:     49
    .sgpr_spill_count: 0
    .symbol:         _ZN9rocsparseL26csrgemm_fill_block_per_rowILj512ELj32ELj1024ELj137ELj64Eli21rocsparse_complex_numIfEEEvT5_PKS3_S5_NS_24const_host_device_scalarIT6_EEPKT4_S5_PKS7_SB_S5_SD_S8_SB_S5_SD_SB_PS3_PS7_21rocsparse_index_base_SG_SG_SG_bbb.kd
    .uniform_work_group_size: 1
    .uses_dynamic_stack: false
    .vgpr_count:     20
    .vgpr_spill_count: 0
    .wavefront_size: 32
    .workgroup_processor_mode: 1
  - .args:
      - .offset:         0
        .size:           4
        .value_kind:     by_value
      - .actual_access:  read_only
        .address_space:  global
        .offset:         8
        .size:           8
        .value_kind:     global_buffer
      - .actual_access:  read_only
        .address_space:  global
        .offset:         16
        .size:           8
        .value_kind:     global_buffer
      - .offset:         24
        .size:           8
        .value_kind:     by_value
      - .actual_access:  read_only
        .address_space:  global
        .offset:         32
        .size:           8
        .value_kind:     global_buffer
      - .actual_access:  read_only
        .address_space:  global
        .offset:         40
        .size:           8
        .value_kind:     global_buffer
      - .actual_access:  read_only
        .address_space:  global
        .offset:         48
        .size:           8
        .value_kind:     global_buffer
      - .actual_access:  read_only
        .address_space:  global
        .offset:         56
        .size:           8
        .value_kind:     global_buffer
      - .actual_access:  read_only
        .address_space:  global
        .offset:         64
        .size:           8
        .value_kind:     global_buffer
      - .actual_access:  read_only
        .address_space:  global
        .offset:         72
        .size:           8
        .value_kind:     global_buffer
      - .offset:         80
        .size:           8
        .value_kind:     by_value
      - .actual_access:  read_only
        .address_space:  global
        .offset:         88
        .size:           8
        .value_kind:     global_buffer
      - .actual_access:  read_only
        .address_space:  global
        .offset:         96
        .size:           8
        .value_kind:     global_buffer
      - .actual_access:  read_only
        .address_space:  global
        .offset:         104
        .size:           8
        .value_kind:     global_buffer
      - .actual_access:  read_only
        .address_space:  global
        .offset:         112
        .size:           8
        .value_kind:     global_buffer
      - .actual_access:  write_only
        .address_space:  global
        .offset:         120
        .size:           8
        .value_kind:     global_buffer
      - .actual_access:  write_only
        .address_space:  global
        .offset:         128
        .size:           8
        .value_kind:     global_buffer
      - .offset:         136
        .size:           4
        .value_kind:     by_value
      - .offset:         140
        .size:           4
        .value_kind:     by_value
      - .offset:         144
        .size:           4
        .value_kind:     by_value
      - .offset:         148
        .size:           4
        .value_kind:     by_value
      - .offset:         152
        .size:           1
        .value_kind:     by_value
      - .offset:         153
        .size:           1
        .value_kind:     by_value
      - .offset:         154
        .size:           1
        .value_kind:     by_value
    .group_segment_fixed_size: 0
    .kernarg_segment_align: 8
    .kernarg_segment_size: 156
    .language:       OpenCL C
    .language_version:
      - 2
      - 0
    .max_flat_workgroup_size: 1024
    .name:           _ZN9rocsparseL26csrgemm_fill_block_per_rowILj1024ELj32ELj2048ELj137ELj32Eli21rocsparse_complex_numIfEEEvT5_PKS3_S5_NS_24const_host_device_scalarIT6_EEPKT4_S5_PKS7_SB_S5_SD_S8_SB_S5_SD_SB_PS3_PS7_21rocsparse_index_base_SG_SG_SG_bbb
    .private_segment_fixed_size: 0
    .sgpr_count:     52
    .sgpr_spill_count: 0
    .symbol:         _ZN9rocsparseL26csrgemm_fill_block_per_rowILj1024ELj32ELj2048ELj137ELj32Eli21rocsparse_complex_numIfEEEvT5_PKS3_S5_NS_24const_host_device_scalarIT6_EEPKT4_S5_PKS7_SB_S5_SD_S8_SB_S5_SD_SB_PS3_PS7_21rocsparse_index_base_SG_SG_SG_bbb.kd
    .uniform_work_group_size: 1
    .uses_dynamic_stack: false
    .vgpr_count:     21
    .vgpr_spill_count: 0
    .wavefront_size: 32
    .workgroup_processor_mode: 1
  - .args:
      - .offset:         0
        .size:           4
        .value_kind:     by_value
      - .actual_access:  read_only
        .address_space:  global
        .offset:         8
        .size:           8
        .value_kind:     global_buffer
      - .actual_access:  read_only
        .address_space:  global
        .offset:         16
        .size:           8
        .value_kind:     global_buffer
      - .offset:         24
        .size:           8
        .value_kind:     by_value
      - .actual_access:  read_only
        .address_space:  global
        .offset:         32
        .size:           8
        .value_kind:     global_buffer
      - .actual_access:  read_only
        .address_space:  global
        .offset:         40
        .size:           8
        .value_kind:     global_buffer
      - .actual_access:  read_only
        .address_space:  global
        .offset:         48
        .size:           8
        .value_kind:     global_buffer
      - .actual_access:  read_only
        .address_space:  global
        .offset:         56
        .size:           8
        .value_kind:     global_buffer
      - .actual_access:  read_only
        .address_space:  global
        .offset:         64
        .size:           8
        .value_kind:     global_buffer
      - .actual_access:  read_only
        .address_space:  global
        .offset:         72
        .size:           8
        .value_kind:     global_buffer
      - .offset:         80
        .size:           8
        .value_kind:     by_value
      - .actual_access:  read_only
        .address_space:  global
        .offset:         88
        .size:           8
        .value_kind:     global_buffer
      - .actual_access:  read_only
        .address_space:  global
        .offset:         96
        .size:           8
        .value_kind:     global_buffer
      - .actual_access:  read_only
        .address_space:  global
        .offset:         104
        .size:           8
        .value_kind:     global_buffer
      - .actual_access:  read_only
        .address_space:  global
        .offset:         112
        .size:           8
        .value_kind:     global_buffer
      - .actual_access:  write_only
        .address_space:  global
        .offset:         120
        .size:           8
        .value_kind:     global_buffer
      - .actual_access:  write_only
        .address_space:  global
        .offset:         128
        .size:           8
        .value_kind:     global_buffer
      - .offset:         136
        .size:           4
        .value_kind:     by_value
      - .offset:         140
        .size:           4
        .value_kind:     by_value
      - .offset:         144
        .size:           4
        .value_kind:     by_value
      - .offset:         148
        .size:           4
        .value_kind:     by_value
      - .offset:         152
        .size:           1
        .value_kind:     by_value
      - .offset:         153
        .size:           1
        .value_kind:     by_value
      - .offset:         154
        .size:           1
        .value_kind:     by_value
    .group_segment_fixed_size: 0
    .kernarg_segment_align: 8
    .kernarg_segment_size: 156
    .language:       OpenCL C
    .language_version:
      - 2
      - 0
    .max_flat_workgroup_size: 1024
    .name:           _ZN9rocsparseL26csrgemm_fill_block_per_rowILj1024ELj32ELj2048ELj137ELj64Eli21rocsparse_complex_numIfEEEvT5_PKS3_S5_NS_24const_host_device_scalarIT6_EEPKT4_S5_PKS7_SB_S5_SD_S8_SB_S5_SD_SB_PS3_PS7_21rocsparse_index_base_SG_SG_SG_bbb
    .private_segment_fixed_size: 0
    .sgpr_count:     50
    .sgpr_spill_count: 0
    .symbol:         _ZN9rocsparseL26csrgemm_fill_block_per_rowILj1024ELj32ELj2048ELj137ELj64Eli21rocsparse_complex_numIfEEEvT5_PKS3_S5_NS_24const_host_device_scalarIT6_EEPKT4_S5_PKS7_SB_S5_SD_S8_SB_S5_SD_SB_PS3_PS7_21rocsparse_index_base_SG_SG_SG_bbb.kd
    .uniform_work_group_size: 1
    .uses_dynamic_stack: false
    .vgpr_count:     20
    .vgpr_spill_count: 0
    .wavefront_size: 32
    .workgroup_processor_mode: 1
  - .args:
      - .offset:         0
        .size:           4
        .value_kind:     by_value
      - .actual_access:  read_only
        .address_space:  global
        .offset:         8
        .size:           8
        .value_kind:     global_buffer
      - .actual_access:  read_only
        .address_space:  global
        .offset:         16
        .size:           8
        .value_kind:     global_buffer
      - .offset:         24
        .size:           8
        .value_kind:     by_value
      - .actual_access:  read_only
        .address_space:  global
        .offset:         32
        .size:           8
        .value_kind:     global_buffer
      - .actual_access:  read_only
        .address_space:  global
        .offset:         40
        .size:           8
        .value_kind:     global_buffer
      - .actual_access:  read_only
        .address_space:  global
        .offset:         48
        .size:           8
        .value_kind:     global_buffer
      - .actual_access:  read_only
        .address_space:  global
        .offset:         56
        .size:           8
        .value_kind:     global_buffer
      - .actual_access:  read_only
        .address_space:  global
        .offset:         64
        .size:           8
        .value_kind:     global_buffer
      - .actual_access:  read_only
        .address_space:  global
        .offset:         72
        .size:           8
        .value_kind:     global_buffer
      - .offset:         80
        .size:           8
        .value_kind:     by_value
      - .actual_access:  read_only
        .address_space:  global
        .offset:         88
        .size:           8
        .value_kind:     global_buffer
      - .actual_access:  read_only
        .address_space:  global
        .offset:         96
        .size:           8
        .value_kind:     global_buffer
      - .actual_access:  read_only
        .address_space:  global
        .offset:         104
        .size:           8
        .value_kind:     global_buffer
      - .actual_access:  read_only
        .address_space:  global
        .offset:         112
        .size:           8
        .value_kind:     global_buffer
      - .actual_access:  write_only
        .address_space:  global
        .offset:         120
        .size:           8
        .value_kind:     global_buffer
      - .actual_access:  write_only
        .address_space:  global
        .offset:         128
        .size:           8
        .value_kind:     global_buffer
      - .offset:         136
        .size:           4
        .value_kind:     by_value
      - .offset:         140
        .size:           4
        .value_kind:     by_value
      - .offset:         144
        .size:           4
        .value_kind:     by_value
      - .offset:         148
        .size:           4
        .value_kind:     by_value
      - .offset:         152
        .size:           1
        .value_kind:     by_value
      - .offset:         153
        .size:           1
        .value_kind:     by_value
      - .offset:         154
        .size:           1
        .value_kind:     by_value
    .group_segment_fixed_size: 0
    .kernarg_segment_align: 8
    .kernarg_segment_size: 156
    .language:       OpenCL C
    .language_version:
      - 2
      - 0
    .max_flat_workgroup_size: 1024
    .name:           _ZN9rocsparseL26csrgemm_fill_block_per_rowILj1024ELj64ELj4096ELj137ELj32Eli21rocsparse_complex_numIfEEEvT5_PKS3_S5_NS_24const_host_device_scalarIT6_EEPKT4_S5_PKS7_SB_S5_SD_S8_SB_S5_SD_SB_PS3_PS7_21rocsparse_index_base_SG_SG_SG_bbb
    .private_segment_fixed_size: 0
    .sgpr_count:     52
    .sgpr_spill_count: 0
    .symbol:         _ZN9rocsparseL26csrgemm_fill_block_per_rowILj1024ELj64ELj4096ELj137ELj32Eli21rocsparse_complex_numIfEEEvT5_PKS3_S5_NS_24const_host_device_scalarIT6_EEPKT4_S5_PKS7_SB_S5_SD_S8_SB_S5_SD_SB_PS3_PS7_21rocsparse_index_base_SG_SG_SG_bbb.kd
    .uniform_work_group_size: 1
    .uses_dynamic_stack: false
    .vgpr_count:     20
    .vgpr_spill_count: 0
    .wavefront_size: 32
    .workgroup_processor_mode: 1
  - .args:
      - .offset:         0
        .size:           4
        .value_kind:     by_value
      - .actual_access:  read_only
        .address_space:  global
        .offset:         8
        .size:           8
        .value_kind:     global_buffer
      - .actual_access:  read_only
        .address_space:  global
        .offset:         16
        .size:           8
        .value_kind:     global_buffer
      - .offset:         24
        .size:           8
        .value_kind:     by_value
      - .actual_access:  read_only
        .address_space:  global
        .offset:         32
        .size:           8
        .value_kind:     global_buffer
      - .actual_access:  read_only
        .address_space:  global
        .offset:         40
        .size:           8
        .value_kind:     global_buffer
      - .actual_access:  read_only
        .address_space:  global
        .offset:         48
        .size:           8
        .value_kind:     global_buffer
      - .actual_access:  read_only
        .address_space:  global
        .offset:         56
        .size:           8
        .value_kind:     global_buffer
      - .actual_access:  read_only
        .address_space:  global
        .offset:         64
        .size:           8
        .value_kind:     global_buffer
      - .actual_access:  read_only
        .address_space:  global
        .offset:         72
        .size:           8
        .value_kind:     global_buffer
      - .offset:         80
        .size:           8
        .value_kind:     by_value
      - .actual_access:  read_only
        .address_space:  global
        .offset:         88
        .size:           8
        .value_kind:     global_buffer
      - .actual_access:  read_only
        .address_space:  global
        .offset:         96
        .size:           8
        .value_kind:     global_buffer
      - .actual_access:  read_only
        .address_space:  global
        .offset:         104
        .size:           8
        .value_kind:     global_buffer
      - .actual_access:  read_only
        .address_space:  global
        .offset:         112
        .size:           8
        .value_kind:     global_buffer
      - .actual_access:  write_only
        .address_space:  global
        .offset:         120
        .size:           8
        .value_kind:     global_buffer
      - .actual_access:  write_only
        .address_space:  global
        .offset:         128
        .size:           8
        .value_kind:     global_buffer
      - .offset:         136
        .size:           4
        .value_kind:     by_value
      - .offset:         140
        .size:           4
        .value_kind:     by_value
      - .offset:         144
        .size:           4
        .value_kind:     by_value
      - .offset:         148
        .size:           4
        .value_kind:     by_value
      - .offset:         152
        .size:           1
        .value_kind:     by_value
      - .offset:         153
        .size:           1
        .value_kind:     by_value
      - .offset:         154
        .size:           1
        .value_kind:     by_value
    .group_segment_fixed_size: 0
    .kernarg_segment_align: 8
    .kernarg_segment_size: 156
    .language:       OpenCL C
    .language_version:
      - 2
      - 0
    .max_flat_workgroup_size: 1024
    .name:           _ZN9rocsparseL26csrgemm_fill_block_per_rowILj1024ELj64ELj4096ELj137ELj64Eli21rocsparse_complex_numIfEEEvT5_PKS3_S5_NS_24const_host_device_scalarIT6_EEPKT4_S5_PKS7_SB_S5_SD_S8_SB_S5_SD_SB_PS3_PS7_21rocsparse_index_base_SG_SG_SG_bbb
    .private_segment_fixed_size: 0
    .sgpr_count:     50
    .sgpr_spill_count: 0
    .symbol:         _ZN9rocsparseL26csrgemm_fill_block_per_rowILj1024ELj64ELj4096ELj137ELj64Eli21rocsparse_complex_numIfEEEvT5_PKS3_S5_NS_24const_host_device_scalarIT6_EEPKT4_S5_PKS7_SB_S5_SD_S8_SB_S5_SD_SB_PS3_PS7_21rocsparse_index_base_SG_SG_SG_bbb.kd
    .uniform_work_group_size: 1
    .uses_dynamic_stack: false
    .vgpr_count:     21
    .vgpr_spill_count: 0
    .wavefront_size: 32
    .workgroup_processor_mode: 1
  - .args:
      - .offset:         0
        .size:           4
        .value_kind:     by_value
      - .actual_access:  read_only
        .address_space:  global
        .offset:         8
        .size:           8
        .value_kind:     global_buffer
      - .actual_access:  read_only
        .address_space:  global
        .offset:         16
        .size:           8
        .value_kind:     global_buffer
      - .offset:         24
        .size:           8
        .value_kind:     by_value
      - .actual_access:  read_only
        .address_space:  global
        .offset:         32
        .size:           8
        .value_kind:     global_buffer
      - .actual_access:  read_only
        .address_space:  global
        .offset:         40
        .size:           8
        .value_kind:     global_buffer
      - .actual_access:  read_only
        .address_space:  global
        .offset:         48
        .size:           8
        .value_kind:     global_buffer
      - .actual_access:  read_only
        .address_space:  global
        .offset:         56
        .size:           8
        .value_kind:     global_buffer
      - .actual_access:  read_only
        .address_space:  global
        .offset:         64
        .size:           8
        .value_kind:     global_buffer
      - .actual_access:  read_only
        .address_space:  global
        .offset:         72
        .size:           8
        .value_kind:     global_buffer
      - .offset:         80
        .size:           8
        .value_kind:     by_value
      - .actual_access:  read_only
        .address_space:  global
        .offset:         88
        .size:           8
        .value_kind:     global_buffer
      - .actual_access:  read_only
        .address_space:  global
        .offset:         96
        .size:           8
        .value_kind:     global_buffer
      - .actual_access:  read_only
        .address_space:  global
        .offset:         104
        .size:           8
        .value_kind:     global_buffer
      - .actual_access:  read_only
        .address_space:  global
        .offset:         112
        .size:           8
        .value_kind:     global_buffer
      - .actual_access:  write_only
        .address_space:  global
        .offset:         120
        .size:           8
        .value_kind:     global_buffer
      - .actual_access:  write_only
        .address_space:  global
        .offset:         128
        .size:           8
        .value_kind:     global_buffer
      - .offset:         136
        .size:           4
        .value_kind:     by_value
      - .offset:         140
        .size:           4
        .value_kind:     by_value
      - .offset:         144
        .size:           4
        .value_kind:     by_value
      - .offset:         148
        .size:           4
        .value_kind:     by_value
      - .offset:         152
        .size:           1
        .value_kind:     by_value
      - .offset:         153
        .size:           1
        .value_kind:     by_value
      - .offset:         154
        .size:           1
        .value_kind:     by_value
    .group_segment_fixed_size: 0
    .kernarg_segment_align: 8
    .kernarg_segment_size: 156
    .language:       OpenCL C
    .language_version:
      - 2
      - 0
    .max_flat_workgroup_size: 1024
    .name:           _ZN9rocsparseL26csrgemm_fill_block_per_rowILj1024ELj64ELj8192ELj137ELj32Eli21rocsparse_complex_numIfEEEvT5_PKS3_S5_NS_24const_host_device_scalarIT6_EEPKT4_S5_PKS7_SB_S5_SD_S8_SB_S5_SD_SB_PS3_PS7_21rocsparse_index_base_SG_SG_SG_bbb
    .private_segment_fixed_size: 0
    .sgpr_count:     78
    .sgpr_spill_count: 0
    .symbol:         _ZN9rocsparseL26csrgemm_fill_block_per_rowILj1024ELj64ELj8192ELj137ELj32Eli21rocsparse_complex_numIfEEEvT5_PKS3_S5_NS_24const_host_device_scalarIT6_EEPKT4_S5_PKS7_SB_S5_SD_S8_SB_S5_SD_SB_PS3_PS7_21rocsparse_index_base_SG_SG_SG_bbb.kd
    .uniform_work_group_size: 1
    .uses_dynamic_stack: false
    .vgpr_count:     19
    .vgpr_spill_count: 0
    .wavefront_size: 32
    .workgroup_processor_mode: 1
  - .args:
      - .offset:         0
        .size:           4
        .value_kind:     by_value
      - .actual_access:  read_only
        .address_space:  global
        .offset:         8
        .size:           8
        .value_kind:     global_buffer
      - .actual_access:  read_only
        .address_space:  global
        .offset:         16
        .size:           8
        .value_kind:     global_buffer
      - .offset:         24
        .size:           8
        .value_kind:     by_value
      - .actual_access:  read_only
        .address_space:  global
        .offset:         32
        .size:           8
        .value_kind:     global_buffer
      - .actual_access:  read_only
        .address_space:  global
        .offset:         40
        .size:           8
        .value_kind:     global_buffer
      - .actual_access:  read_only
        .address_space:  global
        .offset:         48
        .size:           8
        .value_kind:     global_buffer
      - .actual_access:  read_only
        .address_space:  global
        .offset:         56
        .size:           8
        .value_kind:     global_buffer
      - .actual_access:  read_only
        .address_space:  global
        .offset:         64
        .size:           8
        .value_kind:     global_buffer
      - .actual_access:  read_only
        .address_space:  global
        .offset:         72
        .size:           8
        .value_kind:     global_buffer
      - .offset:         80
        .size:           8
        .value_kind:     by_value
      - .actual_access:  read_only
        .address_space:  global
        .offset:         88
        .size:           8
        .value_kind:     global_buffer
      - .actual_access:  read_only
        .address_space:  global
        .offset:         96
        .size:           8
        .value_kind:     global_buffer
      - .actual_access:  read_only
        .address_space:  global
        .offset:         104
        .size:           8
        .value_kind:     global_buffer
      - .actual_access:  read_only
        .address_space:  global
        .offset:         112
        .size:           8
        .value_kind:     global_buffer
      - .actual_access:  write_only
        .address_space:  global
        .offset:         120
        .size:           8
        .value_kind:     global_buffer
      - .actual_access:  write_only
        .address_space:  global
        .offset:         128
        .size:           8
        .value_kind:     global_buffer
      - .offset:         136
        .size:           4
        .value_kind:     by_value
      - .offset:         140
        .size:           4
        .value_kind:     by_value
      - .offset:         144
        .size:           4
        .value_kind:     by_value
      - .offset:         148
        .size:           4
        .value_kind:     by_value
      - .offset:         152
        .size:           1
        .value_kind:     by_value
      - .offset:         153
        .size:           1
        .value_kind:     by_value
      - .offset:         154
        .size:           1
        .value_kind:     by_value
    .group_segment_fixed_size: 0
    .kernarg_segment_align: 8
    .kernarg_segment_size: 156
    .language:       OpenCL C
    .language_version:
      - 2
      - 0
    .max_flat_workgroup_size: 1024
    .name:           _ZN9rocsparseL26csrgemm_fill_block_per_rowILj1024ELj64ELj8192ELj137ELj64Eli21rocsparse_complex_numIfEEEvT5_PKS3_S5_NS_24const_host_device_scalarIT6_EEPKT4_S5_PKS7_SB_S5_SD_S8_SB_S5_SD_SB_PS3_PS7_21rocsparse_index_base_SG_SG_SG_bbb
    .private_segment_fixed_size: 0
    .sgpr_count:     50
    .sgpr_spill_count: 0
    .symbol:         _ZN9rocsparseL26csrgemm_fill_block_per_rowILj1024ELj64ELj8192ELj137ELj64Eli21rocsparse_complex_numIfEEEvT5_PKS3_S5_NS_24const_host_device_scalarIT6_EEPKT4_S5_PKS7_SB_S5_SD_S8_SB_S5_SD_SB_PS3_PS7_21rocsparse_index_base_SG_SG_SG_bbb.kd
    .uniform_work_group_size: 1
    .uses_dynamic_stack: false
    .vgpr_count:     20
    .vgpr_spill_count: 0
    .wavefront_size: 32
    .workgroup_processor_mode: 1
  - .args:
      - .offset:         0
        .size:           4
        .value_kind:     by_value
      - .actual_access:  read_only
        .address_space:  global
        .offset:         8
        .size:           8
        .value_kind:     global_buffer
      - .actual_access:  read_only
        .address_space:  global
        .offset:         16
        .size:           8
        .value_kind:     global_buffer
      - .offset:         24
        .size:           8
        .value_kind:     by_value
      - .actual_access:  read_only
        .address_space:  global
        .offset:         32
        .size:           8
        .value_kind:     global_buffer
      - .actual_access:  read_only
        .address_space:  global
        .offset:         40
        .size:           8
        .value_kind:     global_buffer
      - .actual_access:  read_only
        .address_space:  global
        .offset:         48
        .size:           8
        .value_kind:     global_buffer
      - .actual_access:  read_only
        .address_space:  global
        .offset:         56
        .size:           8
        .value_kind:     global_buffer
      - .actual_access:  read_only
        .address_space:  global
        .offset:         64
        .size:           8
        .value_kind:     global_buffer
      - .actual_access:  read_only
        .address_space:  global
        .offset:         72
        .size:           8
        .value_kind:     global_buffer
      - .offset:         80
        .size:           8
        .value_kind:     by_value
      - .actual_access:  read_only
        .address_space:  global
        .offset:         88
        .size:           8
        .value_kind:     global_buffer
      - .actual_access:  read_only
        .address_space:  global
        .offset:         96
        .size:           8
        .value_kind:     global_buffer
      - .actual_access:  read_only
        .address_space:  global
        .offset:         104
        .size:           8
        .value_kind:     global_buffer
      - .actual_access:  read_only
        .address_space:  global
        .offset:         112
        .size:           8
        .value_kind:     global_buffer
      - .actual_access:  write_only
        .address_space:  global
        .offset:         120
        .size:           8
        .value_kind:     global_buffer
      - .actual_access:  write_only
        .address_space:  global
        .offset:         128
        .size:           8
        .value_kind:     global_buffer
      - .offset:         136
        .size:           4
        .value_kind:     by_value
      - .offset:         140
        .size:           4
        .value_kind:     by_value
      - .offset:         144
        .size:           4
        .value_kind:     by_value
      - .offset:         148
        .size:           4
        .value_kind:     by_value
      - .offset:         152
        .size:           1
        .value_kind:     by_value
      - .offset:         153
        .size:           1
        .value_kind:     by_value
      - .offset:         154
        .size:           1
        .value_kind:     by_value
    .group_segment_fixed_size: 0
    .kernarg_segment_align: 8
    .kernarg_segment_size: 156
    .language:       OpenCL C
    .language_version:
      - 2
      - 0
    .max_flat_workgroup_size: 1024
    .name:           _ZN9rocsparseL26csrgemm_fill_block_per_rowILj1024ELj64ELj16384ELj137ELj32Eli21rocsparse_complex_numIfEEEvT5_PKS3_S5_NS_24const_host_device_scalarIT6_EEPKT4_S5_PKS7_SB_S5_SD_S8_SB_S5_SD_SB_PS3_PS7_21rocsparse_index_base_SG_SG_SG_bbb
    .private_segment_fixed_size: 0
    .sgpr_count:     78
    .sgpr_spill_count: 0
    .symbol:         _ZN9rocsparseL26csrgemm_fill_block_per_rowILj1024ELj64ELj16384ELj137ELj32Eli21rocsparse_complex_numIfEEEvT5_PKS3_S5_NS_24const_host_device_scalarIT6_EEPKT4_S5_PKS7_SB_S5_SD_S8_SB_S5_SD_SB_PS3_PS7_21rocsparse_index_base_SG_SG_SG_bbb.kd
    .uniform_work_group_size: 1
    .uses_dynamic_stack: false
    .vgpr_count:     20
    .vgpr_spill_count: 0
    .wavefront_size: 32
    .workgroup_processor_mode: 1
  - .args:
      - .offset:         0
        .size:           4
        .value_kind:     by_value
      - .actual_access:  read_only
        .address_space:  global
        .offset:         8
        .size:           8
        .value_kind:     global_buffer
      - .actual_access:  read_only
        .address_space:  global
        .offset:         16
        .size:           8
        .value_kind:     global_buffer
      - .offset:         24
        .size:           8
        .value_kind:     by_value
      - .actual_access:  read_only
        .address_space:  global
        .offset:         32
        .size:           8
        .value_kind:     global_buffer
      - .actual_access:  read_only
        .address_space:  global
        .offset:         40
        .size:           8
        .value_kind:     global_buffer
      - .actual_access:  read_only
        .address_space:  global
        .offset:         48
        .size:           8
        .value_kind:     global_buffer
      - .actual_access:  read_only
        .address_space:  global
        .offset:         56
        .size:           8
        .value_kind:     global_buffer
      - .actual_access:  read_only
        .address_space:  global
        .offset:         64
        .size:           8
        .value_kind:     global_buffer
      - .actual_access:  read_only
        .address_space:  global
        .offset:         72
        .size:           8
        .value_kind:     global_buffer
      - .offset:         80
        .size:           8
        .value_kind:     by_value
      - .actual_access:  read_only
        .address_space:  global
        .offset:         88
        .size:           8
        .value_kind:     global_buffer
      - .actual_access:  read_only
        .address_space:  global
        .offset:         96
        .size:           8
        .value_kind:     global_buffer
      - .actual_access:  read_only
        .address_space:  global
        .offset:         104
        .size:           8
        .value_kind:     global_buffer
      - .actual_access:  read_only
        .address_space:  global
        .offset:         112
        .size:           8
        .value_kind:     global_buffer
      - .actual_access:  write_only
        .address_space:  global
        .offset:         120
        .size:           8
        .value_kind:     global_buffer
      - .actual_access:  write_only
        .address_space:  global
        .offset:         128
        .size:           8
        .value_kind:     global_buffer
      - .offset:         136
        .size:           4
        .value_kind:     by_value
      - .offset:         140
        .size:           4
        .value_kind:     by_value
      - .offset:         144
        .size:           4
        .value_kind:     by_value
      - .offset:         148
        .size:           4
        .value_kind:     by_value
      - .offset:         152
        .size:           1
        .value_kind:     by_value
      - .offset:         153
        .size:           1
        .value_kind:     by_value
      - .offset:         154
        .size:           1
        .value_kind:     by_value
    .group_segment_fixed_size: 0
    .kernarg_segment_align: 8
    .kernarg_segment_size: 156
    .language:       OpenCL C
    .language_version:
      - 2
      - 0
    .max_flat_workgroup_size: 1024
    .name:           _ZN9rocsparseL26csrgemm_fill_block_per_rowILj1024ELj64ELj16384ELj137ELj64Eli21rocsparse_complex_numIfEEEvT5_PKS3_S5_NS_24const_host_device_scalarIT6_EEPKT4_S5_PKS7_SB_S5_SD_S8_SB_S5_SD_SB_PS3_PS7_21rocsparse_index_base_SG_SG_SG_bbb
    .private_segment_fixed_size: 0
    .sgpr_count:     50
    .sgpr_spill_count: 0
    .symbol:         _ZN9rocsparseL26csrgemm_fill_block_per_rowILj1024ELj64ELj16384ELj137ELj64Eli21rocsparse_complex_numIfEEEvT5_PKS3_S5_NS_24const_host_device_scalarIT6_EEPKT4_S5_PKS7_SB_S5_SD_S8_SB_S5_SD_SB_PS3_PS7_21rocsparse_index_base_SG_SG_SG_bbb.kd
    .uniform_work_group_size: 1
    .uses_dynamic_stack: false
    .vgpr_count:     21
    .vgpr_spill_count: 0
    .wavefront_size: 32
    .workgroup_processor_mode: 1
  - .args:
      - .offset:         0
        .size:           4
        .value_kind:     by_value
      - .actual_access:  read_only
        .address_space:  global
        .offset:         8
        .size:           8
        .value_kind:     global_buffer
      - .actual_access:  read_only
        .address_space:  global
        .offset:         16
        .size:           8
        .value_kind:     global_buffer
      - .offset:         24
        .size:           8
        .value_kind:     by_value
      - .actual_access:  read_only
        .address_space:  global
        .offset:         32
        .size:           8
        .value_kind:     global_buffer
      - .actual_access:  read_only
        .address_space:  global
        .offset:         40
        .size:           8
        .value_kind:     global_buffer
      - .actual_access:  read_only
        .address_space:  global
        .offset:         48
        .size:           8
        .value_kind:     global_buffer
      - .actual_access:  read_only
        .address_space:  global
        .offset:         56
        .size:           8
        .value_kind:     global_buffer
      - .actual_access:  read_only
        .address_space:  global
        .offset:         64
        .size:           8
        .value_kind:     global_buffer
      - .actual_access:  read_only
        .address_space:  global
        .offset:         72
        .size:           8
        .value_kind:     global_buffer
      - .offset:         80
        .size:           8
        .value_kind:     by_value
      - .actual_access:  read_only
        .address_space:  global
        .offset:         88
        .size:           8
        .value_kind:     global_buffer
      - .actual_access:  read_only
        .address_space:  global
        .offset:         96
        .size:           8
        .value_kind:     global_buffer
      - .actual_access:  read_only
        .address_space:  global
        .offset:         104
        .size:           8
        .value_kind:     global_buffer
      - .actual_access:  read_only
        .address_space:  global
        .offset:         112
        .size:           8
        .value_kind:     global_buffer
      - .actual_access:  write_only
        .address_space:  global
        .offset:         120
        .size:           8
        .value_kind:     global_buffer
      - .actual_access:  write_only
        .address_space:  global
        .offset:         128
        .size:           8
        .value_kind:     global_buffer
      - .offset:         136
        .size:           4
        .value_kind:     by_value
      - .offset:         140
        .size:           4
        .value_kind:     by_value
      - .offset:         144
        .size:           4
        .value_kind:     by_value
      - .offset:         148
        .size:           4
        .value_kind:     by_value
      - .offset:         152
        .size:           1
        .value_kind:     by_value
      - .offset:         153
        .size:           1
        .value_kind:     by_value
      - .offset:         154
        .size:           1
        .value_kind:     by_value
    .group_segment_fixed_size: 0
    .kernarg_segment_align: 8
    .kernarg_segment_size: 156
    .language:       OpenCL C
    .language_version:
      - 2
      - 0
    .max_flat_workgroup_size: 1024
    .name:           _ZN9rocsparseL26csrgemm_fill_block_per_rowILj1024ELj64ELj32768ELj137ELj32Eli21rocsparse_complex_numIfEEEvT5_PKS3_S5_NS_24const_host_device_scalarIT6_EEPKT4_S5_PKS7_SB_S5_SD_S8_SB_S5_SD_SB_PS3_PS7_21rocsparse_index_base_SG_SG_SG_bbb
    .private_segment_fixed_size: 0
    .sgpr_count:     78
    .sgpr_spill_count: 0
    .symbol:         _ZN9rocsparseL26csrgemm_fill_block_per_rowILj1024ELj64ELj32768ELj137ELj32Eli21rocsparse_complex_numIfEEEvT5_PKS3_S5_NS_24const_host_device_scalarIT6_EEPKT4_S5_PKS7_SB_S5_SD_S8_SB_S5_SD_SB_PS3_PS7_21rocsparse_index_base_SG_SG_SG_bbb.kd
    .uniform_work_group_size: 1
    .uses_dynamic_stack: false
    .vgpr_count:     20
    .vgpr_spill_count: 0
    .wavefront_size: 32
    .workgroup_processor_mode: 1
  - .args:
      - .offset:         0
        .size:           4
        .value_kind:     by_value
      - .actual_access:  read_only
        .address_space:  global
        .offset:         8
        .size:           8
        .value_kind:     global_buffer
      - .actual_access:  read_only
        .address_space:  global
        .offset:         16
        .size:           8
        .value_kind:     global_buffer
      - .offset:         24
        .size:           8
        .value_kind:     by_value
      - .actual_access:  read_only
        .address_space:  global
        .offset:         32
        .size:           8
        .value_kind:     global_buffer
      - .actual_access:  read_only
        .address_space:  global
        .offset:         40
        .size:           8
        .value_kind:     global_buffer
      - .actual_access:  read_only
        .address_space:  global
        .offset:         48
        .size:           8
        .value_kind:     global_buffer
      - .actual_access:  read_only
        .address_space:  global
        .offset:         56
        .size:           8
        .value_kind:     global_buffer
      - .actual_access:  read_only
        .address_space:  global
        .offset:         64
        .size:           8
        .value_kind:     global_buffer
      - .actual_access:  read_only
        .address_space:  global
        .offset:         72
        .size:           8
        .value_kind:     global_buffer
      - .offset:         80
        .size:           8
        .value_kind:     by_value
      - .actual_access:  read_only
        .address_space:  global
        .offset:         88
        .size:           8
        .value_kind:     global_buffer
      - .actual_access:  read_only
        .address_space:  global
        .offset:         96
        .size:           8
        .value_kind:     global_buffer
      - .actual_access:  read_only
        .address_space:  global
        .offset:         104
        .size:           8
        .value_kind:     global_buffer
      - .actual_access:  read_only
        .address_space:  global
        .offset:         112
        .size:           8
        .value_kind:     global_buffer
      - .actual_access:  write_only
        .address_space:  global
        .offset:         120
        .size:           8
        .value_kind:     global_buffer
      - .actual_access:  write_only
        .address_space:  global
        .offset:         128
        .size:           8
        .value_kind:     global_buffer
      - .offset:         136
        .size:           4
        .value_kind:     by_value
      - .offset:         140
        .size:           4
        .value_kind:     by_value
      - .offset:         144
        .size:           4
        .value_kind:     by_value
      - .offset:         148
        .size:           4
        .value_kind:     by_value
      - .offset:         152
        .size:           1
        .value_kind:     by_value
      - .offset:         153
        .size:           1
        .value_kind:     by_value
      - .offset:         154
        .size:           1
        .value_kind:     by_value
    .group_segment_fixed_size: 0
    .kernarg_segment_align: 8
    .kernarg_segment_size: 156
    .language:       OpenCL C
    .language_version:
      - 2
      - 0
    .max_flat_workgroup_size: 1024
    .name:           _ZN9rocsparseL26csrgemm_fill_block_per_rowILj1024ELj64ELj32768ELj137ELj64Eli21rocsparse_complex_numIfEEEvT5_PKS3_S5_NS_24const_host_device_scalarIT6_EEPKT4_S5_PKS7_SB_S5_SD_S8_SB_S5_SD_SB_PS3_PS7_21rocsparse_index_base_SG_SG_SG_bbb
    .private_segment_fixed_size: 0
    .sgpr_count:     50
    .sgpr_spill_count: 0
    .symbol:         _ZN9rocsparseL26csrgemm_fill_block_per_rowILj1024ELj64ELj32768ELj137ELj64Eli21rocsparse_complex_numIfEEEvT5_PKS3_S5_NS_24const_host_device_scalarIT6_EEPKT4_S5_PKS7_SB_S5_SD_S8_SB_S5_SD_SB_PS3_PS7_21rocsparse_index_base_SG_SG_SG_bbb.kd
    .uniform_work_group_size: 1
    .uses_dynamic_stack: false
    .vgpr_count:     21
    .vgpr_spill_count: 0
    .wavefront_size: 32
    .workgroup_processor_mode: 1
  - .args:
      - .offset:         0
        .size:           4
        .value_kind:     by_value
      - .actual_access:  read_only
        .address_space:  global
        .offset:         8
        .size:           8
        .value_kind:     global_buffer
      - .actual_access:  read_only
        .address_space:  global
        .offset:         16
        .size:           8
        .value_kind:     global_buffer
      - .offset:         24
        .size:           8
        .value_kind:     by_value
      - .actual_access:  read_only
        .address_space:  global
        .offset:         32
        .size:           8
        .value_kind:     global_buffer
      - .actual_access:  read_only
        .address_space:  global
        .offset:         40
        .size:           8
        .value_kind:     global_buffer
      - .actual_access:  read_only
        .address_space:  global
        .offset:         48
        .size:           8
        .value_kind:     global_buffer
      - .actual_access:  read_only
        .address_space:  global
        .offset:         56
        .size:           8
        .value_kind:     global_buffer
      - .actual_access:  read_only
        .address_space:  global
        .offset:         64
        .size:           8
        .value_kind:     global_buffer
      - .actual_access:  read_only
        .address_space:  global
        .offset:         72
        .size:           8
        .value_kind:     global_buffer
      - .offset:         80
        .size:           8
        .value_kind:     by_value
      - .actual_access:  read_only
        .address_space:  global
        .offset:         88
        .size:           8
        .value_kind:     global_buffer
      - .actual_access:  read_only
        .address_space:  global
        .offset:         96
        .size:           8
        .value_kind:     global_buffer
      - .actual_access:  read_only
        .address_space:  global
        .offset:         104
        .size:           8
        .value_kind:     global_buffer
      - .actual_access:  read_only
        .address_space:  global
        .offset:         112
        .size:           8
        .value_kind:     global_buffer
      - .actual_access:  write_only
        .address_space:  global
        .offset:         120
        .size:           8
        .value_kind:     global_buffer
      - .actual_access:  write_only
        .address_space:  global
        .offset:         128
        .size:           8
        .value_kind:     global_buffer
      - .address_space:  global
        .offset:         136
        .size:           8
        .value_kind:     global_buffer
      - .offset:         144
        .size:           4
        .value_kind:     by_value
      - .offset:         148
        .size:           4
        .value_kind:     by_value
      - .offset:         152
        .size:           4
        .value_kind:     by_value
      - .offset:         156
        .size:           4
        .value_kind:     by_value
      - .offset:         160
        .size:           1
        .value_kind:     by_value
      - .offset:         161
        .size:           1
        .value_kind:     by_value
      - .offset:         162
        .size:           1
        .value_kind:     by_value
    .group_segment_fixed_size: 18436
    .kernarg_segment_align: 8
    .kernarg_segment_size: 164
    .language:       OpenCL C
    .language_version:
      - 2
      - 0
    .max_flat_workgroup_size: 512
    .name:           _ZN9rocsparseL36csrgemm_fill_block_per_row_multipassILj512ELj16ELj2048ELj32Eli21rocsparse_complex_numIfEEEvT4_PKS3_S5_NS_24const_host_device_scalarIT5_EEPKT3_S5_PKS7_SB_S5_SD_S8_SB_S5_SD_SB_PS3_PS7_PS9_21rocsparse_index_base_SH_SH_SH_bbb
    .private_segment_fixed_size: 0
    .sgpr_count:     71
    .sgpr_spill_count: 0
    .symbol:         _ZN9rocsparseL36csrgemm_fill_block_per_row_multipassILj512ELj16ELj2048ELj32Eli21rocsparse_complex_numIfEEEvT4_PKS3_S5_NS_24const_host_device_scalarIT5_EEPKT3_S5_PKS7_SB_S5_SD_S8_SB_S5_SD_SB_PS3_PS7_PS9_21rocsparse_index_base_SH_SH_SH_bbb.kd
    .uniform_work_group_size: 1
    .uses_dynamic_stack: false
    .vgpr_count:     44
    .vgpr_spill_count: 0
    .wavefront_size: 32
    .workgroup_processor_mode: 1
  - .args:
      - .offset:         0
        .size:           4
        .value_kind:     by_value
      - .actual_access:  read_only
        .address_space:  global
        .offset:         8
        .size:           8
        .value_kind:     global_buffer
      - .actual_access:  read_only
        .address_space:  global
        .offset:         16
        .size:           8
        .value_kind:     global_buffer
      - .offset:         24
        .size:           8
        .value_kind:     by_value
      - .actual_access:  read_only
        .address_space:  global
        .offset:         32
        .size:           8
        .value_kind:     global_buffer
      - .actual_access:  read_only
        .address_space:  global
        .offset:         40
        .size:           8
        .value_kind:     global_buffer
      - .actual_access:  read_only
        .address_space:  global
        .offset:         48
        .size:           8
        .value_kind:     global_buffer
      - .actual_access:  read_only
        .address_space:  global
        .offset:         56
        .size:           8
        .value_kind:     global_buffer
      - .actual_access:  read_only
        .address_space:  global
        .offset:         64
        .size:           8
        .value_kind:     global_buffer
      - .actual_access:  read_only
        .address_space:  global
        .offset:         72
        .size:           8
        .value_kind:     global_buffer
      - .offset:         80
        .size:           8
        .value_kind:     by_value
      - .actual_access:  read_only
        .address_space:  global
        .offset:         88
        .size:           8
        .value_kind:     global_buffer
      - .actual_access:  read_only
        .address_space:  global
        .offset:         96
        .size:           8
        .value_kind:     global_buffer
      - .actual_access:  read_only
        .address_space:  global
        .offset:         104
        .size:           8
        .value_kind:     global_buffer
      - .actual_access:  read_only
        .address_space:  global
        .offset:         112
        .size:           8
        .value_kind:     global_buffer
      - .actual_access:  write_only
        .address_space:  global
        .offset:         120
        .size:           8
        .value_kind:     global_buffer
      - .actual_access:  write_only
        .address_space:  global
        .offset:         128
        .size:           8
        .value_kind:     global_buffer
      - .address_space:  global
        .offset:         136
        .size:           8
        .value_kind:     global_buffer
      - .offset:         144
        .size:           4
        .value_kind:     by_value
      - .offset:         148
        .size:           4
        .value_kind:     by_value
      - .offset:         152
        .size:           4
        .value_kind:     by_value
      - .offset:         156
        .size:           4
        .value_kind:     by_value
      - .offset:         160
        .size:           1
        .value_kind:     by_value
      - .offset:         161
        .size:           1
        .value_kind:     by_value
      - .offset:         162
        .size:           1
        .value_kind:     by_value
    .group_segment_fixed_size: 18436
    .kernarg_segment_align: 8
    .kernarg_segment_size: 164
    .language:       OpenCL C
    .language_version:
      - 2
      - 0
    .max_flat_workgroup_size: 512
    .name:           _ZN9rocsparseL36csrgemm_fill_block_per_row_multipassILj512ELj16ELj2048ELj64Eli21rocsparse_complex_numIfEEEvT4_PKS3_S5_NS_24const_host_device_scalarIT5_EEPKT3_S5_PKS7_SB_S5_SD_S8_SB_S5_SD_SB_PS3_PS7_PS9_21rocsparse_index_base_SH_SH_SH_bbb
    .private_segment_fixed_size: 0
    .sgpr_count:     63
    .sgpr_spill_count: 0
    .symbol:         _ZN9rocsparseL36csrgemm_fill_block_per_row_multipassILj512ELj16ELj2048ELj64Eli21rocsparse_complex_numIfEEEvT4_PKS3_S5_NS_24const_host_device_scalarIT5_EEPKT3_S5_PKS7_SB_S5_SD_S8_SB_S5_SD_SB_PS3_PS7_PS9_21rocsparse_index_base_SH_SH_SH_bbb.kd
    .uniform_work_group_size: 1
    .uses_dynamic_stack: false
    .vgpr_count:     44
    .vgpr_spill_count: 0
    .wavefront_size: 32
    .workgroup_processor_mode: 1
  - .args:
      - .offset:         0
        .size:           4
        .value_kind:     by_value
      - .actual_access:  read_only
        .address_space:  global
        .offset:         8
        .size:           8
        .value_kind:     global_buffer
      - .actual_access:  write_only
        .address_space:  global
        .offset:         16
        .size:           8
        .value_kind:     global_buffer
      - .actual_access:  write_only
        .address_space:  global
        .offset:         24
        .size:           8
        .value_kind:     global_buffer
      - .offset:         32
        .size:           4
        .value_kind:     by_value
      - .offset:         40
        .size:           4
        .value_kind:     hidden_block_count_x
      - .offset:         44
        .size:           4
        .value_kind:     hidden_block_count_y
      - .offset:         48
        .size:           4
        .value_kind:     hidden_block_count_z
      - .offset:         52
        .size:           2
        .value_kind:     hidden_group_size_x
      - .offset:         54
        .size:           2
        .value_kind:     hidden_group_size_y
      - .offset:         56
        .size:           2
        .value_kind:     hidden_group_size_z
      - .offset:         58
        .size:           2
        .value_kind:     hidden_remainder_x
      - .offset:         60
        .size:           2
        .value_kind:     hidden_remainder_y
      - .offset:         62
        .size:           2
        .value_kind:     hidden_remainder_z
      - .offset:         80
        .size:           8
        .value_kind:     hidden_global_offset_x
      - .offset:         88
        .size:           8
        .value_kind:     hidden_global_offset_y
      - .offset:         96
        .size:           8
        .value_kind:     hidden_global_offset_z
      - .offset:         104
        .size:           2
        .value_kind:     hidden_grid_dims
    .group_segment_fixed_size: 11264
    .kernarg_segment_align: 8
    .kernarg_segment_size: 296
    .language:       OpenCL C
    .language_version:
      - 2
      - 0
    .max_flat_workgroup_size: 256
    .name:           _ZN9rocsparseL26csrgemm_group_reduce_part2ILj256ELj11E21rocsparse_complex_numIdEliEEvT3_PKT2_PS3_Pij
    .private_segment_fixed_size: 0
    .sgpr_count:     28
    .sgpr_spill_count: 0
    .symbol:         _ZN9rocsparseL26csrgemm_group_reduce_part2ILj256ELj11E21rocsparse_complex_numIdEliEEvT3_PKT2_PS3_Pij.kd
    .uniform_work_group_size: 1
    .uses_dynamic_stack: false
    .vgpr_count:     24
    .vgpr_spill_count: 0
    .wavefront_size: 32
    .workgroup_processor_mode: 1
  - .args:
      - .offset:         0
        .size:           4
        .value_kind:     by_value
      - .offset:         4
        .size:           4
        .value_kind:     by_value
      - .actual_access:  read_only
        .address_space:  global
        .offset:         8
        .size:           8
        .value_kind:     global_buffer
      - .actual_access:  read_only
        .address_space:  global
        .offset:         16
        .size:           8
        .value_kind:     global_buffer
      - .offset:         24
        .size:           16
        .value_kind:     by_value
      - .actual_access:  read_only
        .address_space:  global
        .offset:         40
        .size:           8
        .value_kind:     global_buffer
      - .actual_access:  read_only
        .address_space:  global
        .offset:         48
        .size:           8
        .value_kind:     global_buffer
      - .actual_access:  read_only
        .address_space:  global
        .offset:         56
        .size:           8
        .value_kind:     global_buffer
      - .actual_access:  read_only
        .address_space:  global
        .offset:         64
        .size:           8
        .value_kind:     global_buffer
      - .actual_access:  read_only
        .address_space:  global
        .offset:         72
        .size:           8
        .value_kind:     global_buffer
      - .actual_access:  read_only
        .address_space:  global
        .offset:         80
        .size:           8
        .value_kind:     global_buffer
      - .offset:         88
        .size:           16
        .value_kind:     by_value
      - .actual_access:  read_only
        .address_space:  global
        .offset:         104
        .size:           8
        .value_kind:     global_buffer
      - .actual_access:  read_only
        .address_space:  global
        .offset:         112
        .size:           8
        .value_kind:     global_buffer
      - .actual_access:  read_only
        .address_space:  global
        .offset:         120
        .size:           8
        .value_kind:     global_buffer
      - .actual_access:  read_only
        .address_space:  global
        .offset:         128
        .size:           8
        .value_kind:     global_buffer
      - .actual_access:  write_only
        .address_space:  global
        .offset:         136
        .size:           8
        .value_kind:     global_buffer
      - .actual_access:  write_only
        .address_space:  global
        .offset:         144
        .size:           8
        .value_kind:     global_buffer
      - .offset:         152
        .size:           4
        .value_kind:     by_value
      - .offset:         156
        .size:           4
        .value_kind:     by_value
      - .offset:         160
        .size:           4
        .value_kind:     by_value
      - .offset:         164
        .size:           4
        .value_kind:     by_value
      - .offset:         168
        .size:           1
        .value_kind:     by_value
      - .offset:         169
        .size:           1
        .value_kind:     by_value
      - .offset:         170
        .size:           1
        .value_kind:     by_value
    .group_segment_fixed_size: 14336
    .kernarg_segment_align: 8
    .kernarg_segment_size: 172
    .language:       OpenCL C
    .language_version:
      - 2
      - 0
    .max_flat_workgroup_size: 256
    .name:           _ZN9rocsparseL23csrgemm_fill_wf_per_rowILj256ELj8ELj16ELj137Eli21rocsparse_complex_numIdEEEvT4_S3_PKS3_S5_NS_24const_host_device_scalarIT5_EEPKT3_S5_PKS7_SB_S5_SD_S8_SB_S5_SD_SB_PS3_PS7_21rocsparse_index_base_SG_SG_SG_bbb
    .private_segment_fixed_size: 0
    .sgpr_count:     50
    .sgpr_spill_count: 0
    .symbol:         _ZN9rocsparseL23csrgemm_fill_wf_per_rowILj256ELj8ELj16ELj137Eli21rocsparse_complex_numIdEEEvT4_S3_PKS3_S5_NS_24const_host_device_scalarIT5_EEPKT3_S5_PKS7_SB_S5_SD_S8_SB_S5_SD_SB_PS3_PS7_21rocsparse_index_base_SG_SG_SG_bbb.kd
    .uniform_work_group_size: 1
    .uses_dynamic_stack: false
    .vgpr_count:     39
    .vgpr_spill_count: 0
    .wavefront_size: 32
    .workgroup_processor_mode: 1
  - .args:
      - .offset:         0
        .size:           4
        .value_kind:     by_value
      - .offset:         4
        .size:           4
        .value_kind:     by_value
      - .actual_access:  read_only
        .address_space:  global
        .offset:         8
        .size:           8
        .value_kind:     global_buffer
      - .actual_access:  read_only
        .address_space:  global
        .offset:         16
        .size:           8
        .value_kind:     global_buffer
      - .offset:         24
        .size:           16
        .value_kind:     by_value
      - .actual_access:  read_only
        .address_space:  global
        .offset:         40
        .size:           8
        .value_kind:     global_buffer
      - .actual_access:  read_only
        .address_space:  global
        .offset:         48
        .size:           8
        .value_kind:     global_buffer
      - .actual_access:  read_only
        .address_space:  global
        .offset:         56
        .size:           8
        .value_kind:     global_buffer
      - .actual_access:  read_only
        .address_space:  global
        .offset:         64
        .size:           8
        .value_kind:     global_buffer
      - .actual_access:  read_only
        .address_space:  global
        .offset:         72
        .size:           8
        .value_kind:     global_buffer
      - .actual_access:  read_only
        .address_space:  global
        .offset:         80
        .size:           8
        .value_kind:     global_buffer
      - .offset:         88
        .size:           16
        .value_kind:     by_value
      - .actual_access:  read_only
        .address_space:  global
        .offset:         104
        .size:           8
        .value_kind:     global_buffer
      - .actual_access:  read_only
        .address_space:  global
        .offset:         112
        .size:           8
        .value_kind:     global_buffer
      - .actual_access:  read_only
        .address_space:  global
        .offset:         120
        .size:           8
        .value_kind:     global_buffer
      - .actual_access:  read_only
        .address_space:  global
        .offset:         128
        .size:           8
        .value_kind:     global_buffer
      - .actual_access:  write_only
        .address_space:  global
        .offset:         136
        .size:           8
        .value_kind:     global_buffer
      - .actual_access:  write_only
        .address_space:  global
        .offset:         144
        .size:           8
        .value_kind:     global_buffer
      - .offset:         152
        .size:           4
        .value_kind:     by_value
      - .offset:         156
        .size:           4
        .value_kind:     by_value
      - .offset:         160
        .size:           4
        .value_kind:     by_value
      - .offset:         164
        .size:           4
        .value_kind:     by_value
      - .offset:         168
        .size:           1
        .value_kind:     by_value
      - .offset:         169
        .size:           1
        .value_kind:     by_value
      - .offset:         170
        .size:           1
        .value_kind:     by_value
    .group_segment_fixed_size: 14336
    .kernarg_segment_align: 8
    .kernarg_segment_size: 172
    .language:       OpenCL C
    .language_version:
      - 2
      - 0
    .max_flat_workgroup_size: 256
    .name:           _ZN9rocsparseL23csrgemm_fill_wf_per_rowILj256ELj16ELj32ELj137Eli21rocsparse_complex_numIdEEEvT4_S3_PKS3_S5_NS_24const_host_device_scalarIT5_EEPKT3_S5_PKS7_SB_S5_SD_S8_SB_S5_SD_SB_PS3_PS7_21rocsparse_index_base_SG_SG_SG_bbb
    .private_segment_fixed_size: 0
    .sgpr_count:     50
    .sgpr_spill_count: 0
    .symbol:         _ZN9rocsparseL23csrgemm_fill_wf_per_rowILj256ELj16ELj32ELj137Eli21rocsparse_complex_numIdEEEvT4_S3_PKS3_S5_NS_24const_host_device_scalarIT5_EEPKT3_S5_PKS7_SB_S5_SD_S8_SB_S5_SD_SB_PS3_PS7_21rocsparse_index_base_SG_SG_SG_bbb.kd
    .uniform_work_group_size: 1
    .uses_dynamic_stack: false
    .vgpr_count:     39
    .vgpr_spill_count: 0
    .wavefront_size: 32
    .workgroup_processor_mode: 1
  - .args:
      - .offset:         0
        .size:           4
        .value_kind:     by_value
      - .actual_access:  read_only
        .address_space:  global
        .offset:         8
        .size:           8
        .value_kind:     global_buffer
      - .actual_access:  read_only
        .address_space:  global
        .offset:         16
        .size:           8
        .value_kind:     global_buffer
      - .offset:         24
        .size:           16
        .value_kind:     by_value
      - .actual_access:  read_only
        .address_space:  global
        .offset:         40
        .size:           8
        .value_kind:     global_buffer
      - .actual_access:  read_only
        .address_space:  global
        .offset:         48
        .size:           8
        .value_kind:     global_buffer
      - .actual_access:  read_only
        .address_space:  global
        .offset:         56
        .size:           8
        .value_kind:     global_buffer
      - .actual_access:  read_only
        .address_space:  global
        .offset:         64
        .size:           8
        .value_kind:     global_buffer
      - .actual_access:  read_only
        .address_space:  global
        .offset:         72
        .size:           8
        .value_kind:     global_buffer
      - .actual_access:  read_only
        .address_space:  global
        .offset:         80
        .size:           8
        .value_kind:     global_buffer
      - .offset:         88
        .size:           16
        .value_kind:     by_value
      - .actual_access:  read_only
        .address_space:  global
        .offset:         104
        .size:           8
        .value_kind:     global_buffer
      - .actual_access:  read_only
        .address_space:  global
        .offset:         112
        .size:           8
        .value_kind:     global_buffer
      - .actual_access:  read_only
        .address_space:  global
        .offset:         120
        .size:           8
        .value_kind:     global_buffer
      - .actual_access:  read_only
        .address_space:  global
        .offset:         128
        .size:           8
        .value_kind:     global_buffer
      - .actual_access:  write_only
        .address_space:  global
        .offset:         136
        .size:           8
        .value_kind:     global_buffer
      - .actual_access:  write_only
        .address_space:  global
        .offset:         144
        .size:           8
        .value_kind:     global_buffer
      - .offset:         152
        .size:           4
        .value_kind:     by_value
      - .offset:         156
        .size:           4
        .value_kind:     by_value
      - .offset:         160
        .size:           4
        .value_kind:     by_value
      - .offset:         164
        .size:           4
        .value_kind:     by_value
      - .offset:         168
        .size:           1
        .value_kind:     by_value
      - .offset:         169
        .size:           1
        .value_kind:     by_value
      - .offset:         170
        .size:           1
        .value_kind:     by_value
    .group_segment_fixed_size: 0
    .kernarg_segment_align: 8
    .kernarg_segment_size: 172
    .language:       OpenCL C
    .language_version:
      - 2
      - 0
    .max_flat_workgroup_size: 128
    .name:           _ZN9rocsparseL26csrgemm_fill_block_per_rowILj128ELj16ELj256ELj137ELj32Eli21rocsparse_complex_numIdEEEvT5_PKS3_S5_NS_24const_host_device_scalarIT6_EEPKT4_S5_PKS7_SB_S5_SD_S8_SB_S5_SD_SB_PS3_PS7_21rocsparse_index_base_SG_SG_SG_bbb
    .private_segment_fixed_size: 40
    .sgpr_count:     46
    .sgpr_spill_count: 0
    .symbol:         _ZN9rocsparseL26csrgemm_fill_block_per_rowILj128ELj16ELj256ELj137ELj32Eli21rocsparse_complex_numIdEEEvT5_PKS3_S5_NS_24const_host_device_scalarIT6_EEPKT4_S5_PKS7_SB_S5_SD_S8_SB_S5_SD_SB_PS3_PS7_21rocsparse_index_base_SG_SG_SG_bbb.kd
    .uniform_work_group_size: 1
    .uses_dynamic_stack: false
    .vgpr_count:     35
    .vgpr_spill_count: 0
    .wavefront_size: 32
    .workgroup_processor_mode: 1
  - .args:
      - .offset:         0
        .size:           4
        .value_kind:     by_value
      - .actual_access:  read_only
        .address_space:  global
        .offset:         8
        .size:           8
        .value_kind:     global_buffer
      - .actual_access:  read_only
        .address_space:  global
        .offset:         16
        .size:           8
        .value_kind:     global_buffer
      - .offset:         24
        .size:           16
        .value_kind:     by_value
      - .actual_access:  read_only
        .address_space:  global
        .offset:         40
        .size:           8
        .value_kind:     global_buffer
      - .actual_access:  read_only
        .address_space:  global
        .offset:         48
        .size:           8
        .value_kind:     global_buffer
      - .actual_access:  read_only
        .address_space:  global
        .offset:         56
        .size:           8
        .value_kind:     global_buffer
      - .actual_access:  read_only
        .address_space:  global
        .offset:         64
        .size:           8
        .value_kind:     global_buffer
      - .actual_access:  read_only
        .address_space:  global
        .offset:         72
        .size:           8
        .value_kind:     global_buffer
      - .actual_access:  read_only
        .address_space:  global
        .offset:         80
        .size:           8
        .value_kind:     global_buffer
      - .offset:         88
        .size:           16
        .value_kind:     by_value
      - .actual_access:  read_only
        .address_space:  global
        .offset:         104
        .size:           8
        .value_kind:     global_buffer
      - .actual_access:  read_only
        .address_space:  global
        .offset:         112
        .size:           8
        .value_kind:     global_buffer
      - .actual_access:  read_only
        .address_space:  global
        .offset:         120
        .size:           8
        .value_kind:     global_buffer
      - .actual_access:  read_only
        .address_space:  global
        .offset:         128
        .size:           8
        .value_kind:     global_buffer
      - .actual_access:  write_only
        .address_space:  global
        .offset:         136
        .size:           8
        .value_kind:     global_buffer
      - .actual_access:  write_only
        .address_space:  global
        .offset:         144
        .size:           8
        .value_kind:     global_buffer
      - .offset:         152
        .size:           4
        .value_kind:     by_value
      - .offset:         156
        .size:           4
        .value_kind:     by_value
      - .offset:         160
        .size:           4
        .value_kind:     by_value
      - .offset:         164
        .size:           4
        .value_kind:     by_value
      - .offset:         168
        .size:           1
        .value_kind:     by_value
      - .offset:         169
        .size:           1
        .value_kind:     by_value
      - .offset:         170
        .size:           1
        .value_kind:     by_value
    .group_segment_fixed_size: 0
    .kernarg_segment_align: 8
    .kernarg_segment_size: 172
    .language:       OpenCL C
    .language_version:
      - 2
      - 0
    .max_flat_workgroup_size: 128
    .name:           _ZN9rocsparseL26csrgemm_fill_block_per_rowILj128ELj16ELj256ELj137ELj64Eli21rocsparse_complex_numIdEEEvT5_PKS3_S5_NS_24const_host_device_scalarIT6_EEPKT4_S5_PKS7_SB_S5_SD_S8_SB_S5_SD_SB_PS3_PS7_21rocsparse_index_base_SG_SG_SG_bbb
    .private_segment_fixed_size: 40
    .sgpr_count:     46
    .sgpr_spill_count: 0
    .symbol:         _ZN9rocsparseL26csrgemm_fill_block_per_rowILj128ELj16ELj256ELj137ELj64Eli21rocsparse_complex_numIdEEEvT5_PKS3_S5_NS_24const_host_device_scalarIT6_EEPKT4_S5_PKS7_SB_S5_SD_S8_SB_S5_SD_SB_PS3_PS7_21rocsparse_index_base_SG_SG_SG_bbb.kd
    .uniform_work_group_size: 1
    .uses_dynamic_stack: false
    .vgpr_count:     36
    .vgpr_spill_count: 0
    .wavefront_size: 32
    .workgroup_processor_mode: 1
  - .args:
      - .offset:         0
        .size:           4
        .value_kind:     by_value
      - .actual_access:  read_only
        .address_space:  global
        .offset:         8
        .size:           8
        .value_kind:     global_buffer
      - .actual_access:  read_only
        .address_space:  global
        .offset:         16
        .size:           8
        .value_kind:     global_buffer
      - .offset:         24
        .size:           16
        .value_kind:     by_value
      - .actual_access:  read_only
        .address_space:  global
        .offset:         40
        .size:           8
        .value_kind:     global_buffer
      - .actual_access:  read_only
        .address_space:  global
        .offset:         48
        .size:           8
        .value_kind:     global_buffer
      - .actual_access:  read_only
        .address_space:  global
        .offset:         56
        .size:           8
        .value_kind:     global_buffer
      - .actual_access:  read_only
        .address_space:  global
        .offset:         64
        .size:           8
        .value_kind:     global_buffer
      - .actual_access:  read_only
        .address_space:  global
        .offset:         72
        .size:           8
        .value_kind:     global_buffer
      - .actual_access:  read_only
        .address_space:  global
        .offset:         80
        .size:           8
        .value_kind:     global_buffer
      - .offset:         88
        .size:           16
        .value_kind:     by_value
      - .actual_access:  read_only
        .address_space:  global
        .offset:         104
        .size:           8
        .value_kind:     global_buffer
      - .actual_access:  read_only
        .address_space:  global
        .offset:         112
        .size:           8
        .value_kind:     global_buffer
      - .actual_access:  read_only
        .address_space:  global
        .offset:         120
        .size:           8
        .value_kind:     global_buffer
      - .actual_access:  read_only
        .address_space:  global
        .offset:         128
        .size:           8
        .value_kind:     global_buffer
      - .actual_access:  write_only
        .address_space:  global
        .offset:         136
        .size:           8
        .value_kind:     global_buffer
      - .actual_access:  write_only
        .address_space:  global
        .offset:         144
        .size:           8
        .value_kind:     global_buffer
      - .offset:         152
        .size:           4
        .value_kind:     by_value
      - .offset:         156
        .size:           4
        .value_kind:     by_value
      - .offset:         160
        .size:           4
        .value_kind:     by_value
      - .offset:         164
        .size:           4
        .value_kind:     by_value
      - .offset:         168
        .size:           1
        .value_kind:     by_value
      - .offset:         169
        .size:           1
        .value_kind:     by_value
      - .offset:         170
        .size:           1
        .value_kind:     by_value
    .group_segment_fixed_size: 0
    .kernarg_segment_align: 8
    .kernarg_segment_size: 172
    .language:       OpenCL C
    .language_version:
      - 2
      - 0
    .max_flat_workgroup_size: 256
    .name:           _ZN9rocsparseL26csrgemm_fill_block_per_rowILj256ELj32ELj512ELj137ELj32Eli21rocsparse_complex_numIdEEEvT5_PKS3_S5_NS_24const_host_device_scalarIT6_EEPKT4_S5_PKS7_SB_S5_SD_S8_SB_S5_SD_SB_PS3_PS7_21rocsparse_index_base_SG_SG_SG_bbb
    .private_segment_fixed_size: 40
    .sgpr_count:     46
    .sgpr_spill_count: 0
    .symbol:         _ZN9rocsparseL26csrgemm_fill_block_per_rowILj256ELj32ELj512ELj137ELj32Eli21rocsparse_complex_numIdEEEvT5_PKS3_S5_NS_24const_host_device_scalarIT6_EEPKT4_S5_PKS7_SB_S5_SD_S8_SB_S5_SD_SB_PS3_PS7_21rocsparse_index_base_SG_SG_SG_bbb.kd
    .uniform_work_group_size: 1
    .uses_dynamic_stack: false
    .vgpr_count:     36
    .vgpr_spill_count: 0
    .wavefront_size: 32
    .workgroup_processor_mode: 1
  - .args:
      - .offset:         0
        .size:           4
        .value_kind:     by_value
      - .actual_access:  read_only
        .address_space:  global
        .offset:         8
        .size:           8
        .value_kind:     global_buffer
      - .actual_access:  read_only
        .address_space:  global
        .offset:         16
        .size:           8
        .value_kind:     global_buffer
      - .offset:         24
        .size:           16
        .value_kind:     by_value
      - .actual_access:  read_only
        .address_space:  global
        .offset:         40
        .size:           8
        .value_kind:     global_buffer
      - .actual_access:  read_only
        .address_space:  global
        .offset:         48
        .size:           8
        .value_kind:     global_buffer
      - .actual_access:  read_only
        .address_space:  global
        .offset:         56
        .size:           8
        .value_kind:     global_buffer
      - .actual_access:  read_only
        .address_space:  global
        .offset:         64
        .size:           8
        .value_kind:     global_buffer
      - .actual_access:  read_only
        .address_space:  global
        .offset:         72
        .size:           8
        .value_kind:     global_buffer
      - .actual_access:  read_only
        .address_space:  global
        .offset:         80
        .size:           8
        .value_kind:     global_buffer
      - .offset:         88
        .size:           16
        .value_kind:     by_value
      - .actual_access:  read_only
        .address_space:  global
        .offset:         104
        .size:           8
        .value_kind:     global_buffer
      - .actual_access:  read_only
        .address_space:  global
        .offset:         112
        .size:           8
        .value_kind:     global_buffer
      - .actual_access:  read_only
        .address_space:  global
        .offset:         120
        .size:           8
        .value_kind:     global_buffer
      - .actual_access:  read_only
        .address_space:  global
        .offset:         128
        .size:           8
        .value_kind:     global_buffer
      - .actual_access:  write_only
        .address_space:  global
        .offset:         136
        .size:           8
        .value_kind:     global_buffer
      - .actual_access:  write_only
        .address_space:  global
        .offset:         144
        .size:           8
        .value_kind:     global_buffer
      - .offset:         152
        .size:           4
        .value_kind:     by_value
      - .offset:         156
        .size:           4
        .value_kind:     by_value
      - .offset:         160
        .size:           4
        .value_kind:     by_value
      - .offset:         164
        .size:           4
        .value_kind:     by_value
      - .offset:         168
        .size:           1
        .value_kind:     by_value
      - .offset:         169
        .size:           1
        .value_kind:     by_value
      - .offset:         170
        .size:           1
        .value_kind:     by_value
    .group_segment_fixed_size: 0
    .kernarg_segment_align: 8
    .kernarg_segment_size: 172
    .language:       OpenCL C
    .language_version:
      - 2
      - 0
    .max_flat_workgroup_size: 256
    .name:           _ZN9rocsparseL26csrgemm_fill_block_per_rowILj256ELj32ELj512ELj137ELj64Eli21rocsparse_complex_numIdEEEvT5_PKS3_S5_NS_24const_host_device_scalarIT6_EEPKT4_S5_PKS7_SB_S5_SD_S8_SB_S5_SD_SB_PS3_PS7_21rocsparse_index_base_SG_SG_SG_bbb
    .private_segment_fixed_size: 40
    .sgpr_count:     46
    .sgpr_spill_count: 0
    .symbol:         _ZN9rocsparseL26csrgemm_fill_block_per_rowILj256ELj32ELj512ELj137ELj64Eli21rocsparse_complex_numIdEEEvT5_PKS3_S5_NS_24const_host_device_scalarIT6_EEPKT4_S5_PKS7_SB_S5_SD_S8_SB_S5_SD_SB_PS3_PS7_21rocsparse_index_base_SG_SG_SG_bbb.kd
    .uniform_work_group_size: 1
    .uses_dynamic_stack: false
    .vgpr_count:     35
    .vgpr_spill_count: 0
    .wavefront_size: 32
    .workgroup_processor_mode: 1
  - .args:
      - .offset:         0
        .size:           4
        .value_kind:     by_value
      - .actual_access:  read_only
        .address_space:  global
        .offset:         8
        .size:           8
        .value_kind:     global_buffer
      - .actual_access:  read_only
        .address_space:  global
        .offset:         16
        .size:           8
        .value_kind:     global_buffer
      - .offset:         24
        .size:           16
        .value_kind:     by_value
      - .actual_access:  read_only
        .address_space:  global
        .offset:         40
        .size:           8
        .value_kind:     global_buffer
      - .actual_access:  read_only
        .address_space:  global
        .offset:         48
        .size:           8
        .value_kind:     global_buffer
      - .actual_access:  read_only
        .address_space:  global
        .offset:         56
        .size:           8
        .value_kind:     global_buffer
      - .actual_access:  read_only
        .address_space:  global
        .offset:         64
        .size:           8
        .value_kind:     global_buffer
      - .actual_access:  read_only
        .address_space:  global
        .offset:         72
        .size:           8
        .value_kind:     global_buffer
      - .actual_access:  read_only
        .address_space:  global
        .offset:         80
        .size:           8
        .value_kind:     global_buffer
      - .offset:         88
        .size:           16
        .value_kind:     by_value
      - .actual_access:  read_only
        .address_space:  global
        .offset:         104
        .size:           8
        .value_kind:     global_buffer
      - .actual_access:  read_only
        .address_space:  global
        .offset:         112
        .size:           8
        .value_kind:     global_buffer
      - .actual_access:  read_only
        .address_space:  global
        .offset:         120
        .size:           8
        .value_kind:     global_buffer
      - .actual_access:  read_only
        .address_space:  global
        .offset:         128
        .size:           8
        .value_kind:     global_buffer
      - .actual_access:  write_only
        .address_space:  global
        .offset:         136
        .size:           8
        .value_kind:     global_buffer
      - .actual_access:  write_only
        .address_space:  global
        .offset:         144
        .size:           8
        .value_kind:     global_buffer
      - .offset:         152
        .size:           4
        .value_kind:     by_value
      - .offset:         156
        .size:           4
        .value_kind:     by_value
      - .offset:         160
        .size:           4
        .value_kind:     by_value
      - .offset:         164
        .size:           4
        .value_kind:     by_value
      - .offset:         168
        .size:           1
        .value_kind:     by_value
      - .offset:         169
        .size:           1
        .value_kind:     by_value
      - .offset:         170
        .size:           1
        .value_kind:     by_value
    .group_segment_fixed_size: 0
    .kernarg_segment_align: 8
    .kernarg_segment_size: 172
    .language:       OpenCL C
    .language_version:
      - 2
      - 0
    .max_flat_workgroup_size: 512
    .name:           _ZN9rocsparseL26csrgemm_fill_block_per_rowILj512ELj32ELj1024ELj137ELj32Eli21rocsparse_complex_numIdEEEvT5_PKS3_S5_NS_24const_host_device_scalarIT6_EEPKT4_S5_PKS7_SB_S5_SD_S8_SB_S5_SD_SB_PS3_PS7_21rocsparse_index_base_SG_SG_SG_bbb
    .private_segment_fixed_size: 40
    .sgpr_count:     50
    .sgpr_spill_count: 0
    .symbol:         _ZN9rocsparseL26csrgemm_fill_block_per_rowILj512ELj32ELj1024ELj137ELj32Eli21rocsparse_complex_numIdEEEvT5_PKS3_S5_NS_24const_host_device_scalarIT6_EEPKT4_S5_PKS7_SB_S5_SD_S8_SB_S5_SD_SB_PS3_PS7_21rocsparse_index_base_SG_SG_SG_bbb.kd
    .uniform_work_group_size: 1
    .uses_dynamic_stack: false
    .vgpr_count:     36
    .vgpr_spill_count: 0
    .wavefront_size: 32
    .workgroup_processor_mode: 1
  - .args:
      - .offset:         0
        .size:           4
        .value_kind:     by_value
      - .actual_access:  read_only
        .address_space:  global
        .offset:         8
        .size:           8
        .value_kind:     global_buffer
      - .actual_access:  read_only
        .address_space:  global
        .offset:         16
        .size:           8
        .value_kind:     global_buffer
      - .offset:         24
        .size:           16
        .value_kind:     by_value
      - .actual_access:  read_only
        .address_space:  global
        .offset:         40
        .size:           8
        .value_kind:     global_buffer
      - .actual_access:  read_only
        .address_space:  global
        .offset:         48
        .size:           8
        .value_kind:     global_buffer
      - .actual_access:  read_only
        .address_space:  global
        .offset:         56
        .size:           8
        .value_kind:     global_buffer
      - .actual_access:  read_only
        .address_space:  global
        .offset:         64
        .size:           8
        .value_kind:     global_buffer
      - .actual_access:  read_only
        .address_space:  global
        .offset:         72
        .size:           8
        .value_kind:     global_buffer
      - .actual_access:  read_only
        .address_space:  global
        .offset:         80
        .size:           8
        .value_kind:     global_buffer
      - .offset:         88
        .size:           16
        .value_kind:     by_value
      - .actual_access:  read_only
        .address_space:  global
        .offset:         104
        .size:           8
        .value_kind:     global_buffer
      - .actual_access:  read_only
        .address_space:  global
        .offset:         112
        .size:           8
        .value_kind:     global_buffer
      - .actual_access:  read_only
        .address_space:  global
        .offset:         120
        .size:           8
        .value_kind:     global_buffer
      - .actual_access:  read_only
        .address_space:  global
        .offset:         128
        .size:           8
        .value_kind:     global_buffer
      - .actual_access:  write_only
        .address_space:  global
        .offset:         136
        .size:           8
        .value_kind:     global_buffer
      - .actual_access:  write_only
        .address_space:  global
        .offset:         144
        .size:           8
        .value_kind:     global_buffer
      - .offset:         152
        .size:           4
        .value_kind:     by_value
      - .offset:         156
        .size:           4
        .value_kind:     by_value
      - .offset:         160
        .size:           4
        .value_kind:     by_value
      - .offset:         164
        .size:           4
        .value_kind:     by_value
      - .offset:         168
        .size:           1
        .value_kind:     by_value
      - .offset:         169
        .size:           1
        .value_kind:     by_value
      - .offset:         170
        .size:           1
        .value_kind:     by_value
    .group_segment_fixed_size: 0
    .kernarg_segment_align: 8
    .kernarg_segment_size: 172
    .language:       OpenCL C
    .language_version:
      - 2
      - 0
    .max_flat_workgroup_size: 512
    .name:           _ZN9rocsparseL26csrgemm_fill_block_per_rowILj512ELj32ELj1024ELj137ELj64Eli21rocsparse_complex_numIdEEEvT5_PKS3_S5_NS_24const_host_device_scalarIT6_EEPKT4_S5_PKS7_SB_S5_SD_S8_SB_S5_SD_SB_PS3_PS7_21rocsparse_index_base_SG_SG_SG_bbb
    .private_segment_fixed_size: 40
    .sgpr_count:     50
    .sgpr_spill_count: 0
    .symbol:         _ZN9rocsparseL26csrgemm_fill_block_per_rowILj512ELj32ELj1024ELj137ELj64Eli21rocsparse_complex_numIdEEEvT5_PKS3_S5_NS_24const_host_device_scalarIT6_EEPKT4_S5_PKS7_SB_S5_SD_S8_SB_S5_SD_SB_PS3_PS7_21rocsparse_index_base_SG_SG_SG_bbb.kd
    .uniform_work_group_size: 1
    .uses_dynamic_stack: false
    .vgpr_count:     35
    .vgpr_spill_count: 0
    .wavefront_size: 32
    .workgroup_processor_mode: 1
  - .args:
      - .offset:         0
        .size:           4
        .value_kind:     by_value
      - .actual_access:  read_only
        .address_space:  global
        .offset:         8
        .size:           8
        .value_kind:     global_buffer
      - .actual_access:  read_only
        .address_space:  global
        .offset:         16
        .size:           8
        .value_kind:     global_buffer
      - .offset:         24
        .size:           16
        .value_kind:     by_value
      - .actual_access:  read_only
        .address_space:  global
        .offset:         40
        .size:           8
        .value_kind:     global_buffer
      - .actual_access:  read_only
        .address_space:  global
        .offset:         48
        .size:           8
        .value_kind:     global_buffer
      - .actual_access:  read_only
        .address_space:  global
        .offset:         56
        .size:           8
        .value_kind:     global_buffer
      - .actual_access:  read_only
        .address_space:  global
        .offset:         64
        .size:           8
        .value_kind:     global_buffer
      - .actual_access:  read_only
        .address_space:  global
        .offset:         72
        .size:           8
        .value_kind:     global_buffer
      - .actual_access:  read_only
        .address_space:  global
        .offset:         80
        .size:           8
        .value_kind:     global_buffer
      - .offset:         88
        .size:           16
        .value_kind:     by_value
      - .actual_access:  read_only
        .address_space:  global
        .offset:         104
        .size:           8
        .value_kind:     global_buffer
      - .actual_access:  read_only
        .address_space:  global
        .offset:         112
        .size:           8
        .value_kind:     global_buffer
      - .actual_access:  read_only
        .address_space:  global
        .offset:         120
        .size:           8
        .value_kind:     global_buffer
      - .actual_access:  read_only
        .address_space:  global
        .offset:         128
        .size:           8
        .value_kind:     global_buffer
      - .actual_access:  write_only
        .address_space:  global
        .offset:         136
        .size:           8
        .value_kind:     global_buffer
      - .actual_access:  write_only
        .address_space:  global
        .offset:         144
        .size:           8
        .value_kind:     global_buffer
      - .offset:         152
        .size:           4
        .value_kind:     by_value
      - .offset:         156
        .size:           4
        .value_kind:     by_value
      - .offset:         160
        .size:           4
        .value_kind:     by_value
      - .offset:         164
        .size:           4
        .value_kind:     by_value
      - .offset:         168
        .size:           1
        .value_kind:     by_value
      - .offset:         169
        .size:           1
        .value_kind:     by_value
      - .offset:         170
        .size:           1
        .value_kind:     by_value
    .group_segment_fixed_size: 0
    .kernarg_segment_align: 8
    .kernarg_segment_size: 172
    .language:       OpenCL C
    .language_version:
      - 2
      - 0
    .max_flat_workgroup_size: 1024
    .name:           _ZN9rocsparseL26csrgemm_fill_block_per_rowILj1024ELj32ELj2048ELj137ELj32Eli21rocsparse_complex_numIdEEEvT5_PKS3_S5_NS_24const_host_device_scalarIT6_EEPKT4_S5_PKS7_SB_S5_SD_S8_SB_S5_SD_SB_PS3_PS7_21rocsparse_index_base_SG_SG_SG_bbb
    .private_segment_fixed_size: 40
    .sgpr_count:     54
    .sgpr_spill_count: 0
    .symbol:         _ZN9rocsparseL26csrgemm_fill_block_per_rowILj1024ELj32ELj2048ELj137ELj32Eli21rocsparse_complex_numIdEEEvT5_PKS3_S5_NS_24const_host_device_scalarIT6_EEPKT4_S5_PKS7_SB_S5_SD_S8_SB_S5_SD_SB_PS3_PS7_21rocsparse_index_base_SG_SG_SG_bbb.kd
    .uniform_work_group_size: 1
    .uses_dynamic_stack: false
    .vgpr_count:     36
    .vgpr_spill_count: 0
    .wavefront_size: 32
    .workgroup_processor_mode: 1
  - .args:
      - .offset:         0
        .size:           4
        .value_kind:     by_value
      - .actual_access:  read_only
        .address_space:  global
        .offset:         8
        .size:           8
        .value_kind:     global_buffer
      - .actual_access:  read_only
        .address_space:  global
        .offset:         16
        .size:           8
        .value_kind:     global_buffer
      - .offset:         24
        .size:           16
        .value_kind:     by_value
      - .actual_access:  read_only
        .address_space:  global
        .offset:         40
        .size:           8
        .value_kind:     global_buffer
      - .actual_access:  read_only
        .address_space:  global
        .offset:         48
        .size:           8
        .value_kind:     global_buffer
      - .actual_access:  read_only
        .address_space:  global
        .offset:         56
        .size:           8
        .value_kind:     global_buffer
      - .actual_access:  read_only
        .address_space:  global
        .offset:         64
        .size:           8
        .value_kind:     global_buffer
      - .actual_access:  read_only
        .address_space:  global
        .offset:         72
        .size:           8
        .value_kind:     global_buffer
      - .actual_access:  read_only
        .address_space:  global
        .offset:         80
        .size:           8
        .value_kind:     global_buffer
      - .offset:         88
        .size:           16
        .value_kind:     by_value
      - .actual_access:  read_only
        .address_space:  global
        .offset:         104
        .size:           8
        .value_kind:     global_buffer
      - .actual_access:  read_only
        .address_space:  global
        .offset:         112
        .size:           8
        .value_kind:     global_buffer
      - .actual_access:  read_only
        .address_space:  global
        .offset:         120
        .size:           8
        .value_kind:     global_buffer
      - .actual_access:  read_only
        .address_space:  global
        .offset:         128
        .size:           8
        .value_kind:     global_buffer
      - .actual_access:  write_only
        .address_space:  global
        .offset:         136
        .size:           8
        .value_kind:     global_buffer
      - .actual_access:  write_only
        .address_space:  global
        .offset:         144
        .size:           8
        .value_kind:     global_buffer
      - .offset:         152
        .size:           4
        .value_kind:     by_value
      - .offset:         156
        .size:           4
        .value_kind:     by_value
      - .offset:         160
        .size:           4
        .value_kind:     by_value
      - .offset:         164
        .size:           4
        .value_kind:     by_value
      - .offset:         168
        .size:           1
        .value_kind:     by_value
      - .offset:         169
        .size:           1
        .value_kind:     by_value
      - .offset:         170
        .size:           1
        .value_kind:     by_value
    .group_segment_fixed_size: 0
    .kernarg_segment_align: 8
    .kernarg_segment_size: 172
    .language:       OpenCL C
    .language_version:
      - 2
      - 0
    .max_flat_workgroup_size: 1024
    .name:           _ZN9rocsparseL26csrgemm_fill_block_per_rowILj1024ELj32ELj2048ELj137ELj64Eli21rocsparse_complex_numIdEEEvT5_PKS3_S5_NS_24const_host_device_scalarIT6_EEPKT4_S5_PKS7_SB_S5_SD_S8_SB_S5_SD_SB_PS3_PS7_21rocsparse_index_base_SG_SG_SG_bbb
    .private_segment_fixed_size: 40
    .sgpr_count:     50
    .sgpr_spill_count: 0
    .symbol:         _ZN9rocsparseL26csrgemm_fill_block_per_rowILj1024ELj32ELj2048ELj137ELj64Eli21rocsparse_complex_numIdEEEvT5_PKS3_S5_NS_24const_host_device_scalarIT6_EEPKT4_S5_PKS7_SB_S5_SD_S8_SB_S5_SD_SB_PS3_PS7_21rocsparse_index_base_SG_SG_SG_bbb.kd
    .uniform_work_group_size: 1
    .uses_dynamic_stack: false
    .vgpr_count:     35
    .vgpr_spill_count: 0
    .wavefront_size: 32
    .workgroup_processor_mode: 1
  - .args:
      - .offset:         0
        .size:           4
        .value_kind:     by_value
      - .actual_access:  read_only
        .address_space:  global
        .offset:         8
        .size:           8
        .value_kind:     global_buffer
      - .actual_access:  read_only
        .address_space:  global
        .offset:         16
        .size:           8
        .value_kind:     global_buffer
      - .offset:         24
        .size:           16
        .value_kind:     by_value
      - .actual_access:  read_only
        .address_space:  global
        .offset:         40
        .size:           8
        .value_kind:     global_buffer
      - .actual_access:  read_only
        .address_space:  global
        .offset:         48
        .size:           8
        .value_kind:     global_buffer
      - .actual_access:  read_only
        .address_space:  global
        .offset:         56
        .size:           8
        .value_kind:     global_buffer
      - .actual_access:  read_only
        .address_space:  global
        .offset:         64
        .size:           8
        .value_kind:     global_buffer
      - .actual_access:  read_only
        .address_space:  global
        .offset:         72
        .size:           8
        .value_kind:     global_buffer
      - .actual_access:  read_only
        .address_space:  global
        .offset:         80
        .size:           8
        .value_kind:     global_buffer
      - .offset:         88
        .size:           16
        .value_kind:     by_value
      - .actual_access:  read_only
        .address_space:  global
        .offset:         104
        .size:           8
        .value_kind:     global_buffer
      - .actual_access:  read_only
        .address_space:  global
        .offset:         112
        .size:           8
        .value_kind:     global_buffer
      - .actual_access:  read_only
        .address_space:  global
        .offset:         120
        .size:           8
        .value_kind:     global_buffer
      - .actual_access:  read_only
        .address_space:  global
        .offset:         128
        .size:           8
        .value_kind:     global_buffer
      - .actual_access:  write_only
        .address_space:  global
        .offset:         136
        .size:           8
        .value_kind:     global_buffer
      - .actual_access:  write_only
        .address_space:  global
        .offset:         144
        .size:           8
        .value_kind:     global_buffer
      - .offset:         152
        .size:           4
        .value_kind:     by_value
      - .offset:         156
        .size:           4
        .value_kind:     by_value
      - .offset:         160
        .size:           4
        .value_kind:     by_value
      - .offset:         164
        .size:           4
        .value_kind:     by_value
      - .offset:         168
        .size:           1
        .value_kind:     by_value
      - .offset:         169
        .size:           1
        .value_kind:     by_value
      - .offset:         170
        .size:           1
        .value_kind:     by_value
    .group_segment_fixed_size: 0
    .kernarg_segment_align: 8
    .kernarg_segment_size: 172
    .language:       OpenCL C
    .language_version:
      - 2
      - 0
    .max_flat_workgroup_size: 1024
    .name:           _ZN9rocsparseL26csrgemm_fill_block_per_rowILj1024ELj64ELj4096ELj137ELj32Eli21rocsparse_complex_numIdEEEvT5_PKS3_S5_NS_24const_host_device_scalarIT6_EEPKT4_S5_PKS7_SB_S5_SD_S8_SB_S5_SD_SB_PS3_PS7_21rocsparse_index_base_SG_SG_SG_bbb
    .private_segment_fixed_size: 40
    .sgpr_count:     78
    .sgpr_spill_count: 0
    .symbol:         _ZN9rocsparseL26csrgemm_fill_block_per_rowILj1024ELj64ELj4096ELj137ELj32Eli21rocsparse_complex_numIdEEEvT5_PKS3_S5_NS_24const_host_device_scalarIT6_EEPKT4_S5_PKS7_SB_S5_SD_S8_SB_S5_SD_SB_PS3_PS7_21rocsparse_index_base_SG_SG_SG_bbb.kd
    .uniform_work_group_size: 1
    .uses_dynamic_stack: false
    .vgpr_count:     35
    .vgpr_spill_count: 0
    .wavefront_size: 32
    .workgroup_processor_mode: 1
  - .args:
      - .offset:         0
        .size:           4
        .value_kind:     by_value
      - .actual_access:  read_only
        .address_space:  global
        .offset:         8
        .size:           8
        .value_kind:     global_buffer
      - .actual_access:  read_only
        .address_space:  global
        .offset:         16
        .size:           8
        .value_kind:     global_buffer
      - .offset:         24
        .size:           16
        .value_kind:     by_value
      - .actual_access:  read_only
        .address_space:  global
        .offset:         40
        .size:           8
        .value_kind:     global_buffer
      - .actual_access:  read_only
        .address_space:  global
        .offset:         48
        .size:           8
        .value_kind:     global_buffer
      - .actual_access:  read_only
        .address_space:  global
        .offset:         56
        .size:           8
        .value_kind:     global_buffer
      - .actual_access:  read_only
        .address_space:  global
        .offset:         64
        .size:           8
        .value_kind:     global_buffer
      - .actual_access:  read_only
        .address_space:  global
        .offset:         72
        .size:           8
        .value_kind:     global_buffer
      - .actual_access:  read_only
        .address_space:  global
        .offset:         80
        .size:           8
        .value_kind:     global_buffer
      - .offset:         88
        .size:           16
        .value_kind:     by_value
      - .actual_access:  read_only
        .address_space:  global
        .offset:         104
        .size:           8
        .value_kind:     global_buffer
      - .actual_access:  read_only
        .address_space:  global
        .offset:         112
        .size:           8
        .value_kind:     global_buffer
      - .actual_access:  read_only
        .address_space:  global
        .offset:         120
        .size:           8
        .value_kind:     global_buffer
      - .actual_access:  read_only
        .address_space:  global
        .offset:         128
        .size:           8
        .value_kind:     global_buffer
      - .actual_access:  write_only
        .address_space:  global
        .offset:         136
        .size:           8
        .value_kind:     global_buffer
      - .actual_access:  write_only
        .address_space:  global
        .offset:         144
        .size:           8
        .value_kind:     global_buffer
      - .offset:         152
        .size:           4
        .value_kind:     by_value
      - .offset:         156
        .size:           4
        .value_kind:     by_value
      - .offset:         160
        .size:           4
        .value_kind:     by_value
      - .offset:         164
        .size:           4
        .value_kind:     by_value
      - .offset:         168
        .size:           1
        .value_kind:     by_value
      - .offset:         169
        .size:           1
        .value_kind:     by_value
      - .offset:         170
        .size:           1
        .value_kind:     by_value
    .group_segment_fixed_size: 0
    .kernarg_segment_align: 8
    .kernarg_segment_size: 172
    .language:       OpenCL C
    .language_version:
      - 2
      - 0
    .max_flat_workgroup_size: 1024
    .name:           _ZN9rocsparseL26csrgemm_fill_block_per_rowILj1024ELj64ELj4096ELj137ELj64Eli21rocsparse_complex_numIdEEEvT5_PKS3_S5_NS_24const_host_device_scalarIT6_EEPKT4_S5_PKS7_SB_S5_SD_S8_SB_S5_SD_SB_PS3_PS7_21rocsparse_index_base_SG_SG_SG_bbb
    .private_segment_fixed_size: 40
    .sgpr_count:     50
    .sgpr_spill_count: 0
    .symbol:         _ZN9rocsparseL26csrgemm_fill_block_per_rowILj1024ELj64ELj4096ELj137ELj64Eli21rocsparse_complex_numIdEEEvT5_PKS3_S5_NS_24const_host_device_scalarIT6_EEPKT4_S5_PKS7_SB_S5_SD_S8_SB_S5_SD_SB_PS3_PS7_21rocsparse_index_base_SG_SG_SG_bbb.kd
    .uniform_work_group_size: 1
    .uses_dynamic_stack: false
    .vgpr_count:     36
    .vgpr_spill_count: 0
    .wavefront_size: 32
    .workgroup_processor_mode: 1
  - .args:
      - .offset:         0
        .size:           4
        .value_kind:     by_value
      - .actual_access:  read_only
        .address_space:  global
        .offset:         8
        .size:           8
        .value_kind:     global_buffer
      - .actual_access:  read_only
        .address_space:  global
        .offset:         16
        .size:           8
        .value_kind:     global_buffer
      - .offset:         24
        .size:           16
        .value_kind:     by_value
      - .actual_access:  read_only
        .address_space:  global
        .offset:         40
        .size:           8
        .value_kind:     global_buffer
      - .actual_access:  read_only
        .address_space:  global
        .offset:         48
        .size:           8
        .value_kind:     global_buffer
      - .actual_access:  read_only
        .address_space:  global
        .offset:         56
        .size:           8
        .value_kind:     global_buffer
      - .actual_access:  read_only
        .address_space:  global
        .offset:         64
        .size:           8
        .value_kind:     global_buffer
      - .actual_access:  read_only
        .address_space:  global
        .offset:         72
        .size:           8
        .value_kind:     global_buffer
      - .actual_access:  read_only
        .address_space:  global
        .offset:         80
        .size:           8
        .value_kind:     global_buffer
      - .offset:         88
        .size:           16
        .value_kind:     by_value
      - .actual_access:  read_only
        .address_space:  global
        .offset:         104
        .size:           8
        .value_kind:     global_buffer
      - .actual_access:  read_only
        .address_space:  global
        .offset:         112
        .size:           8
        .value_kind:     global_buffer
      - .actual_access:  read_only
        .address_space:  global
        .offset:         120
        .size:           8
        .value_kind:     global_buffer
      - .actual_access:  read_only
        .address_space:  global
        .offset:         128
        .size:           8
        .value_kind:     global_buffer
      - .actual_access:  write_only
        .address_space:  global
        .offset:         136
        .size:           8
        .value_kind:     global_buffer
      - .actual_access:  write_only
        .address_space:  global
        .offset:         144
        .size:           8
        .value_kind:     global_buffer
      - .offset:         152
        .size:           4
        .value_kind:     by_value
      - .offset:         156
        .size:           4
        .value_kind:     by_value
      - .offset:         160
        .size:           4
        .value_kind:     by_value
      - .offset:         164
        .size:           4
        .value_kind:     by_value
      - .offset:         168
        .size:           1
        .value_kind:     by_value
      - .offset:         169
        .size:           1
        .value_kind:     by_value
      - .offset:         170
        .size:           1
        .value_kind:     by_value
    .group_segment_fixed_size: 0
    .kernarg_segment_align: 8
    .kernarg_segment_size: 172
    .language:       OpenCL C
    .language_version:
      - 2
      - 0
    .max_flat_workgroup_size: 1024
    .name:           _ZN9rocsparseL26csrgemm_fill_block_per_rowILj1024ELj64ELj8192ELj137ELj32Eli21rocsparse_complex_numIdEEEvT5_PKS3_S5_NS_24const_host_device_scalarIT6_EEPKT4_S5_PKS7_SB_S5_SD_S8_SB_S5_SD_SB_PS3_PS7_21rocsparse_index_base_SG_SG_SG_bbb
    .private_segment_fixed_size: 40
    .sgpr_count:     78
    .sgpr_spill_count: 0
    .symbol:         _ZN9rocsparseL26csrgemm_fill_block_per_rowILj1024ELj64ELj8192ELj137ELj32Eli21rocsparse_complex_numIdEEEvT5_PKS3_S5_NS_24const_host_device_scalarIT6_EEPKT4_S5_PKS7_SB_S5_SD_S8_SB_S5_SD_SB_PS3_PS7_21rocsparse_index_base_SG_SG_SG_bbb.kd
    .uniform_work_group_size: 1
    .uses_dynamic_stack: false
    .vgpr_count:     34
    .vgpr_spill_count: 0
    .wavefront_size: 32
    .workgroup_processor_mode: 1
  - .args:
      - .offset:         0
        .size:           4
        .value_kind:     by_value
      - .actual_access:  read_only
        .address_space:  global
        .offset:         8
        .size:           8
        .value_kind:     global_buffer
      - .actual_access:  read_only
        .address_space:  global
        .offset:         16
        .size:           8
        .value_kind:     global_buffer
      - .offset:         24
        .size:           16
        .value_kind:     by_value
      - .actual_access:  read_only
        .address_space:  global
        .offset:         40
        .size:           8
        .value_kind:     global_buffer
      - .actual_access:  read_only
        .address_space:  global
        .offset:         48
        .size:           8
        .value_kind:     global_buffer
      - .actual_access:  read_only
        .address_space:  global
        .offset:         56
        .size:           8
        .value_kind:     global_buffer
      - .actual_access:  read_only
        .address_space:  global
        .offset:         64
        .size:           8
        .value_kind:     global_buffer
      - .actual_access:  read_only
        .address_space:  global
        .offset:         72
        .size:           8
        .value_kind:     global_buffer
      - .actual_access:  read_only
        .address_space:  global
        .offset:         80
        .size:           8
        .value_kind:     global_buffer
      - .offset:         88
        .size:           16
        .value_kind:     by_value
      - .actual_access:  read_only
        .address_space:  global
        .offset:         104
        .size:           8
        .value_kind:     global_buffer
      - .actual_access:  read_only
        .address_space:  global
        .offset:         112
        .size:           8
        .value_kind:     global_buffer
      - .actual_access:  read_only
        .address_space:  global
        .offset:         120
        .size:           8
        .value_kind:     global_buffer
      - .actual_access:  read_only
        .address_space:  global
        .offset:         128
        .size:           8
        .value_kind:     global_buffer
      - .actual_access:  write_only
        .address_space:  global
        .offset:         136
        .size:           8
        .value_kind:     global_buffer
      - .actual_access:  write_only
        .address_space:  global
        .offset:         144
        .size:           8
        .value_kind:     global_buffer
      - .offset:         152
        .size:           4
        .value_kind:     by_value
      - .offset:         156
        .size:           4
        .value_kind:     by_value
      - .offset:         160
        .size:           4
        .value_kind:     by_value
      - .offset:         164
        .size:           4
        .value_kind:     by_value
      - .offset:         168
        .size:           1
        .value_kind:     by_value
      - .offset:         169
        .size:           1
        .value_kind:     by_value
      - .offset:         170
        .size:           1
        .value_kind:     by_value
    .group_segment_fixed_size: 0
    .kernarg_segment_align: 8
    .kernarg_segment_size: 172
    .language:       OpenCL C
    .language_version:
      - 2
      - 0
    .max_flat_workgroup_size: 1024
    .name:           _ZN9rocsparseL26csrgemm_fill_block_per_rowILj1024ELj64ELj8192ELj137ELj64Eli21rocsparse_complex_numIdEEEvT5_PKS3_S5_NS_24const_host_device_scalarIT6_EEPKT4_S5_PKS7_SB_S5_SD_S8_SB_S5_SD_SB_PS3_PS7_21rocsparse_index_base_SG_SG_SG_bbb
    .private_segment_fixed_size: 40
    .sgpr_count:     46
    .sgpr_spill_count: 0
    .symbol:         _ZN9rocsparseL26csrgemm_fill_block_per_rowILj1024ELj64ELj8192ELj137ELj64Eli21rocsparse_complex_numIdEEEvT5_PKS3_S5_NS_24const_host_device_scalarIT6_EEPKT4_S5_PKS7_SB_S5_SD_S8_SB_S5_SD_SB_PS3_PS7_21rocsparse_index_base_SG_SG_SG_bbb.kd
    .uniform_work_group_size: 1
    .uses_dynamic_stack: false
    .vgpr_count:     35
    .vgpr_spill_count: 0
    .wavefront_size: 32
    .workgroup_processor_mode: 1
  - .args:
      - .offset:         0
        .size:           4
        .value_kind:     by_value
      - .actual_access:  read_only
        .address_space:  global
        .offset:         8
        .size:           8
        .value_kind:     global_buffer
      - .actual_access:  read_only
        .address_space:  global
        .offset:         16
        .size:           8
        .value_kind:     global_buffer
      - .offset:         24
        .size:           16
        .value_kind:     by_value
      - .actual_access:  read_only
        .address_space:  global
        .offset:         40
        .size:           8
        .value_kind:     global_buffer
      - .actual_access:  read_only
        .address_space:  global
        .offset:         48
        .size:           8
        .value_kind:     global_buffer
      - .actual_access:  read_only
        .address_space:  global
        .offset:         56
        .size:           8
        .value_kind:     global_buffer
      - .actual_access:  read_only
        .address_space:  global
        .offset:         64
        .size:           8
        .value_kind:     global_buffer
      - .actual_access:  read_only
        .address_space:  global
        .offset:         72
        .size:           8
        .value_kind:     global_buffer
      - .actual_access:  read_only
        .address_space:  global
        .offset:         80
        .size:           8
        .value_kind:     global_buffer
      - .offset:         88
        .size:           16
        .value_kind:     by_value
      - .actual_access:  read_only
        .address_space:  global
        .offset:         104
        .size:           8
        .value_kind:     global_buffer
      - .actual_access:  read_only
        .address_space:  global
        .offset:         112
        .size:           8
        .value_kind:     global_buffer
      - .actual_access:  read_only
        .address_space:  global
        .offset:         120
        .size:           8
        .value_kind:     global_buffer
      - .actual_access:  read_only
        .address_space:  global
        .offset:         128
        .size:           8
        .value_kind:     global_buffer
      - .actual_access:  write_only
        .address_space:  global
        .offset:         136
        .size:           8
        .value_kind:     global_buffer
      - .actual_access:  write_only
        .address_space:  global
        .offset:         144
        .size:           8
        .value_kind:     global_buffer
      - .offset:         152
        .size:           4
        .value_kind:     by_value
      - .offset:         156
        .size:           4
        .value_kind:     by_value
      - .offset:         160
        .size:           4
        .value_kind:     by_value
      - .offset:         164
        .size:           4
        .value_kind:     by_value
      - .offset:         168
        .size:           1
        .value_kind:     by_value
      - .offset:         169
        .size:           1
        .value_kind:     by_value
      - .offset:         170
        .size:           1
        .value_kind:     by_value
    .group_segment_fixed_size: 0
    .kernarg_segment_align: 8
    .kernarg_segment_size: 172
    .language:       OpenCL C
    .language_version:
      - 2
      - 0
    .max_flat_workgroup_size: 1024
    .name:           _ZN9rocsparseL26csrgemm_fill_block_per_rowILj1024ELj64ELj16384ELj137ELj32Eli21rocsparse_complex_numIdEEEvT5_PKS3_S5_NS_24const_host_device_scalarIT6_EEPKT4_S5_PKS7_SB_S5_SD_S8_SB_S5_SD_SB_PS3_PS7_21rocsparse_index_base_SG_SG_SG_bbb
    .private_segment_fixed_size: 40
    .sgpr_count:     78
    .sgpr_spill_count: 0
    .symbol:         _ZN9rocsparseL26csrgemm_fill_block_per_rowILj1024ELj64ELj16384ELj137ELj32Eli21rocsparse_complex_numIdEEEvT5_PKS3_S5_NS_24const_host_device_scalarIT6_EEPKT4_S5_PKS7_SB_S5_SD_S8_SB_S5_SD_SB_PS3_PS7_21rocsparse_index_base_SG_SG_SG_bbb.kd
    .uniform_work_group_size: 1
    .uses_dynamic_stack: false
    .vgpr_count:     35
    .vgpr_spill_count: 0
    .wavefront_size: 32
    .workgroup_processor_mode: 1
  - .args:
      - .offset:         0
        .size:           4
        .value_kind:     by_value
      - .actual_access:  read_only
        .address_space:  global
        .offset:         8
        .size:           8
        .value_kind:     global_buffer
      - .actual_access:  read_only
        .address_space:  global
        .offset:         16
        .size:           8
        .value_kind:     global_buffer
      - .offset:         24
        .size:           16
        .value_kind:     by_value
      - .actual_access:  read_only
        .address_space:  global
        .offset:         40
        .size:           8
        .value_kind:     global_buffer
      - .actual_access:  read_only
        .address_space:  global
        .offset:         48
        .size:           8
        .value_kind:     global_buffer
      - .actual_access:  read_only
        .address_space:  global
        .offset:         56
        .size:           8
        .value_kind:     global_buffer
      - .actual_access:  read_only
        .address_space:  global
        .offset:         64
        .size:           8
        .value_kind:     global_buffer
      - .actual_access:  read_only
        .address_space:  global
        .offset:         72
        .size:           8
        .value_kind:     global_buffer
      - .actual_access:  read_only
        .address_space:  global
        .offset:         80
        .size:           8
        .value_kind:     global_buffer
      - .offset:         88
        .size:           16
        .value_kind:     by_value
      - .actual_access:  read_only
        .address_space:  global
        .offset:         104
        .size:           8
        .value_kind:     global_buffer
      - .actual_access:  read_only
        .address_space:  global
        .offset:         112
        .size:           8
        .value_kind:     global_buffer
      - .actual_access:  read_only
        .address_space:  global
        .offset:         120
        .size:           8
        .value_kind:     global_buffer
      - .actual_access:  read_only
        .address_space:  global
        .offset:         128
        .size:           8
        .value_kind:     global_buffer
      - .actual_access:  write_only
        .address_space:  global
        .offset:         136
        .size:           8
        .value_kind:     global_buffer
      - .actual_access:  write_only
        .address_space:  global
        .offset:         144
        .size:           8
        .value_kind:     global_buffer
      - .offset:         152
        .size:           4
        .value_kind:     by_value
      - .offset:         156
        .size:           4
        .value_kind:     by_value
      - .offset:         160
        .size:           4
        .value_kind:     by_value
      - .offset:         164
        .size:           4
        .value_kind:     by_value
      - .offset:         168
        .size:           1
        .value_kind:     by_value
      - .offset:         169
        .size:           1
        .value_kind:     by_value
      - .offset:         170
        .size:           1
        .value_kind:     by_value
    .group_segment_fixed_size: 0
    .kernarg_segment_align: 8
    .kernarg_segment_size: 172
    .language:       OpenCL C
    .language_version:
      - 2
      - 0
    .max_flat_workgroup_size: 1024
    .name:           _ZN9rocsparseL26csrgemm_fill_block_per_rowILj1024ELj64ELj16384ELj137ELj64Eli21rocsparse_complex_numIdEEEvT5_PKS3_S5_NS_24const_host_device_scalarIT6_EEPKT4_S5_PKS7_SB_S5_SD_S8_SB_S5_SD_SB_PS3_PS7_21rocsparse_index_base_SG_SG_SG_bbb
    .private_segment_fixed_size: 40
    .sgpr_count:     50
    .sgpr_spill_count: 0
    .symbol:         _ZN9rocsparseL26csrgemm_fill_block_per_rowILj1024ELj64ELj16384ELj137ELj64Eli21rocsparse_complex_numIdEEEvT5_PKS3_S5_NS_24const_host_device_scalarIT6_EEPKT4_S5_PKS7_SB_S5_SD_S8_SB_S5_SD_SB_PS3_PS7_21rocsparse_index_base_SG_SG_SG_bbb.kd
    .uniform_work_group_size: 1
    .uses_dynamic_stack: false
    .vgpr_count:     36
    .vgpr_spill_count: 0
    .wavefront_size: 32
    .workgroup_processor_mode: 1
  - .args:
      - .offset:         0
        .size:           4
        .value_kind:     by_value
      - .actual_access:  read_only
        .address_space:  global
        .offset:         8
        .size:           8
        .value_kind:     global_buffer
      - .actual_access:  read_only
        .address_space:  global
        .offset:         16
        .size:           8
        .value_kind:     global_buffer
      - .offset:         24
        .size:           16
        .value_kind:     by_value
      - .actual_access:  read_only
        .address_space:  global
        .offset:         40
        .size:           8
        .value_kind:     global_buffer
      - .actual_access:  read_only
        .address_space:  global
        .offset:         48
        .size:           8
        .value_kind:     global_buffer
      - .actual_access:  read_only
        .address_space:  global
        .offset:         56
        .size:           8
        .value_kind:     global_buffer
      - .actual_access:  read_only
        .address_space:  global
        .offset:         64
        .size:           8
        .value_kind:     global_buffer
      - .actual_access:  read_only
        .address_space:  global
        .offset:         72
        .size:           8
        .value_kind:     global_buffer
      - .actual_access:  read_only
        .address_space:  global
        .offset:         80
        .size:           8
        .value_kind:     global_buffer
      - .offset:         88
        .size:           16
        .value_kind:     by_value
      - .actual_access:  read_only
        .address_space:  global
        .offset:         104
        .size:           8
        .value_kind:     global_buffer
      - .actual_access:  read_only
        .address_space:  global
        .offset:         112
        .size:           8
        .value_kind:     global_buffer
      - .actual_access:  read_only
        .address_space:  global
        .offset:         120
        .size:           8
        .value_kind:     global_buffer
      - .actual_access:  read_only
        .address_space:  global
        .offset:         128
        .size:           8
        .value_kind:     global_buffer
      - .actual_access:  write_only
        .address_space:  global
        .offset:         136
        .size:           8
        .value_kind:     global_buffer
      - .actual_access:  write_only
        .address_space:  global
        .offset:         144
        .size:           8
        .value_kind:     global_buffer
      - .offset:         152
        .size:           4
        .value_kind:     by_value
      - .offset:         156
        .size:           4
        .value_kind:     by_value
      - .offset:         160
        .size:           4
        .value_kind:     by_value
      - .offset:         164
        .size:           4
        .value_kind:     by_value
      - .offset:         168
        .size:           1
        .value_kind:     by_value
      - .offset:         169
        .size:           1
        .value_kind:     by_value
      - .offset:         170
        .size:           1
        .value_kind:     by_value
    .group_segment_fixed_size: 0
    .kernarg_segment_align: 8
    .kernarg_segment_size: 172
    .language:       OpenCL C
    .language_version:
      - 2
      - 0
    .max_flat_workgroup_size: 1024
    .name:           _ZN9rocsparseL26csrgemm_fill_block_per_rowILj1024ELj64ELj32768ELj137ELj32Eli21rocsparse_complex_numIdEEEvT5_PKS3_S5_NS_24const_host_device_scalarIT6_EEPKT4_S5_PKS7_SB_S5_SD_S8_SB_S5_SD_SB_PS3_PS7_21rocsparse_index_base_SG_SG_SG_bbb
    .private_segment_fixed_size: 40
    .sgpr_count:     78
    .sgpr_spill_count: 0
    .symbol:         _ZN9rocsparseL26csrgemm_fill_block_per_rowILj1024ELj64ELj32768ELj137ELj32Eli21rocsparse_complex_numIdEEEvT5_PKS3_S5_NS_24const_host_device_scalarIT6_EEPKT4_S5_PKS7_SB_S5_SD_S8_SB_S5_SD_SB_PS3_PS7_21rocsparse_index_base_SG_SG_SG_bbb.kd
    .uniform_work_group_size: 1
    .uses_dynamic_stack: false
    .vgpr_count:     35
    .vgpr_spill_count: 0
    .wavefront_size: 32
    .workgroup_processor_mode: 1
  - .args:
      - .offset:         0
        .size:           4
        .value_kind:     by_value
      - .actual_access:  read_only
        .address_space:  global
        .offset:         8
        .size:           8
        .value_kind:     global_buffer
      - .actual_access:  read_only
        .address_space:  global
        .offset:         16
        .size:           8
        .value_kind:     global_buffer
      - .offset:         24
        .size:           16
        .value_kind:     by_value
      - .actual_access:  read_only
        .address_space:  global
        .offset:         40
        .size:           8
        .value_kind:     global_buffer
      - .actual_access:  read_only
        .address_space:  global
        .offset:         48
        .size:           8
        .value_kind:     global_buffer
      - .actual_access:  read_only
        .address_space:  global
        .offset:         56
        .size:           8
        .value_kind:     global_buffer
      - .actual_access:  read_only
        .address_space:  global
        .offset:         64
        .size:           8
        .value_kind:     global_buffer
      - .actual_access:  read_only
        .address_space:  global
        .offset:         72
        .size:           8
        .value_kind:     global_buffer
      - .actual_access:  read_only
        .address_space:  global
        .offset:         80
        .size:           8
        .value_kind:     global_buffer
      - .offset:         88
        .size:           16
        .value_kind:     by_value
      - .actual_access:  read_only
        .address_space:  global
        .offset:         104
        .size:           8
        .value_kind:     global_buffer
      - .actual_access:  read_only
        .address_space:  global
        .offset:         112
        .size:           8
        .value_kind:     global_buffer
      - .actual_access:  read_only
        .address_space:  global
        .offset:         120
        .size:           8
        .value_kind:     global_buffer
      - .actual_access:  read_only
        .address_space:  global
        .offset:         128
        .size:           8
        .value_kind:     global_buffer
      - .actual_access:  write_only
        .address_space:  global
        .offset:         136
        .size:           8
        .value_kind:     global_buffer
      - .actual_access:  write_only
        .address_space:  global
        .offset:         144
        .size:           8
        .value_kind:     global_buffer
      - .offset:         152
        .size:           4
        .value_kind:     by_value
      - .offset:         156
        .size:           4
        .value_kind:     by_value
      - .offset:         160
        .size:           4
        .value_kind:     by_value
      - .offset:         164
        .size:           4
        .value_kind:     by_value
      - .offset:         168
        .size:           1
        .value_kind:     by_value
      - .offset:         169
        .size:           1
        .value_kind:     by_value
      - .offset:         170
        .size:           1
        .value_kind:     by_value
    .group_segment_fixed_size: 0
    .kernarg_segment_align: 8
    .kernarg_segment_size: 172
    .language:       OpenCL C
    .language_version:
      - 2
      - 0
    .max_flat_workgroup_size: 1024
    .name:           _ZN9rocsparseL26csrgemm_fill_block_per_rowILj1024ELj64ELj32768ELj137ELj64Eli21rocsparse_complex_numIdEEEvT5_PKS3_S5_NS_24const_host_device_scalarIT6_EEPKT4_S5_PKS7_SB_S5_SD_S8_SB_S5_SD_SB_PS3_PS7_21rocsparse_index_base_SG_SG_SG_bbb
    .private_segment_fixed_size: 40
    .sgpr_count:     50
    .sgpr_spill_count: 0
    .symbol:         _ZN9rocsparseL26csrgemm_fill_block_per_rowILj1024ELj64ELj32768ELj137ELj64Eli21rocsparse_complex_numIdEEEvT5_PKS3_S5_NS_24const_host_device_scalarIT6_EEPKT4_S5_PKS7_SB_S5_SD_S8_SB_S5_SD_SB_PS3_PS7_21rocsparse_index_base_SG_SG_SG_bbb.kd
    .uniform_work_group_size: 1
    .uses_dynamic_stack: false
    .vgpr_count:     36
    .vgpr_spill_count: 0
    .wavefront_size: 32
    .workgroup_processor_mode: 1
  - .args:
      - .offset:         0
        .size:           4
        .value_kind:     by_value
      - .actual_access:  read_only
        .address_space:  global
        .offset:         8
        .size:           8
        .value_kind:     global_buffer
      - .actual_access:  read_only
        .address_space:  global
        .offset:         16
        .size:           8
        .value_kind:     global_buffer
      - .offset:         24
        .size:           16
        .value_kind:     by_value
      - .actual_access:  read_only
        .address_space:  global
        .offset:         40
        .size:           8
        .value_kind:     global_buffer
      - .actual_access:  read_only
        .address_space:  global
        .offset:         48
        .size:           8
        .value_kind:     global_buffer
      - .actual_access:  read_only
        .address_space:  global
        .offset:         56
        .size:           8
        .value_kind:     global_buffer
      - .actual_access:  read_only
        .address_space:  global
        .offset:         64
        .size:           8
        .value_kind:     global_buffer
      - .actual_access:  read_only
        .address_space:  global
        .offset:         72
        .size:           8
        .value_kind:     global_buffer
      - .actual_access:  read_only
        .address_space:  global
        .offset:         80
        .size:           8
        .value_kind:     global_buffer
      - .offset:         88
        .size:           16
        .value_kind:     by_value
      - .actual_access:  read_only
        .address_space:  global
        .offset:         104
        .size:           8
        .value_kind:     global_buffer
      - .actual_access:  read_only
        .address_space:  global
        .offset:         112
        .size:           8
        .value_kind:     global_buffer
      - .actual_access:  read_only
        .address_space:  global
        .offset:         120
        .size:           8
        .value_kind:     global_buffer
      - .actual_access:  read_only
        .address_space:  global
        .offset:         128
        .size:           8
        .value_kind:     global_buffer
      - .actual_access:  write_only
        .address_space:  global
        .offset:         136
        .size:           8
        .value_kind:     global_buffer
      - .actual_access:  write_only
        .address_space:  global
        .offset:         144
        .size:           8
        .value_kind:     global_buffer
      - .address_space:  global
        .offset:         152
        .size:           8
        .value_kind:     global_buffer
      - .offset:         160
        .size:           4
        .value_kind:     by_value
      - .offset:         164
        .size:           4
        .value_kind:     by_value
      - .offset:         168
        .size:           4
        .value_kind:     by_value
      - .offset:         172
        .size:           4
        .value_kind:     by_value
      - .offset:         176
        .size:           1
        .value_kind:     by_value
      - .offset:         177
        .size:           1
        .value_kind:     by_value
      - .offset:         178
        .size:           1
        .value_kind:     by_value
    .group_segment_fixed_size: 43016
    .kernarg_segment_align: 8
    .kernarg_segment_size: 180
    .language:       OpenCL C
    .language_version:
      - 2
      - 0
    .max_flat_workgroup_size: 512
    .name:           _ZN9rocsparseL36csrgemm_fill_block_per_row_multipassILj512ELj16ELj2048ELj32Eli21rocsparse_complex_numIdEEEvT4_PKS3_S5_NS_24const_host_device_scalarIT5_EEPKT3_S5_PKS7_SB_S5_SD_S8_SB_S5_SD_SB_PS3_PS7_PS9_21rocsparse_index_base_SH_SH_SH_bbb
    .private_segment_fixed_size: 24
    .sgpr_count:     67
    .sgpr_spill_count: 0
    .symbol:         _ZN9rocsparseL36csrgemm_fill_block_per_row_multipassILj512ELj16ELj2048ELj32Eli21rocsparse_complex_numIdEEEvT4_PKS3_S5_NS_24const_host_device_scalarIT5_EEPKT3_S5_PKS7_SB_S5_SD_S8_SB_S5_SD_SB_PS3_PS7_PS9_21rocsparse_index_base_SH_SH_SH_bbb.kd
    .uniform_work_group_size: 1
    .uses_dynamic_stack: false
    .vgpr_count:     59
    .vgpr_spill_count: 0
    .wavefront_size: 32
    .workgroup_processor_mode: 1
  - .args:
      - .offset:         0
        .size:           4
        .value_kind:     by_value
      - .actual_access:  read_only
        .address_space:  global
        .offset:         8
        .size:           8
        .value_kind:     global_buffer
      - .actual_access:  read_only
        .address_space:  global
        .offset:         16
        .size:           8
        .value_kind:     global_buffer
      - .offset:         24
        .size:           16
        .value_kind:     by_value
      - .actual_access:  read_only
        .address_space:  global
        .offset:         40
        .size:           8
        .value_kind:     global_buffer
      - .actual_access:  read_only
        .address_space:  global
        .offset:         48
        .size:           8
        .value_kind:     global_buffer
      - .actual_access:  read_only
        .address_space:  global
        .offset:         56
        .size:           8
        .value_kind:     global_buffer
      - .actual_access:  read_only
        .address_space:  global
        .offset:         64
        .size:           8
        .value_kind:     global_buffer
      - .actual_access:  read_only
        .address_space:  global
        .offset:         72
        .size:           8
        .value_kind:     global_buffer
      - .actual_access:  read_only
        .address_space:  global
        .offset:         80
        .size:           8
        .value_kind:     global_buffer
      - .offset:         88
        .size:           16
        .value_kind:     by_value
      - .actual_access:  read_only
        .address_space:  global
        .offset:         104
        .size:           8
        .value_kind:     global_buffer
      - .actual_access:  read_only
        .address_space:  global
        .offset:         112
        .size:           8
        .value_kind:     global_buffer
      - .actual_access:  read_only
        .address_space:  global
        .offset:         120
        .size:           8
        .value_kind:     global_buffer
      - .actual_access:  read_only
        .address_space:  global
        .offset:         128
        .size:           8
        .value_kind:     global_buffer
      - .actual_access:  write_only
        .address_space:  global
        .offset:         136
        .size:           8
        .value_kind:     global_buffer
      - .actual_access:  write_only
        .address_space:  global
        .offset:         144
        .size:           8
        .value_kind:     global_buffer
      - .address_space:  global
        .offset:         152
        .size:           8
        .value_kind:     global_buffer
      - .offset:         160
        .size:           4
        .value_kind:     by_value
      - .offset:         164
        .size:           4
        .value_kind:     by_value
      - .offset:         168
        .size:           4
        .value_kind:     by_value
      - .offset:         172
        .size:           4
        .value_kind:     by_value
      - .offset:         176
        .size:           1
        .value_kind:     by_value
      - .offset:         177
        .size:           1
        .value_kind:     by_value
      - .offset:         178
        .size:           1
        .value_kind:     by_value
    .group_segment_fixed_size: 43016
    .kernarg_segment_align: 8
    .kernarg_segment_size: 180
    .language:       OpenCL C
    .language_version:
      - 2
      - 0
    .max_flat_workgroup_size: 512
    .name:           _ZN9rocsparseL36csrgemm_fill_block_per_row_multipassILj512ELj16ELj2048ELj64Eli21rocsparse_complex_numIdEEEvT4_PKS3_S5_NS_24const_host_device_scalarIT5_EEPKT3_S5_PKS7_SB_S5_SD_S8_SB_S5_SD_SB_PS3_PS7_PS9_21rocsparse_index_base_SH_SH_SH_bbb
    .private_segment_fixed_size: 24
    .sgpr_count:     59
    .sgpr_spill_count: 0
    .symbol:         _ZN9rocsparseL36csrgemm_fill_block_per_row_multipassILj512ELj16ELj2048ELj64Eli21rocsparse_complex_numIdEEEvT4_PKS3_S5_NS_24const_host_device_scalarIT5_EEPKT3_S5_PKS7_SB_S5_SD_S8_SB_S5_SD_SB_PS3_PS7_PS9_21rocsparse_index_base_SH_SH_SH_bbb.kd
    .uniform_work_group_size: 1
    .uses_dynamic_stack: false
    .vgpr_count:     59
    .vgpr_spill_count: 0
    .wavefront_size: 32
    .workgroup_processor_mode: 1
amdhsa.target:   amdgcn-amd-amdhsa--gfx1100
amdhsa.version:
  - 1
  - 2
...

	.end_amdgpu_metadata
